;; amdgpu-corpus repo=ROCm/rocSPARSE kind=compiled arch=gfx90a opt=O3
	.text
	.amdgcn_target "amdgcn-amd-amdhsa--gfx90a"
	.amdhsa_code_object_version 6
	.section	.text._ZN9rocsparseL22csrmvn_adaptive_kernelIiiffffEEvbT_PKS1_PjPKT0_NS_24const_host_device_scalarIT4_EES3_S7_PKT1_PKT2_SA_PT3_21rocsparse_index_base_b,"axG",@progbits,_ZN9rocsparseL22csrmvn_adaptive_kernelIiiffffEEvbT_PKS1_PjPKT0_NS_24const_host_device_scalarIT4_EES3_S7_PKT1_PKT2_SA_PT3_21rocsparse_index_base_b,comdat
	.globl	_ZN9rocsparseL22csrmvn_adaptive_kernelIiiffffEEvbT_PKS1_PjPKT0_NS_24const_host_device_scalarIT4_EES3_S7_PKT1_PKT2_SA_PT3_21rocsparse_index_base_b ; -- Begin function _ZN9rocsparseL22csrmvn_adaptive_kernelIiiffffEEvbT_PKS1_PjPKT0_NS_24const_host_device_scalarIT4_EES3_S7_PKT1_PKT2_SA_PT3_21rocsparse_index_base_b
	.p2align	8
	.type	_ZN9rocsparseL22csrmvn_adaptive_kernelIiiffffEEvbT_PKS1_PjPKT0_NS_24const_host_device_scalarIT4_EES3_S7_PKT1_PKT2_SA_PT3_21rocsparse_index_base_b,@function
_ZN9rocsparseL22csrmvn_adaptive_kernelIiiffffEEvbT_PKS1_PjPKT0_NS_24const_host_device_scalarIT4_EES3_S7_PKT1_PKT2_SA_PT3_21rocsparse_index_base_b: ; @_ZN9rocsparseL22csrmvn_adaptive_kernelIiiffffEEvbT_PKS1_PjPKT0_NS_24const_host_device_scalarIT4_EES3_S7_PKT1_PKT2_SA_PT3_21rocsparse_index_base_b
; %bb.0:
	s_load_dwordx2 s[44:45], s[4:5], 0x58
	s_load_dwordx2 s[42:43], s[4:5], 0x20
	;; [unrolled: 1-line block ×3, first 2 shown]
	s_waitcnt lgkmcnt(0)
	s_bitcmp1_b32 s45, 0
	s_cselect_b64 s[2:3], -1, 0
	s_xor_b64 s[0:1], s[2:3], -1
	s_and_b64 vcc, exec, s[2:3]
	s_cbranch_vccnz .LBB0_2
; %bb.1:
	s_load_dword s42, s[42:43], 0x0
.LBB0_2:
	s_andn2_b64 vcc, exec, s[0:1]
	s_cbranch_vccnz .LBB0_4
; %bb.3:
	s_load_dword s34, s[34:35], 0x0
.LBB0_4:
	s_waitcnt lgkmcnt(0)
	v_cmp_neq_f32_e64 s[0:1], s42, 0
	v_cmp_neq_f32_e64 s[2:3], s34, 1.0
	s_or_b64 s[0:1], s[0:1], s[2:3]
	s_andn2_b64 vcc, exec, s[0:1]
	s_cbranch_vccnz .LBB0_128
; %bb.5:
	s_load_dwordx2 s[0:1], s[4:5], 0x8
	s_load_dwordx2 s[8:9], s[4:5], 0x18
	s_ashr_i32 s7, s6, 31
	s_lshl_b64 s[48:49], s[6:7], 2
	s_waitcnt lgkmcnt(0)
	s_add_u32 s0, s0, s48
	s_addc_u32 s1, s1, s49
	s_load_dwordx2 s[38:39], s[0:1], 0x0
	s_load_dwordx2 s[36:37], s[4:5], 0x50
	s_load_dwordx8 s[24:31], s[4:5], 0x28
	s_waitcnt lgkmcnt(0)
	s_sub_i32 s2, s39, s38
	s_add_u32 s8, s8, s48
	s_mov_b32 s0, s38
	s_addc_u32 s9, s9, s49
	s_ashr_i32 s1, s38, 31
	s_lshl_b64 s[46:47], s[0:1], 2
	s_add_u32 s40, s24, s46
	s_addc_u32 s41, s25, s47
	s_load_dword s33, s[8:9], 0x0
	s_load_dword s35, s[40:41], 0x0
	s_cmp_lt_i32 s2, 2
	s_mov_b64 s[0:1], -1
	s_cbranch_scc0 .LBB0_72
; %bb.6:
	s_cmp_lg_u32 s2, 1
	s_cselect_b64 s[0:1], -1, 0
	s_waitcnt lgkmcnt(0)
	s_cmp_lg_u32 s33, 0
	s_cselect_b64 s[2:3], -1, 0
	s_or_b64 s[2:3], s[0:1], s[2:3]
	s_mov_b64 s[0:1], -1
	s_and_b64 vcc, exec, s[2:3]
	s_cbranch_vccnz .LBB0_35
; %bb.7:
	s_cmp_le_i32 s39, s38
	s_cbranch_scc1 .LBB0_34
; %bb.8:
	v_cmp_neq_f32_e64 s[20:21], s34, 0
	s_movk_i32 s0, 0x80
	s_add_u32 s7, s24, 4
	v_cndmask_b32_e64 v2, 0, 1, s[20:21]
	v_subrev_u32_e32 v1, s44, v0
	v_lshlrev_b32_e32 v8, 2, v0
	v_cmp_gt_u32_e64 s[0:1], s0, v0
	v_cmp_gt_u32_e64 s[2:3], 64, v0
	;; [unrolled: 1-line block ×7, first 2 shown]
	v_cmp_eq_u32_e64 s[18:19], 0, v0
	s_addc_u32 s43, s25, 0
	v_mov_b32_e32 v9, s31
	v_mov_b32_e32 v10, 0
	v_cmp_ne_u32_e64 s[20:21], 1, v2
	s_mov_b32 s45, s35
	s_mov_b32 s50, s38
	s_branch .LBB0_11
.LBB0_9:                                ;   in Loop: Header=BB0_11 Depth=1
	s_add_u32 s52, s36, s52
	s_addc_u32 s53, s37, s53
	s_waitcnt lgkmcnt(0)
	global_store_dword v10, v2, s[52:53]
.LBB0_10:                               ;   in Loop: Header=BB0_11 Depth=1
	s_or_b64 exec, exec, s[22:23]
	s_add_i32 s50, s50, 1
	s_cmp_ge_i32 s50, s39
	s_cbranch_scc1 .LBB0_34
.LBB0_11:                               ; =>This Loop Header: Depth=1
                                        ;     Child Loop BB0_13 Depth 2
	s_ashr_i32 s51, s50, 31
	s_lshl_b64 s[52:53], s[50:51], 2
	s_add_u32 s22, s7, s52
	s_addc_u32 s23, s43, s53
	s_mov_b32 s54, s45
	s_load_dword s45, s[22:23], 0x0
	v_add_u32_e32 v2, s54, v1
	v_mov_b32_e32 v3, 0
	s_waitcnt lgkmcnt(0)
	s_sub_i32 s51, s45, s44
	v_cmp_gt_i32_e32 vcc, s51, v2
	s_and_saveexec_b64 s[54:55], vcc
	s_cbranch_execz .LBB0_15
; %bb.12:                               ;   in Loop: Header=BB0_11 Depth=1
	v_ashrrev_i32_e32 v3, 31, v2
	v_lshlrev_b64 v[6:7], 2, v[2:3]
	v_mov_b32_e32 v3, s29
	v_add_co_u32_e32 v4, vcc, s28, v6
	v_addc_co_u32_e32 v5, vcc, v3, v7, vcc
	v_mov_b32_e32 v3, s27
	v_add_co_u32_e32 v6, vcc, s26, v6
	v_addc_co_u32_e32 v7, vcc, v3, v7, vcc
	s_mov_b64 s[56:57], 0
	v_mov_b32_e32 v3, 0
.LBB0_13:                               ;   Parent Loop BB0_11 Depth=1
                                        ; =>  This Inner Loop Header: Depth=2
	global_load_dword v11, v[6:7], off
	global_load_dword v14, v[4:5], off
	v_add_u32_e32 v2, 0x100, v2
	v_cmp_le_i32_e64 s[22:23], s51, v2
	s_or_b64 s[56:57], s[22:23], s[56:57]
	s_waitcnt vmcnt(1)
	v_subrev_u32_e32 v12, s44, v11
	v_ashrrev_i32_e32 v13, 31, v12
	v_lshlrev_b64 v[12:13], 2, v[12:13]
	v_add_co_u32_e32 v12, vcc, s30, v12
	v_addc_co_u32_e32 v13, vcc, v9, v13, vcc
	global_load_dword v11, v[12:13], off
	v_add_co_u32_e32 v4, vcc, 0x400, v4
	v_addc_co_u32_e32 v5, vcc, 0, v5, vcc
	v_add_co_u32_e32 v6, vcc, 0x400, v6
	s_waitcnt vmcnt(1)
	v_mul_f32_e32 v12, s42, v14
	v_addc_co_u32_e32 v7, vcc, 0, v7, vcc
	s_waitcnt vmcnt(0)
	v_fmac_f32_e32 v3, v12, v11
	s_andn2_b64 exec, exec, s[56:57]
	s_cbranch_execnz .LBB0_13
; %bb.14:                               ;   in Loop: Header=BB0_11 Depth=1
	s_or_b64 exec, exec, s[56:57]
.LBB0_15:                               ;   in Loop: Header=BB0_11 Depth=1
	s_or_b64 exec, exec, s[54:55]
	ds_write_b32 v8, v3
	s_waitcnt lgkmcnt(0)
	s_barrier
	s_and_saveexec_b64 s[22:23], s[0:1]
	s_cbranch_execz .LBB0_17
; %bb.16:                               ;   in Loop: Header=BB0_11 Depth=1
	ds_read2st64_b32 v[2:3], v8 offset1:2
	s_waitcnt lgkmcnt(0)
	v_add_f32_e32 v2, v2, v3
	ds_write_b32 v8, v2
.LBB0_17:                               ;   in Loop: Header=BB0_11 Depth=1
	s_or_b64 exec, exec, s[22:23]
	s_waitcnt lgkmcnt(0)
	s_barrier
	s_and_saveexec_b64 s[22:23], s[2:3]
	s_cbranch_execz .LBB0_19
; %bb.18:                               ;   in Loop: Header=BB0_11 Depth=1
	ds_read2st64_b32 v[2:3], v8 offset1:1
	s_waitcnt lgkmcnt(0)
	v_add_f32_e32 v2, v2, v3
	ds_write_b32 v8, v2
.LBB0_19:                               ;   in Loop: Header=BB0_11 Depth=1
	s_or_b64 exec, exec, s[22:23]
	s_waitcnt lgkmcnt(0)
	s_barrier
	s_and_saveexec_b64 s[22:23], s[8:9]
	s_cbranch_execz .LBB0_21
; %bb.20:                               ;   in Loop: Header=BB0_11 Depth=1
	ds_read2_b32 v[2:3], v8 offset1:32
	s_waitcnt lgkmcnt(0)
	v_add_f32_e32 v2, v2, v3
	ds_write_b32 v8, v2
.LBB0_21:                               ;   in Loop: Header=BB0_11 Depth=1
	s_or_b64 exec, exec, s[22:23]
	s_waitcnt lgkmcnt(0)
	s_barrier
	s_and_saveexec_b64 s[22:23], s[10:11]
	s_cbranch_execz .LBB0_23
; %bb.22:                               ;   in Loop: Header=BB0_11 Depth=1
	ds_read2_b32 v[2:3], v8 offset1:16
	s_waitcnt lgkmcnt(0)
	v_add_f32_e32 v2, v2, v3
	ds_write_b32 v8, v2
.LBB0_23:                               ;   in Loop: Header=BB0_11 Depth=1
	;; [unrolled: 11-line block ×5, first 2 shown]
	s_or_b64 exec, exec, s[22:23]
	s_waitcnt lgkmcnt(0)
	s_barrier
	s_and_saveexec_b64 s[22:23], s[18:19]
	s_cbranch_execz .LBB0_31
; %bb.30:                               ;   in Loop: Header=BB0_11 Depth=1
	ds_read_b64 v[2:3], v10
	s_waitcnt lgkmcnt(0)
	v_add_f32_e32 v2, v2, v3
	ds_write_b32 v10, v2
.LBB0_31:                               ;   in Loop: Header=BB0_11 Depth=1
	s_or_b64 exec, exec, s[22:23]
	s_waitcnt lgkmcnt(0)
	s_barrier
	s_and_saveexec_b64 s[22:23], s[18:19]
	s_cbranch_execz .LBB0_10
; %bb.32:                               ;   in Loop: Header=BB0_11 Depth=1
	ds_read_b32 v2, v10
	s_and_b64 vcc, exec, s[20:21]
	s_cbranch_vccnz .LBB0_9
; %bb.33:                               ;   in Loop: Header=BB0_11 Depth=1
	s_add_u32 s54, s36, s52
	s_addc_u32 s55, s37, s53
	global_load_dword v3, v10, s[54:55]
	s_waitcnt vmcnt(0) lgkmcnt(0)
	v_fmac_f32_e32 v2, s34, v3
	s_branch .LBB0_9
.LBB0_34:
	s_mov_b64 s[0:1], 0
.LBB0_35:
	s_andn2_b64 vcc, exec, s[0:1]
	s_cbranch_vccnz .LBB0_71
; %bb.36:
	s_load_dwordx2 s[8:9], s[4:5], 0x10
	s_sub_i32 s6, s6, s33
	v_or_b32_e32 v1, s33, v0
	v_cmp_eq_u32_e32 vcc, 0, v1
	v_mov_b32_e32 v1, 0
	s_waitcnt lgkmcnt(0)
	s_add_u32 s2, s8, s48
	s_addc_u32 s3, s9, s49
	s_load_dword s14, s[2:3], 0x0
	s_and_saveexec_b64 s[0:1], vcc
	s_cbranch_execz .LBB0_40
; %bb.37:
	s_add_u32 s12, s36, s46
	s_addc_u32 s13, s37, s47
	s_load_dword s15, s[12:13], 0x0
	s_mov_b64 s[10:11], exec
	v_mbcnt_lo_u32_b32 v2, s10, 0
	v_mbcnt_hi_u32_b32 v2, s11, v2
	v_add_f32_e64 v1, s34, -1.0
	v_cmp_eq_u32_e32 vcc, 0, v2
	s_waitcnt vmcnt(0) expcnt(0) lgkmcnt(0)
	s_and_saveexec_b64 s[12:13], vcc
	s_cbranch_execz .LBB0_39
; %bb.38:
	s_ashr_i32 s7, s6, 31
	s_lshl_b64 s[16:17], s[6:7], 2
	s_add_u32 s16, s8, s16
	s_addc_u32 s17, s9, s17
	s_bcnt1_i32_b64 s7, s[10:11]
	s_and_b32 s7, s7, 1
	v_mov_b32_e32 v2, 0
	v_mov_b32_e32 v3, s7
	global_atomic_xor v2, v3, s[16:17]
.LBB0_39:
	s_or_b64 exec, exec, s[12:13]
	v_mul_f32_e32 v1, s15, v1
.LBB0_40:
	s_or_b64 exec, exec, s[0:1]
	s_load_dword s1, s[40:41], 0x4
	s_mul_i32 s0, s33, 0xc00
	s_sub_i32 s7, s35, s44
	s_add_i32 s0, s7, s0
	v_add_u32_e32 v2, s0, v0
	s_waitcnt lgkmcnt(0)
	s_sub_i32 s1, s1, s44
	v_cmp_gt_i32_e32 vcc, s1, v2
	s_and_saveexec_b64 s[10:11], vcc
	s_cbranch_execz .LBB0_44
; %bb.41:
	v_ashrrev_i32_e32 v3, 31, v2
	v_lshlrev_b64 v[6:7], 2, v[2:3]
	v_mov_b32_e32 v3, s29
	v_add_co_u32_e32 v4, vcc, s28, v6
	v_addc_co_u32_e32 v5, vcc, v3, v7, vcc
	s_addk_i32 s0, 0xc00
	v_mov_b32_e32 v3, s27
	v_add_co_u32_e32 v6, vcc, s26, v6
	s_min_i32 s7, s0, s1
	v_addc_co_u32_e32 v7, vcc, v3, v7, vcc
	s_mov_b64 s[12:13], 0
	v_mov_b32_e32 v3, s31
.LBB0_42:                               ; =>This Inner Loop Header: Depth=1
	global_load_dword v8, v[6:7], off
	global_load_dword v10, v[4:5], off
	v_add_u32_e32 v2, 0x100, v2
	v_cmp_le_i32_e64 s[0:1], s7, v2
	s_or_b64 s[12:13], s[0:1], s[12:13]
	s_waitcnt vmcnt(1)
	v_subrev_u32_e32 v8, s44, v8
	v_ashrrev_i32_e32 v9, 31, v8
	v_lshlrev_b64 v[8:9], 2, v[8:9]
	v_add_co_u32_e32 v8, vcc, s30, v8
	v_addc_co_u32_e32 v9, vcc, v3, v9, vcc
	global_load_dword v8, v[8:9], off
	v_add_co_u32_e32 v4, vcc, 0x400, v4
	v_addc_co_u32_e32 v5, vcc, 0, v5, vcc
	v_add_co_u32_e32 v6, vcc, 0x400, v6
	s_waitcnt vmcnt(1)
	v_mul_f32_e32 v9, s42, v10
	v_addc_co_u32_e32 v7, vcc, 0, v7, vcc
	s_waitcnt vmcnt(0)
	v_fmac_f32_e32 v1, v9, v8
	s_andn2_b64 exec, exec, s[12:13]
	s_cbranch_execnz .LBB0_42
; %bb.43:
	s_or_b64 exec, exec, s[12:13]
.LBB0_44:
	s_or_b64 exec, exec, s[10:11]
	s_movk_i32 s0, 0x80
	v_lshlrev_b32_e32 v2, 2, v0
	v_cmp_gt_u32_e32 vcc, s0, v0
	ds_write_b32 v2, v1
	s_waitcnt lgkmcnt(0)
	s_barrier
	s_and_saveexec_b64 s[0:1], vcc
	s_cbranch_execz .LBB0_46
; %bb.45:
	ds_read2st64_b32 v[4:5], v2 offset1:2
	s_waitcnt lgkmcnt(0)
	v_add_f32_e32 v1, v4, v5
	ds_write_b32 v2, v1
.LBB0_46:
	s_or_b64 exec, exec, s[0:1]
	v_cmp_gt_u32_e32 vcc, 64, v0
	s_waitcnt lgkmcnt(0)
	s_barrier
	s_and_saveexec_b64 s[0:1], vcc
	s_cbranch_execz .LBB0_48
; %bb.47:
	ds_read2st64_b32 v[4:5], v2 offset1:1
	s_waitcnt lgkmcnt(0)
	v_add_f32_e32 v1, v4, v5
	ds_write_b32 v2, v1
.LBB0_48:
	s_or_b64 exec, exec, s[0:1]
	v_cmp_gt_u32_e32 vcc, 32, v0
	s_waitcnt lgkmcnt(0)
	s_barrier
	s_and_saveexec_b64 s[0:1], vcc
	s_cbranch_execz .LBB0_50
; %bb.49:
	ds_read2_b32 v[4:5], v2 offset1:32
	s_waitcnt lgkmcnt(0)
	v_add_f32_e32 v1, v4, v5
	ds_write_b32 v2, v1
.LBB0_50:
	s_or_b64 exec, exec, s[0:1]
	v_cmp_gt_u32_e32 vcc, 16, v0
	s_waitcnt lgkmcnt(0)
	s_barrier
	s_and_saveexec_b64 s[0:1], vcc
	s_cbranch_execz .LBB0_52
; %bb.51:
	ds_read2_b32 v[4:5], v2 offset1:16
	s_waitcnt lgkmcnt(0)
	v_add_f32_e32 v1, v4, v5
	ds_write_b32 v2, v1
.LBB0_52:
	;; [unrolled: 12-line block ×5, first 2 shown]
	s_or_b64 exec, exec, s[0:1]
	v_cmp_eq_u32_e32 vcc, 0, v0
	s_waitcnt lgkmcnt(0)
	s_barrier
	s_and_saveexec_b64 s[0:1], vcc
	s_cbranch_execz .LBB0_60
; %bb.59:
	v_mov_b32_e32 v1, 0
	ds_read_b64 v[2:3], v1
	s_waitcnt lgkmcnt(0)
	v_add_f32_e32 v2, v2, v3
	ds_write_b32 v1, v2
.LBB0_60:
	s_or_b64 exec, exec, s[0:1]
	s_waitcnt lgkmcnt(0)
	s_barrier
	s_and_saveexec_b64 s[0:1], vcc
	s_cbranch_execz .LBB0_70
; %bb.61:
	s_cmp_eq_u32 s33, 0
	s_cbranch_scc1 .LBB0_67
; %bb.62:
	s_ashr_i32 s7, s6, 31
	s_lshl_b64 s[6:7], s[6:7], 2
	s_add_u32 s6, s8, s6
	s_addc_u32 s7, s9, s7
	v_mov_b32_e32 v1, 0
	s_branch .LBB0_64
.LBB0_63:                               ;   in Loop: Header=BB0_64 Depth=1
	s_or_b64 exec, exec, s[8:9]
	s_waitcnt vmcnt(0)
	v_readfirstlane_b32 s8, v2
	s_cmp_eq_u32 s8, s14
	s_cbranch_scc0 .LBB0_66
.LBB0_64:                               ; =>This Inner Loop Header: Depth=1
	v_mbcnt_lo_u32_b32 v2, exec_lo, 0
	v_mbcnt_hi_u32_b32 v2, exec_hi, v2
	v_cmp_eq_u32_e32 vcc, 0, v2
                                        ; implicit-def: $vgpr2
	s_and_saveexec_b64 s[8:9], vcc
	s_cbranch_execz .LBB0_63
; %bb.65:                               ;   in Loop: Header=BB0_64 Depth=1
	global_load_dword v2, v1, s[6:7] glc
	s_branch .LBB0_63
.LBB0_66:
	v_mov_b32_e32 v1, 0
	global_load_dword v2, v1, s[2:3]
	s_waitcnt vmcnt(0)
	v_xor_b32_e32 v2, 1, v2
	global_store_dword v1, v2, s[2:3]
.LBB0_67:
	s_mov_b64 s[6:7], exec
	v_mbcnt_lo_u32_b32 v1, s6, 0
	v_mbcnt_hi_u32_b32 v1, s7, v1
	v_cmp_eq_u32_e32 vcc, 0, v1
	s_and_b64 s[2:3], exec, vcc
	s_mov_b64 exec, s[2:3]
	s_cbranch_execz .LBB0_70
; %bb.68:
	s_add_u32 s2, s36, s46
	s_addc_u32 s3, s37, s47
	v_mov_b32_e32 v1, 0
	global_load_dword v3, v1, s[2:3]
	ds_read_b32 v2, v1
	s_bcnt1_i32_b64 s6, s[6:7]
	v_cvt_f32_ubyte0_e32 v4, s6
	s_mov_b64 s[6:7], 0
	s_waitcnt lgkmcnt(0)
	v_mul_f32_e32 v4, v2, v4
.LBB0_69:                               ; =>This Inner Loop Header: Depth=1
	s_waitcnt vmcnt(0)
	v_add_f32_e32 v2, v3, v4
	global_atomic_cmpswap v2, v1, v[2:3], s[2:3] glc
	s_waitcnt vmcnt(0)
	v_cmp_eq_u32_e32 vcc, v2, v3
	s_or_b64 s[6:7], vcc, s[6:7]
	v_mov_b32_e32 v3, v2
	s_andn2_b64 exec, exec, s[6:7]
	s_cbranch_execnz .LBB0_69
.LBB0_70:
	s_or_b64 exec, exec, s[0:1]
.LBB0_71:
	s_mov_b64 s[0:1], 0
.LBB0_72:
	s_andn2_b64 vcc, exec, s[0:1]
	s_cbranch_vccnz .LBB0_128
; %bb.73:
	s_load_dword s0, s[4:5], 0x4
	v_subrev_u32_e32 v1, s44, v0
	s_waitcnt lgkmcnt(0)
	v_add_u32_e32 v2, s35, v1
	v_add_u32_e32 v1, 0x300, v2
	v_cmp_le_i32_e32 vcc, s0, v1
	s_and_saveexec_b64 s[0:1], vcc
	s_xor_b64 s[2:3], exec, s[0:1]
	s_cbranch_execz .LBB0_90
; %bb.74:
	s_ashr_i32 s1, s39, 31
	s_mov_b32 s0, s39
	s_lshl_b64 s[0:1], s[0:1], 2
	s_add_u32 s0, s24, s0
	s_addc_u32 s1, s25, s1
	s_load_dword s0, s[0:1], 0x0
	s_waitcnt lgkmcnt(0)
	s_sub_i32 s18, s0, s44
	v_cmp_gt_i32_e32 vcc, s18, v2
	s_and_saveexec_b64 s[4:5], vcc
	s_cbranch_execz .LBB0_89
; %bb.75:
	v_add_u32_e32 v1, s35, v0
	v_subrev_u32_e32 v1, s44, v1
	v_add_u32_e32 v1, 0x100, v1
	v_max_i32_e32 v1, s18, v1
	v_not_b32_e32 v3, v0
	v_add3_u32 v1, v1, s44, v3
	v_subrev_u32_e32 v3, s35, v1
	s_movk_i32 s0, 0xf00
	v_cmp_gt_u32_e64 s[6:7], s0, v3
	s_movk_i32 s0, 0xeff
	v_cmp_lt_u32_e32 vcc, s0, v3
	v_mov_b32_e32 v1, 0
	s_and_saveexec_b64 s[8:9], vcc
	s_cbranch_execz .LBB0_86
; %bb.76:
	v_and_b32_e32 v1, 0xffffff00, v3
	v_add_u32_e32 v1, v2, v1
	v_cmp_ge_i32_e32 vcc, v1, v2
	s_mov_b64 s[0:1], -1
	v_mov_b32_e32 v1, 0
	s_and_saveexec_b64 s[10:11], vcc
	s_cbranch_execz .LBB0_85
; %bb.77:
	v_lshrrev_b32_e32 v1, 8, v3
	v_add_u32_e32 v4, -1, v1
	v_lshrrev_b32_e32 v3, 1, v4
	s_movk_i32 s13, 0x100
	s_mov_b32 s12, 0
	s_mov_b32 s43, s42
	;; [unrolled: 1-line block ×3, first 2 shown]
	v_add_u32_e32 v3, 1, v3
	v_cmp_lt_u32_e32 vcc, 5, v4
	v_pk_mov_b32 v[4:5], s[12:13], s[12:13] op_sel:[0,1]
	s_and_saveexec_b64 s[14:15], vcc
	s_cbranch_execz .LBB0_81
; %bb.78:
	v_and_b32_e32 v6, -4, v3
	s_mov_b64 s[16:17], 0
	v_mov_b32_e32 v7, s29
	v_mov_b32_e32 v8, s27
	;; [unrolled: 1-line block ×3, first 2 shown]
.LBB0_79:                               ; =>This Inner Loop Header: Depth=1
	v_add_u32_e32 v4, s12, v2
	v_ashrrev_i32_e32 v5, 31, v4
	v_add_u32_e32 v10, s13, v2
	v_lshlrev_b64 v[4:5], 2, v[4:5]
	v_ashrrev_i32_e32 v11, 31, v10
	v_add_co_u32_e32 v24, vcc, s28, v4
	v_lshlrev_b64 v[10:11], 2, v[10:11]
	v_addc_co_u32_e32 v25, vcc, v7, v5, vcc
	v_add_co_u32_e32 v26, vcc, s28, v10
	v_addc_co_u32_e32 v27, vcc, v7, v11, vcc
	s_add_i32 s21, s12, 0x200
	v_add_co_u32_e32 v4, vcc, s26, v4
	v_add_u32_e32 v12, s21, v2
	v_addc_co_u32_e32 v5, vcc, v8, v5, vcc
	s_add_i32 s20, s13, 0x200
	v_ashrrev_i32_e32 v13, 31, v12
	v_add_co_u32_e32 v10, vcc, s26, v10
	v_add_u32_e32 v14, s20, v2
	v_addc_co_u32_e32 v11, vcc, v8, v11, vcc
	v_lshlrev_b64 v[12:13], 2, v[12:13]
	v_ashrrev_i32_e32 v15, 31, v14
	global_load_dword v28, v[24:25], off
	global_load_dword v29, v[26:27], off
	;; [unrolled: 1-line block ×4, first 2 shown]
	v_add_co_u32_e32 v4, vcc, s28, v12
	v_lshlrev_b64 v[14:15], 2, v[14:15]
	v_addc_co_u32_e32 v5, vcc, v7, v13, vcc
	v_add_co_u32_e32 v10, vcc, s28, v14
	v_addc_co_u32_e32 v11, vcc, v7, v15, vcc
	s_add_i32 s23, s12, 0x400
	v_add_co_u32_e32 v12, vcc, s26, v12
	v_add_u32_e32 v16, s23, v2
	v_addc_co_u32_e32 v13, vcc, v8, v13, vcc
	s_add_i32 s22, s13, 0x400
	v_ashrrev_i32_e32 v17, 31, v16
	v_add_co_u32_e32 v14, vcc, s26, v14
	v_add_u32_e32 v18, s22, v2
	v_lshlrev_b64 v[16:17], 2, v[16:17]
	v_addc_co_u32_e32 v15, vcc, v8, v15, vcc
	s_add_i32 s46, s12, 0x600
	v_ashrrev_i32_e32 v19, 31, v18
	v_add_co_u32_e32 v24, vcc, s28, v16
	v_add_co_u32_e64 v16, s[0:1], s26, v16
	v_add_u32_e32 v20, s46, v2
	v_lshlrev_b64 v[18:19], 2, v[18:19]
	v_addc_co_u32_e32 v25, vcc, v7, v17, vcc
	v_addc_co_u32_e64 v17, s[0:1], v8, v17, s[0:1]
	s_add_i32 s45, s13, 0x600
	v_ashrrev_i32_e32 v21, 31, v20
	v_add_co_u32_e64 v30, s[0:1], s26, v18
	v_add_u32_e32 v22, s45, v2
	v_lshlrev_b64 v[20:21], 2, v[20:21]
	v_addc_co_u32_e64 v31, s[0:1], v8, v19, s[0:1]
	v_ashrrev_i32_e32 v23, 31, v22
	v_add_co_u32_e64 v32, s[0:1], s26, v20
	v_lshlrev_b64 v[22:23], 2, v[22:23]
	v_addc_co_u32_e64 v33, s[0:1], v8, v21, s[0:1]
	v_add_co_u32_e64 v34, s[0:1], s26, v22
	v_addc_co_u32_e64 v35, s[0:1], v8, v23, s[0:1]
	global_load_dword v38, v[12:13], off
	global_load_dword v39, v[14:15], off
	;; [unrolled: 1-line block ×6, first 2 shown]
	v_add_co_u32_e32 v26, vcc, s28, v18
	v_addc_co_u32_e32 v27, vcc, v7, v19, vcc
	v_add_co_u32_e32 v12, vcc, s28, v20
	v_addc_co_u32_e32 v13, vcc, v7, v21, vcc
	;; [unrolled: 2-line block ×3, first 2 shown]
	global_load_dword v16, v[4:5], off
	global_load_dword v17, v[10:11], off
	global_load_dword v18, v[24:25], off
	global_load_dword v19, v[26:27], off
	global_load_dword v20, v[12:13], off
	global_load_dword v21, v[14:15], off
	v_add_u32_e32 v6, -4, v6
	s_waitcnt vmcnt(13)
	v_subrev_u32_e32 v4, s44, v36
	v_ashrrev_i32_e32 v5, 31, v4
	s_waitcnt vmcnt(12)
	v_subrev_u32_e32 v10, s19, v37
	v_lshlrev_b64 v[4:5], 2, v[4:5]
	v_ashrrev_i32_e32 v11, 31, v10
	v_add_co_u32_e32 v4, vcc, s30, v4
	v_lshlrev_b64 v[10:11], 2, v[10:11]
	v_addc_co_u32_e32 v5, vcc, v9, v5, vcc
	v_add_co_u32_e32 v10, vcc, s30, v10
	v_addc_co_u32_e32 v11, vcc, v9, v11, vcc
	global_load_dword v32, v[4:5], off
	global_load_dword v33, v[10:11], off
	v_add_lshl_u32 v36, s23, v0, 2
	v_add_lshl_u32 v37, s22, v0, 2
	s_waitcnt vmcnt(13)
	v_subrev_u32_e32 v12, s44, v38
	v_ashrrev_i32_e32 v13, 31, v12
	s_waitcnt vmcnt(12)
	v_subrev_u32_e32 v14, s19, v39
	v_lshlrev_b64 v[12:13], 2, v[12:13]
	v_ashrrev_i32_e32 v15, 31, v14
	v_add_co_u32_e32 v4, vcc, s30, v12
	s_waitcnt vmcnt(11)
	v_subrev_u32_e32 v22, s44, v40
	v_lshlrev_b64 v[14:15], 2, v[14:15]
	v_addc_co_u32_e32 v5, vcc, v9, v13, vcc
	v_ashrrev_i32_e32 v23, 31, v22
	v_add_co_u32_e32 v10, vcc, s30, v14
	s_waitcnt vmcnt(10)
	v_subrev_u32_e32 v24, s19, v41
	v_lshlrev_b64 v[22:23], 2, v[22:23]
	v_addc_co_u32_e32 v11, vcc, v9, v15, vcc
	;; [unrolled: 6-line block ×4, first 2 shown]
	v_ashrrev_i32_e32 v31, 31, v30
	v_add_co_u32_e32 v22, vcc, s30, v26
	v_lshlrev_b64 v[30:31], 2, v[30:31]
	v_addc_co_u32_e32 v23, vcc, v9, v27, vcc
	v_add_co_u32_e32 v24, vcc, s30, v30
	v_addc_co_u32_e32 v25, vcc, v9, v31, vcc
	global_load_dword v26, v[4:5], off
	global_load_dword v27, v[10:11], off
	;; [unrolled: 1-line block ×6, first 2 shown]
	v_pk_mul_f32 v[10:11], s[42:43], v[28:29]
	v_add_lshl_u32 v22, s12, v0, 2
	v_add_lshl_u32 v23, s13, v0, 2
	s_addk_i32 s13, 0x800
	s_addk_i32 s12, 0x800
	v_cmp_eq_u32_e32 vcc, 0, v6
	s_waitcnt vmcnt(12)
	v_pk_mul_f32 v[12:13], s[42:43], v[16:17]
	s_waitcnt vmcnt(6)
	v_pk_mul_f32 v[10:11], v[10:11], v[32:33]
	v_add_lshl_u32 v24, s21, v0, 2
	v_pk_mov_b32 v[4:5], s[12:13], s[12:13] op_sel:[0,1]
	s_or_b64 s[16:17], vcc, s[16:17]
	v_pk_mul_f32 v[14:15], s[42:43], v[18:19]
	v_pk_mul_f32 v[16:17], s[42:43], v[20:21]
	ds_write_b32 v22, v10
	ds_write_b32 v23, v11
	v_add_lshl_u32 v25, s20, v0, 2
	v_add_lshl_u32 v38, s46, v0, 2
	;; [unrolled: 1-line block ×3, first 2 shown]
	s_waitcnt vmcnt(4)
	v_pk_mul_f32 v[10:11], v[12:13], v[26:27]
	s_waitcnt vmcnt(2)
	v_pk_mul_f32 v[12:13], v[14:15], v[30:31]
	;; [unrolled: 2-line block ×3, first 2 shown]
	ds_write_b32 v24, v10
	ds_write_b32 v25, v11
	;; [unrolled: 1-line block ×6, first 2 shown]
	s_andn2_b64 exec, exec, s[16:17]
	s_cbranch_execnz .LBB0_79
; %bb.80:
	s_or_b64 exec, exec, s[16:17]
.LBB0_81:
	s_or_b64 exec, exec, s[14:15]
	v_and_b32_e32 v3, 3, v3
	v_cmp_ne_u32_e32 vcc, 0, v3
	s_and_saveexec_b64 s[0:1], vcc
	s_cbranch_execz .LBB0_84
; %bb.82:
	s_mov_b64 s[12:13], 0
	v_mov_b32_e32 v6, s29
	v_mov_b32_e32 v7, s27
	;; [unrolled: 1-line block ×3, first 2 shown]
.LBB0_83:                               ; =>This Inner Loop Header: Depth=1
	v_add_u32_e32 v10, v4, v2
	v_ashrrev_i32_e32 v11, 31, v10
	v_add_u32_e32 v12, v5, v2
	v_lshlrev_b64 v[10:11], 2, v[10:11]
	v_ashrrev_i32_e32 v13, 31, v12
	v_add_co_u32_e32 v14, vcc, s26, v10
	v_lshlrev_b64 v[12:13], 2, v[12:13]
	v_addc_co_u32_e32 v15, vcc, v7, v11, vcc
	v_add_co_u32_e32 v16, vcc, s26, v12
	v_addc_co_u32_e32 v17, vcc, v7, v13, vcc
	global_load_dword v9, v[14:15], off
	global_load_dword v18, v[16:17], off
	v_add_co_u32_e32 v10, vcc, s28, v10
	v_addc_co_u32_e32 v11, vcc, v6, v11, vcc
	v_add_co_u32_e32 v12, vcc, s28, v12
	v_addc_co_u32_e32 v13, vcc, v6, v13, vcc
	global_load_dword v14, v[10:11], off
	global_load_dword v15, v[12:13], off
	v_add_u32_e32 v3, -1, v3
	s_waitcnt vmcnt(3)
	v_subrev_u32_e32 v10, s44, v9
	v_ashrrev_i32_e32 v11, 31, v10
	s_waitcnt vmcnt(2)
	v_subrev_u32_e32 v12, s19, v18
	v_lshlrev_b64 v[10:11], 2, v[10:11]
	v_ashrrev_i32_e32 v13, 31, v12
	v_add_co_u32_e32 v10, vcc, s30, v10
	v_lshlrev_b64 v[12:13], 2, v[12:13]
	v_addc_co_u32_e32 v11, vcc, v8, v11, vcc
	v_add_co_u32_e32 v12, vcc, s30, v12
	v_addc_co_u32_e32 v13, vcc, v8, v13, vcc
	global_load_dword v16, v[10:11], off
	global_load_dword v17, v[12:13], off
	v_cmp_eq_u32_e32 vcc, 0, v3
	s_waitcnt vmcnt(2)
	v_pk_mul_f32 v[10:11], s[42:43], v[14:15]
	v_add_lshl_u32 v9, v4, v0, 2
	v_add_lshl_u32 v12, v5, v0, 2
	v_add_u32_e32 v5, 0x200, v5
	v_add_u32_e32 v4, 0x200, v4
	s_or_b64 s[12:13], vcc, s[12:13]
	s_waitcnt vmcnt(0)
	v_pk_mul_f32 v[10:11], v[10:11], v[16:17]
	ds_write_b32 v9, v10
	ds_write_b32 v12, v11
	s_andn2_b64 exec, exec, s[12:13]
	s_cbranch_execnz .LBB0_83
.LBB0_84:
	s_or_b64 exec, exec, s[0:1]
	v_add_u32_e32 v2, 1, v1
	v_and_b32_e32 v3, 0x1fffffe, v2
	v_cmp_ne_u32_e32 vcc, v2, v3
	v_lshlrev_b32_e32 v1, 8, v3
	s_orn2_b64 s[0:1], vcc, exec
.LBB0_85:
	s_or_b64 exec, exec, s[10:11]
	s_andn2_b64 s[6:7], s[6:7], exec
	s_and_b64 s[0:1], s[0:1], exec
	s_or_b64 s[6:7], s[6:7], s[0:1]
.LBB0_86:
	s_or_b64 exec, exec, s[8:9]
	s_and_b64 exec, exec, s[6:7]
	s_cbranch_execz .LBB0_89
; %bb.87:
	v_add_u32_e32 v1, v0, v1
	v_add_u32_e32 v2, s35, v1
	v_subrev_u32_e32 v2, s44, v2
	v_lshlrev_b32_e32 v1, 2, v1
	s_mov_b64 s[0:1], 0
	v_mov_b32_e32 v4, s29
	v_mov_b32_e32 v5, s27
	;; [unrolled: 1-line block ×3, first 2 shown]
.LBB0_88:                               ; =>This Inner Loop Header: Depth=1
	v_ashrrev_i32_e32 v3, 31, v2
	v_lshlrev_b64 v[8:9], 2, v[2:3]
	v_add_co_u32_e32 v10, vcc, s26, v8
	v_addc_co_u32_e32 v11, vcc, v5, v9, vcc
	global_load_dword v3, v[10:11], off
	v_add_co_u32_e32 v8, vcc, s28, v8
	v_addc_co_u32_e32 v9, vcc, v4, v9, vcc
	global_load_dword v7, v[8:9], off
	v_add_u32_e32 v2, 0x100, v2
	s_waitcnt vmcnt(1)
	v_subrev_u32_e32 v8, s44, v3
	v_ashrrev_i32_e32 v9, 31, v8
	v_lshlrev_b64 v[8:9], 2, v[8:9]
	v_add_co_u32_e32 v8, vcc, s30, v8
	v_addc_co_u32_e32 v9, vcc, v6, v9, vcc
	global_load_dword v3, v[8:9], off
	s_waitcnt vmcnt(1)
	v_mul_f32_e32 v7, s42, v7
	v_cmp_le_i32_e32 vcc, s18, v2
	s_or_b64 s[0:1], vcc, s[0:1]
	s_waitcnt vmcnt(0)
	v_mul_f32_e32 v3, v7, v3
	ds_write_b32 v1, v3
	v_add_u32_e32 v1, 0x400, v1
	s_andn2_b64 exec, exec, s[0:1]
	s_cbranch_execnz .LBB0_88
.LBB0_89:
	s_or_b64 exec, exec, s[4:5]
                                        ; implicit-def: $vgpr2
.LBB0_90:
	s_or_saveexec_b64 s[0:1], s[2:3]
	v_lshlrev_b32_e32 v1, 2, v0
	s_xor_b64 exec, exec, s[0:1]
	s_cbranch_execz .LBB0_92
; %bb.91:
	v_ashrrev_i32_e32 v3, 31, v2
	v_lshlrev_b64 v[2:3], 2, v[2:3]
	v_mov_b32_e32 v5, s27
	v_add_co_u32_e32 v4, vcc, s26, v2
	v_addc_co_u32_e32 v5, vcc, v5, v3, vcc
	global_load_dword v6, v[4:5], off
	global_load_dword v7, v[4:5], off offset:1024
	global_load_dword v8, v[4:5], off offset:2048
	;; [unrolled: 1-line block ×3, first 2 shown]
	v_mov_b32_e32 v4, s29
	v_add_co_u32_e32 v2, vcc, s28, v2
	v_addc_co_u32_e32 v3, vcc, v4, v3, vcc
	global_load_dword v11, v[2:3], off
	global_load_dword v12, v[2:3], off offset:1024
	global_load_dword v13, v[2:3], off offset:2048
	;; [unrolled: 1-line block ×3, first 2 shown]
	v_mov_b32_e32 v10, s31
	s_waitcnt vmcnt(7)
	v_subrev_u32_e32 v2, s44, v6
	v_ashrrev_i32_e32 v3, 31, v2
	s_waitcnt vmcnt(6)
	v_subrev_u32_e32 v4, s44, v7
	v_lshlrev_b64 v[2:3], 2, v[2:3]
	v_ashrrev_i32_e32 v5, 31, v4
	v_add_co_u32_e32 v2, vcc, s30, v2
	s_waitcnt vmcnt(5)
	v_subrev_u32_e32 v6, s44, v8
	v_lshlrev_b64 v[4:5], 2, v[4:5]
	v_addc_co_u32_e32 v3, vcc, v10, v3, vcc
	v_ashrrev_i32_e32 v7, 31, v6
	v_add_co_u32_e32 v4, vcc, s30, v4
	s_waitcnt vmcnt(4)
	v_subrev_u32_e32 v8, s44, v9
	v_lshlrev_b64 v[6:7], 2, v[6:7]
	v_addc_co_u32_e32 v5, vcc, v10, v5, vcc
	v_ashrrev_i32_e32 v9, 31, v8
	v_add_co_u32_e32 v6, vcc, s30, v6
	v_lshlrev_b64 v[8:9], 2, v[8:9]
	v_addc_co_u32_e32 v7, vcc, v10, v7, vcc
	v_add_co_u32_e32 v8, vcc, s30, v8
	v_addc_co_u32_e32 v9, vcc, v10, v9, vcc
	global_load_dword v10, v[2:3], off
	global_load_dword v15, v[4:5], off
	;; [unrolled: 1-line block ×4, first 2 shown]
	s_waitcnt vmcnt(7)
	v_mul_f32_e32 v2, s42, v11
	s_waitcnt vmcnt(6)
	v_mul_f32_e32 v3, s42, v12
	;; [unrolled: 2-line block ×8, first 2 shown]
	ds_write2st64_b32 v1, v2, v3 offset1:4
	ds_write2st64_b32 v1, v4, v5 offset0:8 offset1:12
.LBB0_92:
	s_or_b64 exec, exec, s[0:1]
	s_cmp_lt_i32 s33, 2
	s_mov_b64 s[0:1], -1
	s_waitcnt lgkmcnt(0)
	s_barrier
	s_cbranch_scc0 .LBB0_103
; %bb.93:
	v_add_u32_e32 v2, s38, v0
	v_cmp_gt_i32_e32 vcc, s39, v2
	s_and_saveexec_b64 s[0:1], vcc
	s_cbranch_execz .LBB0_102
; %bb.94:
	s_lshl_b32 s4, s35, 2
	v_cmp_neq_f32_e64 s[2:3], s34, 0
	s_sub_i32 s10, 0, s4
	s_mov_b64 s[4:5], 0
	v_mov_b32_e32 v8, s25
	v_mov_b32_e32 v9, s37
	s_branch .LBB0_96
.LBB0_95:                               ;   in Loop: Header=BB0_96 Depth=1
	v_add_co_u32_e32 v4, vcc, s36, v4
	v_addc_co_u32_e32 v5, vcc, v9, v5, vcc
	v_add_u32_e32 v2, 0x100, v2
	v_cmp_le_i32_e32 vcc, s39, v2
	s_or_b64 s[4:5], vcc, s[4:5]
	global_store_dword v[4:5], v3, off
	s_andn2_b64 exec, exec, s[4:5]
	s_cbranch_execz .LBB0_102
.LBB0_96:                               ; =>This Loop Header: Depth=1
                                        ;     Child Loop BB0_98 Depth 2
	v_ashrrev_i32_e32 v3, 31, v2
	v_lshlrev_b64 v[4:5], 2, v[2:3]
	v_add_co_u32_e32 v6, vcc, s24, v4
	v_addc_co_u32_e32 v7, vcc, v8, v5, vcc
	global_load_dwordx2 v[6:7], v[6:7], off
	v_mov_b32_e32 v3, 0
	s_waitcnt vmcnt(0)
	v_cmp_lt_i32_e32 vcc, v6, v7
	s_and_saveexec_b64 s[6:7], vcc
	s_cbranch_execz .LBB0_100
; %bb.97:                               ;   in Loop: Header=BB0_96 Depth=1
	v_subrev_u32_e32 v7, s35, v7
	v_subrev_u32_e32 v10, s35, v6
	v_lshl_add_u32 v6, v6, 2, s10
	s_mov_b64 s[8:9], 0
	v_mov_b32_e32 v3, 0
.LBB0_98:                               ;   Parent Loop BB0_96 Depth=1
                                        ; =>  This Inner Loop Header: Depth=2
	ds_read_b32 v11, v6
	v_add_u32_e32 v10, 1, v10
	v_cmp_ge_i32_e32 vcc, v10, v7
	v_add_u32_e32 v6, 4, v6
	s_or_b64 s[8:9], vcc, s[8:9]
	s_waitcnt lgkmcnt(0)
	v_add_f32_e32 v3, v3, v11
	s_andn2_b64 exec, exec, s[8:9]
	s_cbranch_execnz .LBB0_98
; %bb.99:                               ;   in Loop: Header=BB0_96 Depth=1
	s_or_b64 exec, exec, s[8:9]
.LBB0_100:                              ;   in Loop: Header=BB0_96 Depth=1
	s_or_b64 exec, exec, s[6:7]
	s_and_b64 vcc, exec, s[2:3]
	s_cbranch_vccz .LBB0_95
; %bb.101:                              ;   in Loop: Header=BB0_96 Depth=1
	v_mov_b32_e32 v7, s37
	v_add_co_u32_e32 v6, vcc, s36, v4
	v_addc_co_u32_e32 v7, vcc, v7, v5, vcc
	global_load_dword v6, v[6:7], off
	s_waitcnt vmcnt(0)
	v_fmac_f32_e32 v3, s34, v6
	s_branch .LBB0_95
.LBB0_102:
	s_or_b64 exec, exec, s[0:1]
	s_mov_b64 s[0:1], 0
.LBB0_103:
	s_andn2_b64 vcc, exec, s[0:1]
	s_cbranch_vccnz .LBB0_128
; %bb.104:
	s_flbit_i32_b32 s0, s33
	s_xor_b32 s0, s0, 31
	v_lshrrev_b32_e32 v4, s0, v0
	v_add_u32_e32 v2, s38, v4
	s_add_i32 s0, s33, -1
	v_and_b32_e32 v0, s0, v0
	v_cmp_le_i32_e32 vcc, s39, v2
	v_cmp_gt_i32_e64 s[0:1], s39, v2
	v_mov_b32_e32 v3, 0
	s_and_saveexec_b64 s[2:3], s[0:1]
	s_cbranch_execz .LBB0_110
; %bb.105:
	v_lshlrev_b32_e32 v3, 2, v4
	global_load_dwordx2 v[6:7], v3, s[40:41]
	v_subrev_u32_e32 v3, s35, v0
	s_waitcnt vmcnt(0)
	v_subrev_u32_e32 v4, s35, v7
	v_add_u32_e32 v5, v6, v3
	v_cmp_lt_i32_e64 s[0:1], v5, v4
	v_mov_b32_e32 v3, 0
	s_and_saveexec_b64 s[4:5], s[0:1]
	s_cbranch_execz .LBB0_109
; %bb.106:
	v_lshlrev_b32_e32 v6, 2, v5
	s_lshl_b32 s8, s33, 2
	s_mov_b64 s[6:7], 0
	v_mov_b32_e32 v3, 0
.LBB0_107:                              ; =>This Inner Loop Header: Depth=1
	ds_read_b32 v7, v6
	v_add_u32_e32 v5, s33, v5
	v_cmp_ge_i32_e64 s[0:1], v5, v4
	v_add_u32_e32 v6, s8, v6
	s_or_b64 s[6:7], s[0:1], s[6:7]
	s_waitcnt lgkmcnt(0)
	v_add_f32_e32 v3, v3, v7
	s_andn2_b64 exec, exec, s[6:7]
	s_cbranch_execnz .LBB0_107
; %bb.108:
	s_or_b64 exec, exec, s[6:7]
.LBB0_109:
	s_or_b64 exec, exec, s[4:5]
.LBB0_110:
	s_or_b64 exec, exec, s[2:3]
	s_cmpk_lt_i32 s33, 0x81
	s_barrier
	ds_write_b32 v1, v3
	s_waitcnt lgkmcnt(0)
	s_barrier
	s_cbranch_scc1 .LBB0_112
; %bb.111:
	ds_read_b32 v4, v1 offset:512
	s_waitcnt lgkmcnt(0)
	s_barrier
	v_add_f32_e32 v3, v3, v4
	ds_write_b32 v1, v3
.LBB0_112:
	s_cmpk_lt_i32 s33, 0x41
	s_waitcnt lgkmcnt(0)
	s_barrier
	s_cbranch_scc1 .LBB0_114
; %bb.113:
	ds_read_b32 v4, v1 offset:256
	s_waitcnt lgkmcnt(0)
	s_barrier
	v_add_f32_e32 v3, v3, v4
	ds_write_b32 v1, v3
.LBB0_114:
	s_cmp_lt_i32 s33, 33
	s_waitcnt lgkmcnt(0)
	s_barrier
	s_cbranch_scc1 .LBB0_116
; %bb.115:
	ds_read_b32 v4, v1 offset:128
	s_waitcnt lgkmcnt(0)
	s_barrier
	v_add_f32_e32 v3, v3, v4
	ds_write_b32 v1, v3
.LBB0_116:
	s_cmp_lt_i32 s33, 17
	;; [unrolled: 11-line block ×4, first 2 shown]
	s_waitcnt lgkmcnt(0)
	s_barrier
	s_cbranch_scc1 .LBB0_122
; %bb.121:
	ds_read_b32 v4, v1 offset:16
	s_waitcnt lgkmcnt(0)
	s_barrier
	v_add_f32_e32 v3, v3, v4
	ds_write_b32 v1, v3
.LBB0_122:
	s_cmp_eq_u32 s33, 2
	s_waitcnt lgkmcnt(0)
	s_barrier
	s_cbranch_scc1 .LBB0_124
; %bb.123:
	ds_read_b32 v4, v1 offset:8
	s_waitcnt lgkmcnt(0)
	s_barrier
	v_add_f32_e32 v3, v3, v4
	ds_write_b32 v1, v3
.LBB0_124:
	s_waitcnt lgkmcnt(0)
	s_barrier
	ds_read_b32 v4, v1 offset:4
	v_cmp_eq_u32_e64 s[0:1], 0, v0
	s_xor_b64 s[2:3], vcc, -1
	s_and_b64 s[0:1], s[0:1], s[2:3]
	s_waitcnt lgkmcnt(0)
	v_add_f32_e32 v4, v3, v4
	s_barrier
	ds_write_b32 v1, v4
	s_and_saveexec_b64 s[2:3], s[0:1]
	s_cbranch_execz .LBB0_128
; %bb.125:
	v_ashrrev_i32_e32 v3, 31, v2
	v_cmp_eq_f32_e64 s[0:1], s34, 0
	s_and_b64 vcc, exec, s[0:1]
	v_lshlrev_b64 v[0:1], 2, v[2:3]
	s_cbranch_vccnz .LBB0_127
; %bb.126:
	v_mov_b32_e32 v3, s37
	v_add_co_u32_e32 v2, vcc, s36, v0
	v_addc_co_u32_e32 v3, vcc, v3, v1, vcc
	global_load_dword v2, v[2:3], off
	s_waitcnt vmcnt(0)
	v_fmac_f32_e32 v4, s34, v2
.LBB0_127:
	v_mov_b32_e32 v2, s37
	v_add_co_u32_e32 v0, vcc, s36, v0
	v_addc_co_u32_e32 v1, vcc, v2, v1, vcc
	global_store_dword v[0:1], v4, off
.LBB0_128:
	s_endpgm
	.section	.rodata,"a",@progbits
	.p2align	6, 0x0
	.amdhsa_kernel _ZN9rocsparseL22csrmvn_adaptive_kernelIiiffffEEvbT_PKS1_PjPKT0_NS_24const_host_device_scalarIT4_EES3_S7_PKT1_PKT2_SA_PT3_21rocsparse_index_base_b
		.amdhsa_group_segment_fixed_size 4096
		.amdhsa_private_segment_fixed_size 0
		.amdhsa_kernarg_size 96
		.amdhsa_user_sgpr_count 6
		.amdhsa_user_sgpr_private_segment_buffer 1
		.amdhsa_user_sgpr_dispatch_ptr 0
		.amdhsa_user_sgpr_queue_ptr 0
		.amdhsa_user_sgpr_kernarg_segment_ptr 1
		.amdhsa_user_sgpr_dispatch_id 0
		.amdhsa_user_sgpr_flat_scratch_init 0
		.amdhsa_user_sgpr_kernarg_preload_length 0
		.amdhsa_user_sgpr_kernarg_preload_offset 0
		.amdhsa_user_sgpr_private_segment_size 0
		.amdhsa_uses_dynamic_stack 0
		.amdhsa_system_sgpr_private_segment_wavefront_offset 0
		.amdhsa_system_sgpr_workgroup_id_x 1
		.amdhsa_system_sgpr_workgroup_id_y 0
		.amdhsa_system_sgpr_workgroup_id_z 0
		.amdhsa_system_sgpr_workgroup_info 0
		.amdhsa_system_vgpr_workitem_id 0
		.amdhsa_next_free_vgpr 44
		.amdhsa_next_free_sgpr 58
		.amdhsa_accum_offset 44
		.amdhsa_reserve_vcc 1
		.amdhsa_reserve_flat_scratch 0
		.amdhsa_float_round_mode_32 0
		.amdhsa_float_round_mode_16_64 0
		.amdhsa_float_denorm_mode_32 3
		.amdhsa_float_denorm_mode_16_64 3
		.amdhsa_dx10_clamp 1
		.amdhsa_ieee_mode 1
		.amdhsa_fp16_overflow 0
		.amdhsa_tg_split 0
		.amdhsa_exception_fp_ieee_invalid_op 0
		.amdhsa_exception_fp_denorm_src 0
		.amdhsa_exception_fp_ieee_div_zero 0
		.amdhsa_exception_fp_ieee_overflow 0
		.amdhsa_exception_fp_ieee_underflow 0
		.amdhsa_exception_fp_ieee_inexact 0
		.amdhsa_exception_int_div_zero 0
	.end_amdhsa_kernel
	.section	.text._ZN9rocsparseL22csrmvn_adaptive_kernelIiiffffEEvbT_PKS1_PjPKT0_NS_24const_host_device_scalarIT4_EES3_S7_PKT1_PKT2_SA_PT3_21rocsparse_index_base_b,"axG",@progbits,_ZN9rocsparseL22csrmvn_adaptive_kernelIiiffffEEvbT_PKS1_PjPKT0_NS_24const_host_device_scalarIT4_EES3_S7_PKT1_PKT2_SA_PT3_21rocsparse_index_base_b,comdat
.Lfunc_end0:
	.size	_ZN9rocsparseL22csrmvn_adaptive_kernelIiiffffEEvbT_PKS1_PjPKT0_NS_24const_host_device_scalarIT4_EES3_S7_PKT1_PKT2_SA_PT3_21rocsparse_index_base_b, .Lfunc_end0-_ZN9rocsparseL22csrmvn_adaptive_kernelIiiffffEEvbT_PKS1_PjPKT0_NS_24const_host_device_scalarIT4_EES3_S7_PKT1_PKT2_SA_PT3_21rocsparse_index_base_b
                                        ; -- End function
	.section	.AMDGPU.csdata,"",@progbits
; Kernel info:
; codeLenInByte = 5220
; NumSgprs: 62
; NumVgprs: 44
; NumAgprs: 0
; TotalNumVgprs: 44
; ScratchSize: 0
; MemoryBound: 0
; FloatMode: 240
; IeeeMode: 1
; LDSByteSize: 4096 bytes/workgroup (compile time only)
; SGPRBlocks: 7
; VGPRBlocks: 5
; NumSGPRsForWavesPerEU: 62
; NumVGPRsForWavesPerEU: 44
; AccumOffset: 44
; Occupancy: 8
; WaveLimiterHint : 1
; COMPUTE_PGM_RSRC2:SCRATCH_EN: 0
; COMPUTE_PGM_RSRC2:USER_SGPR: 6
; COMPUTE_PGM_RSRC2:TRAP_HANDLER: 0
; COMPUTE_PGM_RSRC2:TGID_X_EN: 1
; COMPUTE_PGM_RSRC2:TGID_Y_EN: 0
; COMPUTE_PGM_RSRC2:TGID_Z_EN: 0
; COMPUTE_PGM_RSRC2:TIDIG_COMP_CNT: 0
; COMPUTE_PGM_RSRC3_GFX90A:ACCUM_OFFSET: 10
; COMPUTE_PGM_RSRC3_GFX90A:TG_SPLIT: 0
	.section	.text._ZN9rocsparseL22partial_scale_y_kernelIiffEEvT_S1_S1_NS_24const_host_device_scalarIT1_EEPT0_b,"axG",@progbits,_ZN9rocsparseL22partial_scale_y_kernelIiffEEvT_S1_S1_NS_24const_host_device_scalarIT1_EEPT0_b,comdat
	.globl	_ZN9rocsparseL22partial_scale_y_kernelIiffEEvT_S1_S1_NS_24const_host_device_scalarIT1_EEPT0_b ; -- Begin function _ZN9rocsparseL22partial_scale_y_kernelIiffEEvT_S1_S1_NS_24const_host_device_scalarIT1_EEPT0_b
	.p2align	8
	.type	_ZN9rocsparseL22partial_scale_y_kernelIiffEEvT_S1_S1_NS_24const_host_device_scalarIT1_EEPT0_b,@function
_ZN9rocsparseL22partial_scale_y_kernelIiffEEvT_S1_S1_NS_24const_host_device_scalarIT1_EEPT0_b: ; @_ZN9rocsparseL22partial_scale_y_kernelIiffEEvT_S1_S1_NS_24const_host_device_scalarIT1_EEPT0_b
; %bb.0:
	s_load_dword s0, s[4:5], 0x20
	s_load_dwordx2 s[8:9], s[4:5], 0x10
	s_waitcnt lgkmcnt(0)
	s_bitcmp1_b32 s0, 0
	s_cselect_b64 s[0:1], -1, 0
	s_and_b64 vcc, exec, s[0:1]
	s_cbranch_vccnz .LBB1_2
; %bb.1:
	s_load_dword s8, s[8:9], 0x0
.LBB1_2:
	s_waitcnt lgkmcnt(0)
	v_cmp_eq_f32_e64 s[0:1], s8, 1.0
	s_and_b64 vcc, exec, s[0:1]
	s_cbranch_vccnz .LBB1_12
; %bb.3:
	s_load_dwordx4 s[0:3], s[4:5], 0x0
	v_lshl_or_b32 v0, s6, 8, v0
	s_waitcnt lgkmcnt(0)
	s_add_i32 s0, s1, s0
	s_sub_i32 s0, s0, s2
	v_cmp_gt_i32_e32 vcc, s0, v0
	s_and_saveexec_b64 s[6:7], vcc
	s_cbranch_execz .LBB1_12
; %bb.4:
	s_load_dwordx2 s[6:7], s[4:5], 0x18
	v_cmp_le_i32_e32 vcc, s1, v0
	v_cmp_neq_f32_e64 s[4:5], s8, 0
	s_and_saveexec_b64 s[10:11], vcc
	s_xor_b64 s[10:11], exec, s[10:11]
	s_cbranch_execz .LBB1_8
; %bb.5:
	v_subrev_u32_e32 v0, s1, v0
	v_add_u32_e32 v0, s2, v0
	v_ashrrev_i32_e32 v1, 31, v0
	v_lshlrev_b64 v[0:1], 2, v[0:1]
	s_waitcnt lgkmcnt(0)
	v_mov_b32_e32 v3, s7
	v_add_co_u32_e32 v2, vcc, s6, v0
	v_addc_co_u32_e32 v3, vcc, v3, v1, vcc
	s_and_b64 vcc, exec, s[4:5]
	s_cbranch_vccz .LBB1_13
; %bb.6:
	global_load_dword v0, v[2:3], off
	s_waitcnt vmcnt(0)
	v_mul_f32_e32 v0, s8, v0
	global_store_dword v[2:3], v0, off
                                        ; implicit-def: $vgpr0
	s_cbranch_execnz .LBB1_8
.LBB1_7:
	v_mov_b32_e32 v0, 0
	global_store_dword v[2:3], v0, off
                                        ; implicit-def: $vgpr0
.LBB1_8:
	s_andn2_saveexec_b64 s[0:1], s[10:11]
	s_cbranch_execz .LBB1_12
; %bb.9:
	v_ashrrev_i32_e32 v1, 31, v0
	v_lshlrev_b64 v[0:1], 2, v[0:1]
	s_waitcnt lgkmcnt(0)
	v_mov_b32_e32 v2, s7
	v_add_co_u32_e32 v0, vcc, s6, v0
	v_addc_co_u32_e32 v1, vcc, v2, v1, vcc
	s_and_b64 vcc, exec, s[4:5]
	s_cbranch_vccz .LBB1_14
; %bb.10:
	global_load_dword v2, v[0:1], off
	s_waitcnt vmcnt(0)
	v_mul_f32_e32 v2, s8, v2
	global_store_dword v[0:1], v2, off
	s_cbranch_execnz .LBB1_12
.LBB1_11:
	v_mov_b32_e32 v2, 0
	global_store_dword v[0:1], v2, off
.LBB1_12:
	s_endpgm
.LBB1_13:
                                        ; implicit-def: $vgpr0
	s_branch .LBB1_7
.LBB1_14:
	s_branch .LBB1_11
	.section	.rodata,"a",@progbits
	.p2align	6, 0x0
	.amdhsa_kernel _ZN9rocsparseL22partial_scale_y_kernelIiffEEvT_S1_S1_NS_24const_host_device_scalarIT1_EEPT0_b
		.amdhsa_group_segment_fixed_size 0
		.amdhsa_private_segment_fixed_size 0
		.amdhsa_kernarg_size 36
		.amdhsa_user_sgpr_count 6
		.amdhsa_user_sgpr_private_segment_buffer 1
		.amdhsa_user_sgpr_dispatch_ptr 0
		.amdhsa_user_sgpr_queue_ptr 0
		.amdhsa_user_sgpr_kernarg_segment_ptr 1
		.amdhsa_user_sgpr_dispatch_id 0
		.amdhsa_user_sgpr_flat_scratch_init 0
		.amdhsa_user_sgpr_kernarg_preload_length 0
		.amdhsa_user_sgpr_kernarg_preload_offset 0
		.amdhsa_user_sgpr_private_segment_size 0
		.amdhsa_uses_dynamic_stack 0
		.amdhsa_system_sgpr_private_segment_wavefront_offset 0
		.amdhsa_system_sgpr_workgroup_id_x 1
		.amdhsa_system_sgpr_workgroup_id_y 0
		.amdhsa_system_sgpr_workgroup_id_z 0
		.amdhsa_system_sgpr_workgroup_info 0
		.amdhsa_system_vgpr_workitem_id 0
		.amdhsa_next_free_vgpr 4
		.amdhsa_next_free_sgpr 12
		.amdhsa_accum_offset 4
		.amdhsa_reserve_vcc 1
		.amdhsa_reserve_flat_scratch 0
		.amdhsa_float_round_mode_32 0
		.amdhsa_float_round_mode_16_64 0
		.amdhsa_float_denorm_mode_32 3
		.amdhsa_float_denorm_mode_16_64 3
		.amdhsa_dx10_clamp 1
		.amdhsa_ieee_mode 1
		.amdhsa_fp16_overflow 0
		.amdhsa_tg_split 0
		.amdhsa_exception_fp_ieee_invalid_op 0
		.amdhsa_exception_fp_denorm_src 0
		.amdhsa_exception_fp_ieee_div_zero 0
		.amdhsa_exception_fp_ieee_overflow 0
		.amdhsa_exception_fp_ieee_underflow 0
		.amdhsa_exception_fp_ieee_inexact 0
		.amdhsa_exception_int_div_zero 0
	.end_amdhsa_kernel
	.section	.text._ZN9rocsparseL22partial_scale_y_kernelIiffEEvT_S1_S1_NS_24const_host_device_scalarIT1_EEPT0_b,"axG",@progbits,_ZN9rocsparseL22partial_scale_y_kernelIiffEEvT_S1_S1_NS_24const_host_device_scalarIT1_EEPT0_b,comdat
.Lfunc_end1:
	.size	_ZN9rocsparseL22partial_scale_y_kernelIiffEEvT_S1_S1_NS_24const_host_device_scalarIT1_EEPT0_b, .Lfunc_end1-_ZN9rocsparseL22partial_scale_y_kernelIiffEEvT_S1_S1_NS_24const_host_device_scalarIT1_EEPT0_b
                                        ; -- End function
	.section	.AMDGPU.csdata,"",@progbits
; Kernel info:
; codeLenInByte = 316
; NumSgprs: 16
; NumVgprs: 4
; NumAgprs: 0
; TotalNumVgprs: 4
; ScratchSize: 0
; MemoryBound: 0
; FloatMode: 240
; IeeeMode: 1
; LDSByteSize: 0 bytes/workgroup (compile time only)
; SGPRBlocks: 1
; VGPRBlocks: 0
; NumSGPRsForWavesPerEU: 16
; NumVGPRsForWavesPerEU: 4
; AccumOffset: 4
; Occupancy: 8
; WaveLimiterHint : 0
; COMPUTE_PGM_RSRC2:SCRATCH_EN: 0
; COMPUTE_PGM_RSRC2:USER_SGPR: 6
; COMPUTE_PGM_RSRC2:TRAP_HANDLER: 0
; COMPUTE_PGM_RSRC2:TGID_X_EN: 1
; COMPUTE_PGM_RSRC2:TGID_Y_EN: 0
; COMPUTE_PGM_RSRC2:TGID_Z_EN: 0
; COMPUTE_PGM_RSRC2:TIDIG_COMP_CNT: 0
; COMPUTE_PGM_RSRC3_GFX90A:ACCUM_OFFSET: 0
; COMPUTE_PGM_RSRC3_GFX90A:TG_SPLIT: 0
	.section	.text._ZN9rocsparseL27csrmvn_symm_adaptive_kernelIiiffffEEvbT_S1_PKS1_NS_24const_host_device_scalarIT4_EES3_PKT0_PKT1_PKT2_S6_PT3_21rocsparse_index_base_b,"axG",@progbits,_ZN9rocsparseL27csrmvn_symm_adaptive_kernelIiiffffEEvbT_S1_PKS1_NS_24const_host_device_scalarIT4_EES3_PKT0_PKT1_PKT2_S6_PT3_21rocsparse_index_base_b,comdat
	.globl	_ZN9rocsparseL27csrmvn_symm_adaptive_kernelIiiffffEEvbT_S1_PKS1_NS_24const_host_device_scalarIT4_EES3_PKT0_PKT1_PKT2_S6_PT3_21rocsparse_index_base_b ; -- Begin function _ZN9rocsparseL27csrmvn_symm_adaptive_kernelIiiffffEEvbT_S1_PKS1_NS_24const_host_device_scalarIT4_EES3_PKT0_PKT1_PKT2_S6_PT3_21rocsparse_index_base_b
	.p2align	8
	.type	_ZN9rocsparseL27csrmvn_symm_adaptive_kernelIiiffffEEvbT_S1_PKS1_NS_24const_host_device_scalarIT4_EES3_PKT0_PKT1_PKT2_S6_PT3_21rocsparse_index_base_b,@function
_ZN9rocsparseL27csrmvn_symm_adaptive_kernelIiiffffEEvbT_S1_PKS1_NS_24const_host_device_scalarIT4_EES3_PKT0_PKT1_PKT2_S6_PT3_21rocsparse_index_base_b: ; @_ZN9rocsparseL27csrmvn_symm_adaptive_kernelIiiffffEEvbT_S1_PKS1_NS_24const_host_device_scalarIT4_EES3_PKT0_PKT1_PKT2_S6_PT3_21rocsparse_index_base_b
; %bb.0:
	s_load_dwordx2 s[26:27], s[4:5], 0x50
	s_load_dwordx2 s[28:29], s[4:5], 0x18
	;; [unrolled: 1-line block ×3, first 2 shown]
	s_waitcnt lgkmcnt(0)
	s_bitcmp1_b32 s27, 0
	s_cselect_b64 s[8:9], -1, 0
	s_xor_b64 s[2:3], s[8:9], -1
	s_and_b64 vcc, exec, s[8:9]
	s_cbranch_vccnz .LBB2_2
; %bb.1:
	s_load_dword s28, s[28:29], 0x0
.LBB2_2:
	s_andn2_b64 vcc, exec, s[2:3]
	s_cbranch_vccnz .LBB2_4
; %bb.3:
	s_load_dword s0, s[0:1], 0x0
.LBB2_4:
	s_waitcnt lgkmcnt(0)
	v_cmp_neq_f32_e64 s[2:3], s28, 0
	v_cmp_neq_f32_e64 s[0:1], s0, 1.0
	s_or_b64 s[0:1], s[2:3], s[0:1]
	s_andn2_b64 vcc, exec, s[0:1]
	s_cbranch_vccnz .LBB2_189
; %bb.5:
	s_load_dwordx2 s[0:1], s[4:5], 0x10
	s_ashr_i32 s7, s6, 31
	s_lshl_b64 s[2:3], s[6:7], 2
	v_lshlrev_b32_e32 v1, 2, v0
	v_mov_b32_e32 v2, 0
	s_waitcnt lgkmcnt(0)
	s_add_u32 s0, s0, s2
	s_addc_u32 s1, s1, s3
	ds_write2st64_b32 v1, v2, v2 offset1:4
	ds_write2st64_b32 v1, v2, v2 offset0:8 offset1:12
	s_waitcnt lgkmcnt(0)
	s_barrier
	s_load_dwordx2 s[24:25], s[0:1], 0x0
	s_load_dwordx8 s[16:23], s[4:5], 0x20
	s_load_dwordx2 s[14:15], s[4:5], 0x48
	s_mov_b64 s[0:1], -1
	v_subrev_u32_e32 v10, s26, v0
	s_waitcnt lgkmcnt(0)
	s_sub_i32 s27, s25, s24
	s_cmp_gt_i32 s27, 2
	s_cbranch_scc1 .LBB2_40
; %bb.6:
	s_cmp_gt_i32 s25, s24
	s_cbranch_scc1 .LBB2_8
; %bb.7:
	s_ashr_i32 s1, s24, 31
	s_mov_b32 s0, s24
	s_lshl_b64 s[0:1], s[0:1], 2
	s_add_u32 s0, s16, s0
	s_addc_u32 s1, s17, s1
	s_load_dword s29, s[0:1], 0x0
	s_cbranch_execz .LBB2_9
	s_branch .LBB2_29
.LBB2_8:
                                        ; implicit-def: $sgpr29
	s_andn2_b64 vcc, exec, s[0:1]
	s_cbranch_vccnz .LBB2_29
.LBB2_9:
	s_ashr_i32 s13, s24, 31
	s_mov_b32 s12, s24
	s_lshl_b64 s[12:13], s[12:13], 2
	s_add_u32 s12, s16, s12
	s_addc_u32 s13, s17, s13
	s_waitcnt lgkmcnt(0)
	s_load_dword s29, s[12:13], 0x0
	s_movk_i32 s0, 0x100
	s_add_u32 s33, s16, 4
	v_cmp_gt_u32_e64 s[0:1], s0, v0
	v_cmp_gt_u32_e64 s[2:3], 64, v0
	;; [unrolled: 1-line block ×4, first 2 shown]
	v_cmp_eq_u32_e64 s[10:11], 0, v0
	s_addc_u32 s40, s17, 0
	v_mov_b32_e32 v8, s23
	v_mov_b32_e32 v9, 0
	s_waitcnt lgkmcnt(0)
	s_mov_b32 s31, s29
	s_mov_b32 s30, s24
	s_branch .LBB2_11
.LBB2_10:                               ;   in Loop: Header=BB2_11 Depth=1
	s_or_b64 exec, exec, s[12:13]
	s_add_i32 s30, s30, 1
	s_cmp_ge_i32 s30, s25
	s_cbranch_scc1 .LBB2_29
.LBB2_11:                               ; =>This Loop Header: Depth=1
                                        ;     Child Loop BB2_13 Depth 2
                                        ;     Child Loop BB2_28 Depth 2
	s_mov_b32 s36, s31
	s_ashr_i32 s31, s30, 31
	s_lshl_b64 s[34:35], s[30:31], 2
	s_add_u32 s12, s33, s34
	s_addc_u32 s13, s40, s35
	s_load_dword s31, s[12:13], 0x0
	v_add_u32_e32 v2, s36, v10
	v_mov_b32_e32 v3, 0
	s_waitcnt lgkmcnt(0)
	s_sub_i32 s41, s31, s26
	v_cmp_gt_i32_e32 vcc, s41, v2
	s_and_saveexec_b64 s[36:37], vcc
	s_cbranch_execz .LBB2_15
; %bb.12:                               ;   in Loop: Header=BB2_11 Depth=1
	v_ashrrev_i32_e32 v3, 31, v2
	v_lshlrev_b64 v[6:7], 2, v[2:3]
	v_mov_b32_e32 v3, s19
	v_add_co_u32_e32 v4, vcc, s18, v6
	v_addc_co_u32_e32 v5, vcc, v3, v7, vcc
	v_mov_b32_e32 v3, s21
	v_add_co_u32_e32 v6, vcc, s20, v6
	v_addc_co_u32_e32 v7, vcc, v3, v7, vcc
	s_mov_b64 s[38:39], 0
	v_mov_b32_e32 v3, 0
.LBB2_13:                               ;   Parent Loop BB2_11 Depth=1
                                        ; =>  This Inner Loop Header: Depth=2
	global_load_dword v11, v[4:5], off
	global_load_dword v14, v[6:7], off
	v_add_u32_e32 v2, 0x100, v2
	v_cmp_le_i32_e64 s[12:13], s41, v2
	s_or_b64 s[38:39], s[12:13], s[38:39]
	s_waitcnt vmcnt(1)
	v_subrev_u32_e32 v12, s26, v11
	v_ashrrev_i32_e32 v13, 31, v12
	v_lshlrev_b64 v[12:13], 2, v[12:13]
	v_add_co_u32_e32 v12, vcc, s22, v12
	v_addc_co_u32_e32 v13, vcc, v8, v13, vcc
	global_load_dword v11, v[12:13], off
	v_add_co_u32_e32 v4, vcc, 0x400, v4
	v_addc_co_u32_e32 v5, vcc, 0, v5, vcc
	v_add_co_u32_e32 v6, vcc, 0x400, v6
	v_addc_co_u32_e32 v7, vcc, 0, v7, vcc
	s_waitcnt vmcnt(0)
	v_fmac_f32_e32 v3, v14, v11
	s_andn2_b64 exec, exec, s[38:39]
	s_cbranch_execnz .LBB2_13
; %bb.14:                               ;   in Loop: Header=BB2_11 Depth=1
	s_or_b64 exec, exec, s[38:39]
.LBB2_15:                               ;   in Loop: Header=BB2_11 Depth=1
	s_or_b64 exec, exec, s[36:37]
	ds_write_b32 v1, v3
	s_waitcnt lgkmcnt(0)
	s_barrier
	s_and_saveexec_b64 s[12:13], s[0:1]
	s_cbranch_execz .LBB2_17
; %bb.16:                               ;   in Loop: Header=BB2_11 Depth=1
	ds_read2st64_b32 v[2:3], v1 offset1:4
	ds_read2st64_b32 v[4:5], v1 offset0:8 offset1:12
	s_waitcnt lgkmcnt(0)
	v_add_f32_e32 v3, v3, v4
	v_add_f32_e32 v3, v3, v5
	v_add_f32_e32 v2, v2, v3
	ds_write_b32 v1, v2
.LBB2_17:                               ;   in Loop: Header=BB2_11 Depth=1
	s_or_b64 exec, exec, s[12:13]
	s_waitcnt lgkmcnt(0)
	s_barrier
	s_and_saveexec_b64 s[12:13], s[2:3]
	s_cbranch_execz .LBB2_19
; %bb.18:                               ;   in Loop: Header=BB2_11 Depth=1
	ds_read2st64_b32 v[2:3], v1 offset1:1
	ds_read2st64_b32 v[4:5], v1 offset0:2 offset1:3
	s_waitcnt lgkmcnt(0)
	v_add_f32_e32 v3, v3, v4
	v_add_f32_e32 v3, v3, v5
	;; [unrolled: 1-line block ×3, first 2 shown]
	ds_write_b32 v1, v2
.LBB2_19:                               ;   in Loop: Header=BB2_11 Depth=1
	s_or_b64 exec, exec, s[12:13]
	s_waitcnt lgkmcnt(0)
	s_barrier
	s_and_saveexec_b64 s[12:13], s[6:7]
	s_cbranch_execz .LBB2_21
; %bb.20:                               ;   in Loop: Header=BB2_11 Depth=1
	ds_read2_b32 v[2:3], v1 offset1:16
	ds_read2_b32 v[4:5], v1 offset0:32 offset1:48
	s_waitcnt lgkmcnt(0)
	v_add_f32_e32 v3, v3, v4
	v_add_f32_e32 v3, v3, v5
	v_add_f32_e32 v2, v2, v3
	ds_write_b32 v1, v2
.LBB2_21:                               ;   in Loop: Header=BB2_11 Depth=1
	s_or_b64 exec, exec, s[12:13]
	s_waitcnt lgkmcnt(0)
	s_barrier
	s_and_saveexec_b64 s[12:13], s[8:9]
	s_cbranch_execz .LBB2_23
; %bb.22:                               ;   in Loop: Header=BB2_11 Depth=1
	ds_read2_b32 v[2:3], v1 offset1:4
	ds_read2_b32 v[4:5], v1 offset0:8 offset1:12
	s_waitcnt lgkmcnt(0)
	v_add_f32_e32 v3, v3, v4
	v_add_f32_e32 v3, v3, v5
	;; [unrolled: 1-line block ×3, first 2 shown]
	ds_write_b32 v1, v2
.LBB2_23:                               ;   in Loop: Header=BB2_11 Depth=1
	s_or_b64 exec, exec, s[12:13]
	s_waitcnt lgkmcnt(0)
	s_barrier
	s_and_saveexec_b64 s[12:13], s[10:11]
	s_cbranch_execz .LBB2_25
; %bb.24:                               ;   in Loop: Header=BB2_11 Depth=1
	ds_read2_b32 v[2:3], v9 offset0:1 offset1:2
	ds_read_b32 v4, v9 offset:12
	ds_read_b32 v5, v1
	s_waitcnt lgkmcnt(2)
	v_add_f32_e32 v2, v2, v3
	s_waitcnt lgkmcnt(1)
	v_add_f32_e32 v2, v2, v4
	;; [unrolled: 2-line block ×3, first 2 shown]
	ds_write_b32 v1, v2
.LBB2_25:                               ;   in Loop: Header=BB2_11 Depth=1
	s_or_b64 exec, exec, s[12:13]
	s_waitcnt lgkmcnt(0)
	s_barrier
	s_and_saveexec_b64 s[12:13], s[10:11]
	s_cbranch_execz .LBB2_10
; %bb.26:                               ;   in Loop: Header=BB2_11 Depth=1
	s_mov_b64 s[36:37], exec
	v_mbcnt_lo_u32_b32 v2, s36, 0
	v_mbcnt_hi_u32_b32 v2, s37, v2
	v_cmp_eq_u32_e32 vcc, 0, v2
	s_and_b64 s[38:39], exec, vcc
	s_mov_b64 exec, s[38:39]
	s_cbranch_execz .LBB2_10
; %bb.27:                               ;   in Loop: Header=BB2_11 Depth=1
	s_add_u32 s34, s14, s34
	s_addc_u32 s35, s15, s35
	global_load_dword v3, v9, s[34:35]
	ds_read_b32 v2, v9
	s_bcnt1_i32_b64 s36, s[36:37]
	v_cvt_f32_ubyte0_e32 v4, s36
	s_mov_b64 s[36:37], 0
	s_waitcnt lgkmcnt(0)
	v_mul_f32_e32 v2, s28, v2
	v_mul_f32_e32 v4, v2, v4
.LBB2_28:                               ;   Parent Loop BB2_11 Depth=1
                                        ; =>  This Inner Loop Header: Depth=2
	s_waitcnt vmcnt(0)
	v_add_f32_e32 v2, v3, v4
	global_atomic_cmpswap v2, v9, v[2:3], s[34:35] glc
	s_waitcnt vmcnt(0)
	v_cmp_eq_u32_e32 vcc, v2, v3
	s_or_b64 s[36:37], vcc, s[36:37]
	v_mov_b32_e32 v3, v2
	s_andn2_b64 exec, exec, s[36:37]
	s_cbranch_execnz .LBB2_28
	s_branch .LBB2_10
.LBB2_29:
	s_ashr_i32 s1, s25, 31
	s_mov_b32 s0, s25
	s_lshl_b64 s[0:1], s[0:1], 2
	s_add_u32 s0, s16, s0
	s_addc_u32 s1, s17, s1
	s_load_dword s0, s[0:1], 0x0
	s_waitcnt lgkmcnt(0)
	v_add_u32_e32 v2, s29, v10
	s_sub_i32 s12, s0, s26
	v_cmp_gt_i32_e32 vcc, s12, v2
	s_and_saveexec_b64 s[6:7], vcc
	s_cbranch_execz .LBB2_39
; %bb.30:
	s_add_i32 s13, s25, -1
	s_cmp_gt_i32 s13, s24
	s_cselect_b64 s[0:1], -1, 0
	s_add_i32 s2, s25, -2
	s_cmp_lg_u32 s2, s24
	s_cselect_b64 s[2:3], -1, 0
	s_and_b64 s[0:1], s[0:1], s[2:3]
	v_cndmask_b32_e64 v3, 0, 1, s[0:1]
	s_mov_b64 s[8:9], 0
	v_cmp_ne_u32_e64 s[0:1], 1, v3
	v_mov_b32_e32 v11, s17
	v_mov_b32_e32 v12, s19
	s_branch .LBB2_32
.LBB2_31:                               ;   in Loop: Header=BB2_32 Depth=1
	s_or_b64 exec, exec, s[2:3]
	v_add_u32_e32 v2, 0x100, v2
	v_cmp_le_i32_e32 vcc, s12, v2
	s_or_b64 s[8:9], vcc, s[8:9]
	s_andn2_b64 exec, exec, s[8:9]
	s_cbranch_execz .LBB2_39
.LBB2_32:                               ; =>This Loop Header: Depth=1
                                        ;     Child Loop BB2_34 Depth 2
                                        ;     Child Loop BB2_38 Depth 2
	s_and_b64 vcc, exec, s[0:1]
	v_mov_b32_e32 v8, s24
	v_mov_b32_e32 v4, s13
	s_cbranch_vccnz .LBB2_36
; %bb.33:                               ;   in Loop: Header=BB2_32 Depth=1
	s_mov_b64 s[10:11], 0
	v_mov_b32_e32 v8, s24
	v_mov_b32_e32 v4, s13
.LBB2_34:                               ;   Parent Loop BB2_32 Depth=1
                                        ; =>  This Inner Loop Header: Depth=2
	v_add_u32_e32 v3, v4, v8
	v_lshrrev_b32_e32 v6, 31, v3
	v_add_u32_e32 v3, v3, v6
	v_ashrrev_i32_e32 v6, 1, v3
	v_ashrrev_i32_e32 v7, 31, v6
	v_lshlrev_b64 v[14:15], 2, v[6:7]
	v_mov_b32_e32 v5, s17
	v_add_co_u32_e32 v14, vcc, s16, v14
	v_addc_co_u32_e32 v15, vcc, v5, v15, vcc
	global_load_dword v3, v[14:15], off
	s_waitcnt vmcnt(0)
	v_subrev_u32_e32 v3, s26, v3
	v_cmp_gt_i32_e32 vcc, v3, v2
	v_cndmask_b32_e32 v4, v4, v6, vcc
	v_cndmask_b32_e32 v8, v6, v8, vcc
	v_add_u32_e32 v3, -1, v4
	v_cmp_ge_i32_e32 vcc, v8, v4
	v_cmp_eq_u32_e64 s[2:3], v8, v3
	s_or_b64 s[2:3], vcc, s[2:3]
	s_and_b64 s[2:3], exec, s[2:3]
	s_or_b64 s[10:11], s[2:3], s[10:11]
	s_andn2_b64 exec, exec, s[10:11]
	s_cbranch_execnz .LBB2_34
; %bb.35:                               ;   in Loop: Header=BB2_32 Depth=1
	s_or_b64 exec, exec, s[10:11]
.LBB2_36:                               ;   in Loop: Header=BB2_32 Depth=1
	v_ashrrev_i32_e32 v5, 31, v4
	v_lshlrev_b64 v[6:7], 2, v[4:5]
	v_add_co_u32_e32 v6, vcc, s16, v6
	v_addc_co_u32_e32 v7, vcc, v11, v7, vcc
	v_ashrrev_i32_e32 v3, 31, v2
	global_load_dword v5, v[6:7], off
	v_lshlrev_b64 v[6:7], 2, v[2:3]
	v_add_co_u32_e32 v14, vcc, s18, v6
	v_addc_co_u32_e32 v15, vcc, v12, v7, vcc
	global_load_dword v3, v[14:15], off
	s_waitcnt vmcnt(1)
	v_subrev_u32_e32 v5, s26, v5
	v_cmp_gt_i32_e32 vcc, v5, v2
	v_cndmask_b32_e32 v4, v4, v8, vcc
	s_waitcnt vmcnt(0)
	v_subrev_u32_e32 v8, s26, v3
	v_cmp_ne_u32_e32 vcc, v8, v4
	s_and_saveexec_b64 s[2:3], vcc
	s_cbranch_execz .LBB2_31
; %bb.37:                               ;   in Loop: Header=BB2_32 Depth=1
	v_mov_b32_e32 v5, s21
	v_add_co_u32_e32 v6, vcc, s20, v6
	v_addc_co_u32_e32 v7, vcc, v5, v7, vcc
	v_ashrrev_i32_e32 v5, 31, v4
	v_lshlrev_b64 v[4:5], 2, v[4:5]
	v_ashrrev_i32_e32 v9, 31, v8
	global_load_dword v6, v[6:7], off
	v_mov_b32_e32 v7, s23
	v_add_co_u32_e32 v4, vcc, s22, v4
	v_lshlrev_b64 v[8:9], 2, v[8:9]
	v_addc_co_u32_e32 v5, vcc, v7, v5, vcc
	v_mov_b32_e32 v3, s15
	global_load_dword v13, v[4:5], off
	v_add_co_u32_e32 v4, vcc, s14, v8
	v_addc_co_u32_e32 v5, vcc, v3, v9, vcc
	global_load_dword v7, v[4:5], off
	s_mov_b64 s[10:11], 0
	s_waitcnt vmcnt(2)
	v_mul_f32_e32 v3, s28, v6
	s_waitcnt vmcnt(1)
	v_mul_f32_e32 v3, v3, v13
.LBB2_38:                               ;   Parent Loop BB2_32 Depth=1
                                        ; =>  This Inner Loop Header: Depth=2
	s_waitcnt vmcnt(0)
	v_add_f32_e32 v6, v7, v3
	global_atomic_cmpswap v6, v[4:5], v[6:7], off glc
	s_waitcnt vmcnt(0)
	v_cmp_eq_u32_e32 vcc, v6, v7
	s_or_b64 s[10:11], vcc, s[10:11]
	v_mov_b32_e32 v7, v6
	s_andn2_b64 exec, exec, s[10:11]
	s_cbranch_execnz .LBB2_38
	s_branch .LBB2_31
.LBB2_39:
	s_or_b64 exec, exec, s[6:7]
	s_mov_b64 s[0:1], 0
.LBB2_40:
	s_and_b64 vcc, exec, s[0:1]
	s_cbranch_vccz .LBB2_189
; %bb.41:
	v_cvt_f32_u32_e32 v2, s27
	s_ashr_i32 s1, s24, 31
	s_mov_b32 s0, s24
	s_sub_i32 s2, 0, s27
	v_rcp_iflag_f32_e32 v2, v2
	s_lshl_b64 s[0:1], s[0:1], 2
	s_add_u32 s6, s16, s0
	s_addc_u32 s7, s17, s1
	v_mul_f32_e32 v2, 0x4f7ffffe, v2
	v_cvt_u32_f32_e32 v2, v2
	s_load_dword s33, s[6:7], 0x0
	s_load_dwordx2 s[8:9], s[4:5], 0x4
	s_load_dword s40, s[4:5], 0x64
	v_readfirstlane_b32 s41, v2
	s_waitcnt lgkmcnt(0)
	v_add_u32_e32 v2, s33, v10
	s_mul_i32 s2, s2, s41
	v_add_u32_e32 v12, 0x300, v2
	s_mul_hi_u32 s42, s41, s2
	v_cmp_le_i32_e32 vcc, s8, v12
	s_and_saveexec_b64 s[0:1], vcc
	s_xor_b64 s[2:3], exec, s[0:1]
	s_cbranch_execz .LBB2_58
; %bb.42:
	s_ashr_i32 s1, s25, 31
	s_mov_b32 s0, s25
	s_lshl_b64 s[0:1], s[0:1], 2
	s_add_u32 s0, s16, s0
	s_addc_u32 s1, s17, s1
	s_load_dword s10, s[0:1], 0x0
	s_waitcnt lgkmcnt(0)
	s_sub_i32 s8, s10, s33
	v_cmp_gt_i32_e64 s[0:1], s8, v0
	s_and_saveexec_b64 s[4:5], s[0:1]
	s_cbranch_execz .LBB2_57
; %bb.43:
	v_xad_u32 v3, v0, -1, s10
	v_subrev_u32_e32 v4, s33, v3
	s_movk_i32 s0, 0x1100
	v_cmp_gt_u32_e64 s[10:11], s0, v4
	s_movk_i32 s0, 0x10ff
	v_cmp_lt_u32_e64 s[0:1], s0, v4
	v_mov_b32_e32 v3, 0
	s_and_saveexec_b64 s[12:13], s[0:1]
	s_cbranch_execz .LBB2_54
; %bb.44:
	v_and_b32_e32 v3, 0xffffff00, v4
	v_add_u32_e32 v3, v2, v3
	v_cmp_ge_i32_e64 s[0:1], v3, v2
	s_mov_b64 s[34:35], -1
	v_mov_b32_e32 v3, 0
	s_and_saveexec_b64 s[30:31], s[0:1]
	s_cbranch_execz .LBB2_53
; %bb.45:
	v_lshrrev_b32_e32 v3, 8, v4
	v_add_u32_e32 v4, -1, v3
	v_lshrrev_b32_e32 v5, 1, v4
	s_movk_i32 s35, 0x100
	s_mov_b32 s34, 0
	s_mov_b32 s29, s28
	v_add_u32_e32 v6, 1, v5
	v_cmp_lt_u32_e64 s[0:1], 5, v4
	v_pk_mov_b32 v[4:5], s[34:35], s[34:35] op_sel:[0,1]
	s_and_saveexec_b64 s[36:37], s[0:1]
	s_cbranch_execz .LBB2_49
; %bb.46:
	v_and_b32_e32 v7, -4, v6
	s_mov_b64 s[38:39], 0
	v_mov_b32_e32 v8, s21
.LBB2_47:                               ; =>This Inner Loop Header: Depth=1
	v_add_u32_e32 v4, s34, v2
	v_ashrrev_i32_e32 v5, 31, v4
	v_add_u32_e32 v10, s35, v2
	v_lshlrev_b64 v[4:5], 2, v[4:5]
	s_add_i32 s44, s34, 0x200
	v_ashrrev_i32_e32 v11, 31, v10
	v_add_co_u32_e64 v4, s[0:1], s20, v4
	v_add_u32_e32 v14, s44, v2
	v_lshlrev_b64 v[10:11], 2, v[10:11]
	v_addc_co_u32_e64 v5, s[0:1], v8, v5, s[0:1]
	s_add_i32 s43, s35, 0x200
	v_ashrrev_i32_e32 v15, 31, v14
	v_add_co_u32_e64 v10, s[0:1], s20, v10
	v_add_u32_e32 v16, s43, v2
	v_addc_co_u32_e64 v11, s[0:1], v8, v11, s[0:1]
	v_lshlrev_b64 v[14:15], 2, v[14:15]
	s_add_i32 s46, s34, 0x400
	v_ashrrev_i32_e32 v17, 31, v16
	v_add_co_u32_e64 v14, s[0:1], s20, v14
	v_add_u32_e32 v18, s46, v2
	v_lshlrev_b64 v[16:17], 2, v[16:17]
	v_addc_co_u32_e64 v15, s[0:1], v8, v15, s[0:1]
	s_add_i32 s45, s35, 0x400
	v_ashrrev_i32_e32 v19, 31, v18
	v_add_co_u32_e64 v16, s[0:1], s20, v16
	v_add_u32_e32 v20, s45, v2
	v_lshlrev_b64 v[18:19], 2, v[18:19]
	v_addc_co_u32_e64 v17, s[0:1], v8, v17, s[0:1]
	;; [unrolled: 6-line block ×4, first 2 shown]
	v_ashrrev_i32_e32 v25, 31, v24
	v_add_co_u32_e64 v22, s[0:1], s20, v22
	v_lshlrev_b64 v[24:25], 2, v[24:25]
	v_addc_co_u32_e64 v23, s[0:1], v8, v23, s[0:1]
	v_add_co_u32_e64 v24, s[0:1], s20, v24
	v_addc_co_u32_e64 v25, s[0:1], v8, v25, s[0:1]
	global_load_dword v26, v[4:5], off
	global_load_dword v27, v[10:11], off
	s_nop 0
	global_load_dword v10, v[14:15], off
	global_load_dword v11, v[16:17], off
	s_nop 0
	global_load_dword v14, v[18:19], off
	global_load_dword v15, v[20:21], off
	;; [unrolled: 1-line block ×4, first 2 shown]
	v_add_u32_e32 v7, -4, v7
	v_add_lshl_u32 v9, s34, v0, 2
	v_add_lshl_u32 v13, s35, v0, 2
	s_addk_i32 s35, 0x800
	s_addk_i32 s34, 0x800
	v_cmp_eq_u32_e64 s[0:1], 0, v7
	v_add_lshl_u32 v20, s44, v0, 2
	v_pk_mov_b32 v[4:5], s[34:35], s[34:35] op_sel:[0,1]
	s_or_b64 s[38:39], s[0:1], s[38:39]
	v_add_lshl_u32 v21, s43, v0, 2
	v_add_lshl_u32 v22, s46, v0, 2
	;; [unrolled: 1-line block ×5, first 2 shown]
	s_waitcnt vmcnt(6)
	v_pk_mul_f32 v[18:19], s[28:29], v[26:27]
	ds_write_b32 v9, v18
	ds_write_b32 v13, v19
	s_waitcnt vmcnt(4)
	v_pk_mul_f32 v[10:11], s[28:29], v[10:11]
	s_waitcnt vmcnt(2)
	v_pk_mul_f32 v[14:15], s[28:29], v[14:15]
	;; [unrolled: 2-line block ×3, first 2 shown]
	ds_write_b32 v20, v10
	ds_write_b32 v21, v11
	;; [unrolled: 1-line block ×6, first 2 shown]
	s_andn2_b64 exec, exec, s[38:39]
	s_cbranch_execnz .LBB2_47
; %bb.48:
	s_or_b64 exec, exec, s[38:39]
.LBB2_49:
	s_or_b64 exec, exec, s[36:37]
	v_and_b32_e32 v6, 3, v6
	v_cmp_ne_u32_e64 s[0:1], 0, v6
	s_and_saveexec_b64 s[34:35], s[0:1]
	s_cbranch_execz .LBB2_52
; %bb.50:
	s_mov_b64 s[36:37], 0
	v_mov_b32_e32 v7, s21
.LBB2_51:                               ; =>This Inner Loop Header: Depth=1
	v_add_u32_e32 v8, v4, v2
	v_ashrrev_i32_e32 v9, 31, v8
	v_add_u32_e32 v10, v5, v2
	v_lshlrev_b64 v[8:9], 2, v[8:9]
	v_ashrrev_i32_e32 v11, 31, v10
	v_add_co_u32_e64 v8, s[0:1], s20, v8
	v_lshlrev_b64 v[10:11], 2, v[10:11]
	v_addc_co_u32_e64 v9, s[0:1], v7, v9, s[0:1]
	v_add_co_u32_e64 v10, s[0:1], s20, v10
	v_addc_co_u32_e64 v11, s[0:1], v7, v11, s[0:1]
	global_load_dword v14, v[8:9], off
	global_load_dword v15, v[10:11], off
	v_add_u32_e32 v6, -1, v6
	v_cmp_eq_u32_e64 s[0:1], 0, v6
	v_add_lshl_u32 v10, v4, v0, 2
	v_add_lshl_u32 v11, v5, v0, 2
	v_add_u32_e32 v5, 0x200, v5
	v_add_u32_e32 v4, 0x200, v4
	s_or_b64 s[36:37], s[0:1], s[36:37]
	s_waitcnt vmcnt(0)
	v_pk_mul_f32 v[8:9], s[28:29], v[14:15]
	ds_write_b32 v10, v8
	ds_write_b32 v11, v9
	s_andn2_b64 exec, exec, s[36:37]
	s_cbranch_execnz .LBB2_51
.LBB2_52:
	s_or_b64 exec, exec, s[34:35]
	v_add_u32_e32 v4, 1, v3
	v_and_b32_e32 v5, 0x1fffffe, v4
	v_cmp_ne_u32_e64 s[0:1], v4, v5
	v_lshlrev_b32_e32 v3, 8, v5
	s_orn2_b64 s[34:35], s[0:1], exec
.LBB2_53:
	s_or_b64 exec, exec, s[30:31]
	s_andn2_b64 s[0:1], s[10:11], exec
	s_and_b64 s[10:11], s[34:35], exec
	s_or_b64 s[10:11], s[0:1], s[10:11]
.LBB2_54:
	s_or_b64 exec, exec, s[12:13]
	s_and_b64 exec, exec, s[10:11]
	s_cbranch_execz .LBB2_57
; %bb.55:
	v_lshlrev_b32_e32 v4, 2, v3
	v_lshl_add_u32 v4, v0, 2, v4
	v_add_u32_e32 v3, v0, v3
	s_sub_i32 s12, s33, s26
	s_mov_b64 s[10:11], 0
	v_mov_b32_e32 v5, s21
.LBB2_56:                               ; =>This Inner Loop Header: Depth=1
	v_add_u32_e32 v6, s12, v3
	v_ashrrev_i32_e32 v7, 31, v6
	v_lshlrev_b64 v[6:7], 2, v[6:7]
	v_add_co_u32_e64 v6, s[0:1], s20, v6
	v_addc_co_u32_e64 v7, s[0:1], v5, v7, s[0:1]
	global_load_dword v6, v[6:7], off
	v_add_u32_e32 v3, 0x100, v3
	v_cmp_le_i32_e64 s[0:1], s8, v3
	s_or_b64 s[10:11], s[0:1], s[10:11]
	s_waitcnt vmcnt(0)
	v_mul_f32_e32 v6, s28, v6
	ds_write_b32 v4, v6
	v_add_u32_e32 v4, 0x400, v4
	s_andn2_b64 exec, exec, s[10:11]
	s_cbranch_execnz .LBB2_56
.LBB2_57:
	s_or_b64 exec, exec, s[4:5]
.LBB2_58:
	s_or_saveexec_b64 s[2:3], s[2:3]
	s_and_b32 s30, s40, 0xffff
	s_add_i32 s41, s41, s42
	v_ashrrev_i32_e32 v3, 31, v2
	s_xor_b64 exec, exec, s[2:3]
	s_cbranch_execz .LBB2_60
; %bb.59:
	v_lshlrev_b64 v[4:5], 2, v[2:3]
	v_mov_b32_e32 v6, s21
	v_add_co_u32_e64 v4, s[0:1], s20, v4
	v_addc_co_u32_e64 v5, s[0:1], v6, v5, s[0:1]
	global_load_dword v6, v[4:5], off
	global_load_dword v7, v[4:5], off offset:1024
	global_load_dword v8, v[4:5], off offset:2048
	;; [unrolled: 1-line block ×3, first 2 shown]
	s_waitcnt vmcnt(3)
	v_mul_f32_e32 v4, s28, v6
	s_waitcnt vmcnt(2)
	v_mul_f32_e32 v5, s28, v7
	;; [unrolled: 2-line block ×4, first 2 shown]
	ds_write2st64_b32 v1, v4, v5 offset1:4
	ds_write2st64_b32 v1, v6, v7 offset0:8 offset1:12
.LBB2_60:
	s_or_b64 exec, exec, s[2:3]
	s_mul_hi_u32 s8, s30, s41
	v_cmp_gt_i32_e64 s[0:1], s9, v0
	s_and_saveexec_b64 s[2:3], s[0:1]
	s_cbranch_execz .LBB2_63
; %bb.61:
	v_mov_b32_e32 v4, 0x1000
	v_lshl_add_u32 v4, v0, 2, v4
	s_mov_b64 s[4:5], 0
	v_mov_b32_e32 v5, 0
	v_mov_b32_e32 v6, v0
.LBB2_62:                               ; =>This Inner Loop Header: Depth=1
	v_add_u32_e32 v6, 0x100, v6
	v_cmp_le_i32_e64 s[0:1], s9, v6
	ds_write_b32 v4, v5
	s_or_b64 s[4:5], s[0:1], s[4:5]
	v_add_u32_e32 v4, 0x400, v4
	s_andn2_b64 exec, exec, s[4:5]
	s_cbranch_execnz .LBB2_62
.LBB2_63:
	s_or_b64 exec, exec, s[2:3]
	s_sub_i32 s0, s25, s9
	s_cmp_ge_i32 s25, s9
	s_cselect_b32 s31, s0, 0
	s_waitcnt lgkmcnt(0)
	s_barrier
	s_and_saveexec_b64 s[0:1], vcc
	s_xor_b64 s[4:5], exec, s[0:1]
	s_cbranch_execz .LBB2_82
; %bb.64:
	s_ashr_i32 s1, s25, 31
	s_mov_b32 s0, s25
	s_lshl_b64 s[0:1], s[0:1], 2
	s_add_u32 s0, s16, s0
	s_addc_u32 s1, s17, s1
	s_load_dword s0, s[0:1], 0x0
	s_waitcnt lgkmcnt(0)
	s_sub_i32 s34, s0, s33
	v_cmp_gt_i32_e32 vcc, s34, v0
	s_and_saveexec_b64 s[10:11], vcc
	s_cbranch_execz .LBB2_81
; %bb.65:
	s_add_i32 s35, s25, -1
	s_cmp_gt_i32 s35, s24
	s_cselect_b64 s[2:3], -1, 0
	s_add_i32 s1, s25, -2
	s_cmp_lg_u32 s1, s24
	s_cselect_b64 s[20:21], -1, 0
	s_sub_i32 s36, s0, s26
	s_and_b64 s[0:1], s[2:3], s[20:21]
	v_cndmask_b32_e64 v3, 0, 1, s[0:1]
	s_mov_b32 s37, 0
	s_mov_b64 s[12:13], 0
	v_cmp_ne_u32_e64 s[0:1], 1, v3
	v_mov_b32_e32 v3, s17
	v_mov_b32_e32 v10, s19
	;; [unrolled: 1-line block ×4, first 2 shown]
	s_branch .LBB2_68
.LBB2_66:                               ;   in Loop: Header=BB2_68 Depth=1
	s_or_b64 exec, exec, s[2:3]
.LBB2_67:                               ;   in Loop: Header=BB2_68 Depth=1
	s_or_b64 exec, exec, s[20:21]
	v_ashrrev_i32_e32 v5, 31, v4
	v_lshlrev_b64 v[4:5], 2, v[4:5]
	v_add_co_u32_e32 v4, vcc, s22, v4
	v_addc_co_u32_e32 v5, vcc, v11, v5, vcc
	global_load_dword v4, v[4:5], off
	s_addk_i32 s37, 0x100
	v_add_u32_e32 v5, s37, v0
	v_cmp_le_i32_e32 vcc, s34, v5
	s_or_b64 s[12:13], vcc, s[12:13]
	s_waitcnt vmcnt(0) lgkmcnt(0)
	v_mul_f32_e32 v4, v4, v14
	ds_write_b32 v13, v4
	s_andn2_b64 exec, exec, s[12:13]
	s_cbranch_execz .LBB2_81
.LBB2_68:                               ; =>This Loop Header: Depth=1
                                        ;     Child Loop BB2_70 Depth 2
                                        ;     Child Loop BB2_77 Depth 2
	v_add_u32_e32 v6, s37, v2
	s_and_b64 vcc, exec, s[0:1]
	v_mov_b32_e32 v5, s24
	v_mov_b32_e32 v8, s35
	s_cbranch_vccnz .LBB2_72
; %bb.69:                               ;   in Loop: Header=BB2_68 Depth=1
	s_mov_b64 s[20:21], 0
	v_mov_b32_e32 v5, s24
	v_mov_b32_e32 v8, s35
.LBB2_70:                               ;   Parent Loop BB2_68 Depth=1
                                        ; =>  This Inner Loop Header: Depth=2
	v_add_u32_e32 v4, v8, v5
	v_lshrrev_b32_e32 v9, 31, v4
	v_add_u32_e32 v4, v4, v9
	v_ashrrev_i32_e32 v14, 1, v4
	v_ashrrev_i32_e32 v15, 31, v14
	v_lshlrev_b64 v[16:17], 2, v[14:15]
	v_mov_b32_e32 v7, s17
	v_add_co_u32_e32 v16, vcc, s16, v16
	v_addc_co_u32_e32 v17, vcc, v7, v17, vcc
	global_load_dword v4, v[16:17], off
	s_waitcnt vmcnt(0)
	v_subrev_u32_e32 v4, s26, v4
	v_cmp_gt_i32_e32 vcc, v4, v6
	v_cndmask_b32_e32 v8, v8, v14, vcc
	v_cndmask_b32_e32 v5, v14, v5, vcc
	v_add_u32_e32 v4, -1, v8
	v_cmp_ge_i32_e32 vcc, v5, v8
	v_cmp_eq_u32_e64 s[2:3], v5, v4
	s_or_b64 s[2:3], vcc, s[2:3]
	s_and_b64 s[2:3], exec, s[2:3]
	s_or_b64 s[20:21], s[2:3], s[20:21]
	s_andn2_b64 exec, exec, s[20:21]
	s_cbranch_execnz .LBB2_70
; %bb.71:                               ;   in Loop: Header=BB2_68 Depth=1
	s_or_b64 exec, exec, s[20:21]
.LBB2_72:                               ;   in Loop: Header=BB2_68 Depth=1
	v_ashrrev_i32_e32 v9, 31, v8
	v_lshlrev_b64 v[14:15], 2, v[8:9]
	v_add_co_u32_e32 v14, vcc, s16, v14
	v_addc_co_u32_e32 v15, vcc, v3, v15, vcc
	v_ashrrev_i32_e32 v7, 31, v6
	global_load_dword v4, v[14:15], off
	v_lshlrev_b64 v[14:15], 2, v[6:7]
	v_add_co_u32_e32 v14, vcc, s18, v14
	v_addc_co_u32_e32 v15, vcc, v10, v15, vcc
	global_load_dword v7, v[14:15], off
	v_cmp_le_i32_e32 vcc, s36, v6
	v_lshl_add_u32 v13, s37, 2, v1
                                        ; implicit-def: $vgpr14
	s_waitcnt vmcnt(1)
	v_subrev_u32_e32 v9, s26, v4
	v_cmp_gt_i32_e64 s[2:3], v9, v6
	v_cndmask_b32_e64 v6, v8, v5, s[2:3]
	s_waitcnt vmcnt(0)
	v_subrev_u32_e32 v4, s26, v7
	v_cmp_eq_u32_e64 s[2:3], v4, v6
	s_or_b64 s[2:3], s[2:3], vcc
	s_and_saveexec_b64 s[20:21], s[2:3]
	s_xor_b64 s[2:3], exec, s[20:21]
	s_cbranch_execz .LBB2_74
; %bb.73:                               ;   in Loop: Header=BB2_68 Depth=1
	ds_read_b32 v14, v13
                                        ; implicit-def: $vgpr6
.LBB2_74:                               ;   in Loop: Header=BB2_68 Depth=1
	s_andn2_saveexec_b64 s[20:21], s[2:3]
	s_cbranch_execz .LBB2_67
; %bb.75:                               ;   in Loop: Header=BB2_68 Depth=1
	v_ashrrev_i32_e32 v7, 31, v6
	v_lshlrev_b64 v[6:7], 2, v[6:7]
	v_mov_b32_e32 v5, s23
	v_add_co_u32_e32 v6, vcc, s22, v6
	v_addc_co_u32_e32 v7, vcc, v5, v7, vcc
	global_load_dword v5, v[6:7], off
	s_waitcnt lgkmcnt(0)
	ds_read_b32 v14, v13
	v_cmp_gt_i32_e32 vcc, s31, v4
	v_cmp_le_i32_e64 s[2:3], s25, v4
	s_or_b64 s[2:3], vcc, s[2:3]
	s_waitcnt vmcnt(0) lgkmcnt(0)
	v_mul_f32_e32 v15, v14, v5
	s_and_saveexec_b64 s[28:29], s[2:3]
	s_xor_b64 s[2:3], exec, s[28:29]
	s_cbranch_execz .LBB2_79
; %bb.76:                               ;   in Loop: Header=BB2_68 Depth=1
	v_ashrrev_i32_e32 v5, 31, v4
	v_lshlrev_b64 v[6:7], 2, v[4:5]
	v_mov_b32_e32 v5, s15
	v_add_co_u32_e32 v6, vcc, s14, v6
	v_addc_co_u32_e32 v7, vcc, v5, v7, vcc
	global_load_dword v9, v[6:7], off
	s_mov_b64 s[28:29], 0
.LBB2_77:                               ;   Parent Loop BB2_68 Depth=1
                                        ; =>  This Inner Loop Header: Depth=2
	s_waitcnt vmcnt(0)
	v_add_f32_e32 v8, v9, v15
	global_atomic_cmpswap v5, v[6:7], v[8:9], off glc
	s_waitcnt vmcnt(0)
	v_cmp_eq_u32_e32 vcc, v5, v9
	s_or_b64 s[28:29], vcc, s[28:29]
	v_mov_b32_e32 v9, v5
	s_andn2_b64 exec, exec, s[28:29]
	s_cbranch_execnz .LBB2_77
; %bb.78:                               ;   in Loop: Header=BB2_68 Depth=1
	s_or_b64 exec, exec, s[28:29]
                                        ; implicit-def: $vgpr15
.LBB2_79:                               ;   in Loop: Header=BB2_68 Depth=1
	s_andn2_saveexec_b64 s[2:3], s[2:3]
	s_cbranch_execz .LBB2_66
; %bb.80:                               ;   in Loop: Header=BB2_68 Depth=1
	v_subrev_u32_e32 v5, s31, v4
	v_lshl_add_u32 v5, v5, 2, v12
	ds_add_f32 v5, v15
	s_branch .LBB2_66
.LBB2_81:
	s_or_b64 exec, exec, s[10:11]
                                        ; implicit-def: $vgpr12
                                        ; implicit-def: $vgpr2
.LBB2_82:
	s_andn2_saveexec_b64 s[4:5], s[4:5]
	s_cbranch_execz .LBB2_148
; %bb.83:
	s_add_i32 s28, s25, -1
	s_cmp_le_i32 s28, s24
	s_cselect_b64 s[0:1], -1, 0
	s_add_i32 s2, s25, -2
	s_cmp_eq_u32 s2, s24
	s_cselect_b64 s[2:3], -1, 0
	s_or_b64 s[2:3], s[0:1], s[2:3]
	s_and_b64 vcc, exec, s[2:3]
	v_mov_b32_e32 v8, s24
	v_mov_b32_e32 v6, s28
	s_cbranch_vccnz .LBB2_87
; %bb.84:
	s_mov_b64 s[10:11], 0
	v_mov_b32_e32 v8, s24
	v_mov_b32_e32 v6, s28
	;; [unrolled: 1-line block ×3, first 2 shown]
.LBB2_85:                               ; =>This Inner Loop Header: Depth=1
	v_add_u32_e32 v5, v6, v8
	v_lshrrev_b32_e32 v7, 31, v5
	v_add_u32_e32 v5, v5, v7
	v_ashrrev_i32_e32 v10, 1, v5
	v_ashrrev_i32_e32 v11, 31, v10
	v_lshlrev_b64 v[14:15], 2, v[10:11]
	v_add_co_u32_e32 v14, vcc, s16, v14
	v_addc_co_u32_e32 v15, vcc, v4, v15, vcc
	global_load_dword v5, v[14:15], off
	s_waitcnt vmcnt(0)
	v_subrev_u32_e32 v5, s26, v5
	v_cmp_gt_i32_e32 vcc, v5, v2
	v_cndmask_b32_e32 v6, v6, v10, vcc
	v_cndmask_b32_e32 v8, v10, v8, vcc
	v_add_u32_e32 v5, -1, v6
	v_cmp_ge_i32_e32 vcc, v8, v6
	v_cmp_eq_u32_e64 s[0:1], v8, v5
	s_or_b64 s[0:1], vcc, s[0:1]
	s_and_b64 s[0:1], exec, s[0:1]
	s_or_b64 s[10:11], s[0:1], s[10:11]
	s_andn2_b64 exec, exec, s[10:11]
	s_cbranch_execnz .LBB2_85
; %bb.86:
	s_or_b64 exec, exec, s[10:11]
.LBB2_87:
	v_ashrrev_i32_e32 v7, 31, v6
	v_lshlrev_b64 v[4:5], 2, v[6:7]
	v_mov_b32_e32 v7, s17
	v_add_co_u32_e32 v4, vcc, s16, v4
	v_addc_co_u32_e32 v5, vcc, v7, v5, vcc
	global_load_dword v7, v[4:5], off
	v_lshlrev_b64 v[4:5], 2, v[2:3]
	v_mov_b32_e32 v3, s19
	v_add_co_u32_e32 v4, vcc, s18, v4
	v_addc_co_u32_e32 v5, vcc, v3, v5, vcc
	global_load_dword v3, v[4:5], off
	s_ashr_i32 s1, s25, 31
	s_mov_b32 s0, s25
	s_xor_b64 s[2:3], s[2:3], -1
	s_lshl_b64 s[0:1], s[0:1], 2
	s_add_u32 s10, s16, s0
	s_addc_u32 s11, s17, s1
	s_waitcnt vmcnt(1)
	v_subrev_u32_e32 v7, s26, v7
	v_cmp_gt_i32_e32 vcc, v7, v2
	v_cndmask_b32_e32 v8, v6, v8, vcc
	s_waitcnt vmcnt(0)
	v_subrev_u32_e32 v6, s26, v3
	v_cmp_ne_u32_e32 vcc, v6, v8
                                        ; implicit-def: $vgpr3
	s_and_saveexec_b64 s[0:1], vcc
	s_xor_b64 s[12:13], exec, s[0:1]
	s_cbranch_execz .LBB2_97
; %bb.88:
	s_load_dword s0, s[10:11], 0x0
	ds_read_b32 v3, v1
	s_waitcnt lgkmcnt(0)
	s_sub_i32 s0, s0, s26
	v_cmp_gt_i32_e32 vcc, s0, v2
	s_and_saveexec_b64 s[18:19], vcc
	s_cbranch_execz .LBB2_96
; %bb.89:
	v_ashrrev_i32_e32 v9, 31, v8
	v_lshlrev_b64 v[8:9], 2, v[8:9]
	v_mov_b32_e32 v7, s23
	v_add_co_u32_e32 v8, vcc, s22, v8
	v_addc_co_u32_e32 v9, vcc, v7, v9, vcc
	global_load_dword v7, v[8:9], off
	v_cmp_gt_i32_e32 vcc, s31, v6
	v_cmp_le_i32_e64 s[0:1], s25, v6
	s_or_b64 s[0:1], vcc, s[0:1]
	s_waitcnt vmcnt(0)
	v_mul_f32_e32 v13, v3, v7
	s_and_saveexec_b64 s[20:21], s[0:1]
	s_xor_b64 s[0:1], exec, s[20:21]
	s_cbranch_execz .LBB2_93
; %bb.90:
	v_ashrrev_i32_e32 v7, 31, v6
	v_lshlrev_b64 v[8:9], 2, v[6:7]
	v_mov_b32_e32 v7, s15
	v_add_co_u32_e32 v8, vcc, s14, v8
	v_addc_co_u32_e32 v9, vcc, v7, v9, vcc
	global_load_dword v11, v[8:9], off
	s_mov_b64 s[20:21], 0
.LBB2_91:                               ; =>This Inner Loop Header: Depth=1
	s_waitcnt vmcnt(0)
	v_add_f32_e32 v10, v11, v13
	global_atomic_cmpswap v7, v[8:9], v[10:11], off glc
	s_waitcnt vmcnt(0)
	v_cmp_eq_u32_e32 vcc, v7, v11
	s_or_b64 s[20:21], vcc, s[20:21]
	v_mov_b32_e32 v11, v7
	s_andn2_b64 exec, exec, s[20:21]
	s_cbranch_execnz .LBB2_91
; %bb.92:
	s_or_b64 exec, exec, s[20:21]
                                        ; implicit-def: $vgpr13
.LBB2_93:
	s_andn2_saveexec_b64 s[0:1], s[0:1]
	s_cbranch_execz .LBB2_95
; %bb.94:
	v_subrev_u32_e32 v7, s31, v6
	v_mov_b32_e32 v8, 0x1000
	v_lshl_add_u32 v7, v7, 2, v8
	ds_add_f32 v7, v13
.LBB2_95:
	s_or_b64 exec, exec, s[0:1]
.LBB2_96:
	s_or_b64 exec, exec, s[18:19]
.LBB2_97:
	s_andn2_saveexec_b64 s[0:1], s[12:13]
	s_cbranch_execz .LBB2_99
; %bb.98:
	ds_read_b32 v3, v1
.LBB2_99:
	s_or_b64 exec, exec, s[0:1]
	v_ashrrev_i32_e32 v7, 31, v6
	v_lshlrev_b64 v[6:7], 2, v[6:7]
	v_mov_b32_e32 v8, s23
	v_add_co_u32_e32 v6, vcc, s22, v6
	v_addc_co_u32_e32 v7, vcc, v8, v7, vcc
	global_load_dword v6, v[6:7], off
	v_cndmask_b32_e64 v7, 0, 1, s[2:3]
	v_add_u32_e32 v9, 0x100, v2
	v_mov_b32_e32 v8, s24
	v_cmp_ne_u32_e64 s[0:1], 1, v7
	s_andn2_b64 vcc, exec, s[2:3]
	s_waitcnt vmcnt(0) lgkmcnt(0)
	v_mul_f32_e32 v3, v6, v3
	v_mov_b32_e32 v6, s28
	ds_write_b32 v1, v3
	s_cbranch_vccnz .LBB2_103
; %bb.100:
	s_mov_b64 s[12:13], 0
	v_mov_b32_e32 v8, s24
	v_mov_b32_e32 v6, s28
	;; [unrolled: 1-line block ×3, first 2 shown]
.LBB2_101:                              ; =>This Inner Loop Header: Depth=1
	v_add_u32_e32 v7, v6, v8
	v_lshrrev_b32_e32 v10, 31, v7
	v_add_u32_e32 v7, v7, v10
	v_ashrrev_i32_e32 v10, 1, v7
	v_ashrrev_i32_e32 v11, 31, v10
	v_lshlrev_b64 v[14:15], 2, v[10:11]
	v_add_co_u32_e32 v14, vcc, s16, v14
	v_addc_co_u32_e32 v15, vcc, v3, v15, vcc
	global_load_dword v7, v[14:15], off
	s_waitcnt vmcnt(0)
	v_subrev_u32_e32 v7, s26, v7
	v_cmp_gt_i32_e32 vcc, v7, v9
	v_cndmask_b32_e32 v6, v6, v10, vcc
	v_cndmask_b32_e32 v8, v10, v8, vcc
	v_add_u32_e32 v7, -1, v6
	v_cmp_ge_i32_e32 vcc, v8, v6
	v_cmp_eq_u32_e64 s[2:3], v8, v7
	s_or_b64 s[2:3], vcc, s[2:3]
	s_and_b64 s[2:3], exec, s[2:3]
	s_or_b64 s[12:13], s[2:3], s[12:13]
	s_andn2_b64 exec, exec, s[12:13]
	s_cbranch_execnz .LBB2_101
; %bb.102:
	s_or_b64 exec, exec, s[12:13]
.LBB2_103:
	v_ashrrev_i32_e32 v7, 31, v6
	v_lshlrev_b64 v[10:11], 2, v[6:7]
	v_mov_b32_e32 v3, s17
	v_add_co_u32_e32 v10, vcc, s16, v10
	v_addc_co_u32_e32 v11, vcc, v3, v11, vcc
	global_load_dword v3, v[10:11], off
	global_load_dword v7, v[4:5], off offset:1024
	s_waitcnt vmcnt(1)
	v_subrev_u32_e32 v3, s26, v3
	v_cmp_gt_i32_e32 vcc, v3, v9
	v_cndmask_b32_e32 v8, v6, v8, vcc
	s_waitcnt vmcnt(0)
	v_subrev_u32_e32 v6, s26, v7
	v_cmp_ne_u32_e32 vcc, v6, v8
                                        ; implicit-def: $vgpr3
	s_and_saveexec_b64 s[2:3], vcc
	s_xor_b64 s[12:13], exec, s[2:3]
	s_cbranch_execz .LBB2_113
; %bb.104:
	s_load_dword s2, s[10:11], 0x0
	ds_read_b32 v3, v1 offset:1024
	s_waitcnt lgkmcnt(0)
	s_sub_i32 s2, s2, s26
	v_cmp_gt_i32_e32 vcc, s2, v9
	s_and_saveexec_b64 s[18:19], vcc
	s_cbranch_execz .LBB2_112
; %bb.105:
	v_ashrrev_i32_e32 v9, 31, v8
	v_lshlrev_b64 v[8:9], 2, v[8:9]
	v_mov_b32_e32 v7, s23
	v_add_co_u32_e32 v8, vcc, s22, v8
	v_addc_co_u32_e32 v9, vcc, v7, v9, vcc
	global_load_dword v7, v[8:9], off
	v_cmp_gt_i32_e32 vcc, s31, v6
	v_cmp_le_i32_e64 s[2:3], s25, v6
	s_or_b64 s[2:3], vcc, s[2:3]
	s_waitcnt vmcnt(0)
	v_mul_f32_e32 v13, v3, v7
	s_and_saveexec_b64 s[20:21], s[2:3]
	s_xor_b64 s[2:3], exec, s[20:21]
	s_cbranch_execz .LBB2_109
; %bb.106:
	v_ashrrev_i32_e32 v7, 31, v6
	v_lshlrev_b64 v[8:9], 2, v[6:7]
	v_mov_b32_e32 v7, s15
	v_add_co_u32_e32 v8, vcc, s14, v8
	v_addc_co_u32_e32 v9, vcc, v7, v9, vcc
	global_load_dword v11, v[8:9], off
	s_mov_b64 s[20:21], 0
.LBB2_107:                              ; =>This Inner Loop Header: Depth=1
	s_waitcnt vmcnt(0)
	v_add_f32_e32 v10, v11, v13
	global_atomic_cmpswap v7, v[8:9], v[10:11], off glc
	s_waitcnt vmcnt(0)
	v_cmp_eq_u32_e32 vcc, v7, v11
	s_or_b64 s[20:21], vcc, s[20:21]
	v_mov_b32_e32 v11, v7
	s_andn2_b64 exec, exec, s[20:21]
	s_cbranch_execnz .LBB2_107
; %bb.108:
	s_or_b64 exec, exec, s[20:21]
                                        ; implicit-def: $vgpr13
.LBB2_109:
	s_andn2_saveexec_b64 s[2:3], s[2:3]
	s_cbranch_execz .LBB2_111
; %bb.110:
	v_subrev_u32_e32 v7, s31, v6
	v_mov_b32_e32 v8, 0x1000
	v_lshl_add_u32 v7, v7, 2, v8
	ds_add_f32 v7, v13
.LBB2_111:
	s_or_b64 exec, exec, s[2:3]
.LBB2_112:
	s_or_b64 exec, exec, s[18:19]
.LBB2_113:
	s_andn2_saveexec_b64 s[2:3], s[12:13]
	s_cbranch_execz .LBB2_115
; %bb.114:
	ds_read_b32 v3, v1 offset:1024
.LBB2_115:
	s_or_b64 exec, exec, s[2:3]
	v_ashrrev_i32_e32 v7, 31, v6
	v_lshlrev_b64 v[6:7], 2, v[6:7]
	v_mov_b32_e32 v8, s23
	v_add_co_u32_e32 v6, vcc, s22, v6
	v_addc_co_u32_e32 v7, vcc, v8, v7, vcc
	global_load_dword v8, v[6:7], off
	v_add_u32_e32 v7, 0x200, v2
	s_and_b64 vcc, exec, s[0:1]
	v_mov_b32_e32 v6, s24
	s_waitcnt vmcnt(0) lgkmcnt(0)
	v_mul_f32_e32 v2, v8, v3
	ds_write_b32 v1, v2 offset:1024
	v_mov_b32_e32 v2, s28
	s_cbranch_vccnz .LBB2_119
; %bb.116:
	s_mov_b64 s[12:13], 0
	v_mov_b32_e32 v6, s24
	v_mov_b32_e32 v2, s28
	;; [unrolled: 1-line block ×3, first 2 shown]
.LBB2_117:                              ; =>This Inner Loop Header: Depth=1
	v_add_u32_e32 v8, v2, v6
	v_lshrrev_b32_e32 v9, 31, v8
	v_add_u32_e32 v8, v8, v9
	v_ashrrev_i32_e32 v8, 1, v8
	v_ashrrev_i32_e32 v9, 31, v8
	v_lshlrev_b64 v[10:11], 2, v[8:9]
	v_add_co_u32_e32 v10, vcc, s16, v10
	v_addc_co_u32_e32 v11, vcc, v3, v11, vcc
	global_load_dword v9, v[10:11], off
	s_waitcnt vmcnt(0)
	v_subrev_u32_e32 v9, s26, v9
	v_cmp_gt_i32_e32 vcc, v9, v7
	v_cndmask_b32_e32 v2, v2, v8, vcc
	v_cndmask_b32_e32 v6, v8, v6, vcc
	v_add_u32_e32 v8, -1, v2
	v_cmp_ge_i32_e32 vcc, v6, v2
	v_cmp_eq_u32_e64 s[2:3], v6, v8
	s_or_b64 s[2:3], vcc, s[2:3]
	s_and_b64 s[2:3], exec, s[2:3]
	s_or_b64 s[12:13], s[2:3], s[12:13]
	s_andn2_b64 exec, exec, s[12:13]
	s_cbranch_execnz .LBB2_117
; %bb.118:
	s_or_b64 exec, exec, s[12:13]
.LBB2_119:
	v_ashrrev_i32_e32 v3, 31, v2
	v_lshlrev_b64 v[8:9], 2, v[2:3]
	v_mov_b32_e32 v3, s17
	v_add_co_u32_e32 v8, vcc, s16, v8
	v_addc_co_u32_e32 v9, vcc, v3, v9, vcc
	global_load_dword v3, v[8:9], off
	global_load_dword v10, v[4:5], off offset:2048
	s_waitcnt vmcnt(1)
	v_subrev_u32_e32 v3, s26, v3
	v_cmp_gt_i32_e32 vcc, v3, v7
	v_cndmask_b32_e32 v6, v2, v6, vcc
	s_waitcnt vmcnt(0)
	v_subrev_u32_e32 v2, s26, v10
	v_cmp_ne_u32_e32 vcc, v2, v6
                                        ; implicit-def: $vgpr10
	s_and_saveexec_b64 s[2:3], vcc
	s_xor_b64 s[12:13], exec, s[2:3]
	s_cbranch_execz .LBB2_129
; %bb.120:
	s_load_dword s2, s[10:11], 0x0
	ds_read_b32 v10, v1 offset:2048
	s_waitcnt lgkmcnt(0)
	s_sub_i32 s2, s2, s26
	v_cmp_gt_i32_e32 vcc, s2, v7
	s_and_saveexec_b64 s[18:19], vcc
	s_cbranch_execz .LBB2_128
; %bb.121:
	v_ashrrev_i32_e32 v7, 31, v6
	v_lshlrev_b64 v[6:7], 2, v[6:7]
	v_mov_b32_e32 v3, s23
	v_add_co_u32_e32 v6, vcc, s22, v6
	v_addc_co_u32_e32 v7, vcc, v3, v7, vcc
	global_load_dword v3, v[6:7], off
	v_cmp_gt_i32_e32 vcc, s31, v2
	v_cmp_le_i32_e64 s[2:3], s25, v2
	s_or_b64 s[2:3], vcc, s[2:3]
	s_waitcnt vmcnt(0)
	v_mul_f32_e32 v11, v10, v3
	s_and_saveexec_b64 s[20:21], s[2:3]
	s_xor_b64 s[2:3], exec, s[20:21]
	s_cbranch_execz .LBB2_125
; %bb.122:
	v_ashrrev_i32_e32 v3, 31, v2
	v_lshlrev_b64 v[6:7], 2, v[2:3]
	v_mov_b32_e32 v3, s15
	v_add_co_u32_e32 v6, vcc, s14, v6
	v_addc_co_u32_e32 v7, vcc, v3, v7, vcc
	global_load_dword v9, v[6:7], off
	s_mov_b64 s[20:21], 0
.LBB2_123:                              ; =>This Inner Loop Header: Depth=1
	s_waitcnt vmcnt(0)
	v_add_f32_e32 v8, v9, v11
	global_atomic_cmpswap v3, v[6:7], v[8:9], off glc
	s_waitcnt vmcnt(0)
	v_cmp_eq_u32_e32 vcc, v3, v9
	s_or_b64 s[20:21], vcc, s[20:21]
	v_mov_b32_e32 v9, v3
	s_andn2_b64 exec, exec, s[20:21]
	s_cbranch_execnz .LBB2_123
; %bb.124:
	s_or_b64 exec, exec, s[20:21]
                                        ; implicit-def: $vgpr11
.LBB2_125:
	s_andn2_saveexec_b64 s[2:3], s[2:3]
	s_cbranch_execz .LBB2_127
; %bb.126:
	v_subrev_u32_e32 v3, s31, v2
	v_mov_b32_e32 v6, 0x1000
	v_lshl_add_u32 v3, v3, 2, v6
	ds_add_f32 v3, v11
.LBB2_127:
	s_or_b64 exec, exec, s[2:3]
.LBB2_128:
	s_or_b64 exec, exec, s[18:19]
.LBB2_129:
	s_andn2_saveexec_b64 s[2:3], s[12:13]
	s_cbranch_execz .LBB2_131
; %bb.130:
	ds_read_b32 v10, v1 offset:2048
.LBB2_131:
	s_or_b64 exec, exec, s[2:3]
	v_ashrrev_i32_e32 v3, 31, v2
	v_lshlrev_b64 v[2:3], 2, v[2:3]
	v_mov_b32_e32 v6, s23
	v_add_co_u32_e32 v2, vcc, s22, v2
	v_addc_co_u32_e32 v3, vcc, v6, v3, vcc
	global_load_dword v2, v[2:3], off
	s_and_b64 vcc, exec, s[0:1]
	v_mov_b32_e32 v6, s24
	s_waitcnt vmcnt(0) lgkmcnt(0)
	v_mul_f32_e32 v2, v2, v10
	ds_write_b32 v1, v2 offset:2048
	v_mov_b32_e32 v2, s28
	s_cbranch_vccnz .LBB2_135
; %bb.132:
	s_mov_b64 s[2:3], 0
	v_mov_b32_e32 v6, s24
	v_mov_b32_e32 v2, s28
	;; [unrolled: 1-line block ×3, first 2 shown]
.LBB2_133:                              ; =>This Inner Loop Header: Depth=1
	v_add_u32_e32 v7, v2, v6
	v_lshrrev_b32_e32 v8, 31, v7
	v_add_u32_e32 v7, v7, v8
	v_ashrrev_i32_e32 v8, 1, v7
	v_ashrrev_i32_e32 v9, 31, v8
	v_lshlrev_b64 v[10:11], 2, v[8:9]
	v_add_co_u32_e32 v10, vcc, s16, v10
	v_addc_co_u32_e32 v11, vcc, v3, v11, vcc
	global_load_dword v7, v[10:11], off
	s_waitcnt vmcnt(0)
	v_subrev_u32_e32 v7, s26, v7
	v_cmp_gt_i32_e32 vcc, v7, v12
	v_cndmask_b32_e32 v2, v2, v8, vcc
	v_cndmask_b32_e32 v6, v8, v6, vcc
	v_add_u32_e32 v7, -1, v2
	v_cmp_ge_i32_e32 vcc, v6, v2
	v_cmp_eq_u32_e64 s[0:1], v6, v7
	s_or_b64 s[0:1], vcc, s[0:1]
	s_and_b64 s[0:1], exec, s[0:1]
	s_or_b64 s[2:3], s[0:1], s[2:3]
	s_andn2_b64 exec, exec, s[2:3]
	s_cbranch_execnz .LBB2_133
; %bb.134:
	s_or_b64 exec, exec, s[2:3]
.LBB2_135:
	v_ashrrev_i32_e32 v3, 31, v2
	v_lshlrev_b64 v[8:9], 2, v[2:3]
	v_mov_b32_e32 v3, s17
	v_add_co_u32_e32 v8, vcc, s16, v8
	v_addc_co_u32_e32 v9, vcc, v3, v9, vcc
	global_load_dword v3, v[8:9], off
	global_load_dword v7, v[4:5], off offset:3072
                                        ; implicit-def: $vgpr8
	s_waitcnt vmcnt(1)
	v_subrev_u32_e32 v3, s26, v3
	v_cmp_gt_i32_e32 vcc, v3, v12
	v_cndmask_b32_e32 v4, v2, v6, vcc
	s_waitcnt vmcnt(0)
	v_subrev_u32_e32 v2, s26, v7
	v_cmp_ne_u32_e32 vcc, v2, v4
	s_and_saveexec_b64 s[0:1], vcc
	s_xor_b64 s[2:3], exec, s[0:1]
	s_cbranch_execz .LBB2_145
; %bb.136:
	s_load_dword s0, s[10:11], 0x0
	ds_read_b32 v8, v1 offset:3072
	s_waitcnt lgkmcnt(0)
	s_sub_i32 s0, s0, s26
	v_cmp_gt_i32_e32 vcc, s0, v12
	s_and_saveexec_b64 s[10:11], vcc
	s_cbranch_execz .LBB2_144
; %bb.137:
	v_ashrrev_i32_e32 v5, 31, v4
	v_lshlrev_b64 v[4:5], 2, v[4:5]
	v_mov_b32_e32 v3, s23
	v_add_co_u32_e32 v4, vcc, s22, v4
	v_addc_co_u32_e32 v5, vcc, v3, v5, vcc
	global_load_dword v3, v[4:5], off
	v_cmp_gt_i32_e32 vcc, s31, v2
	v_cmp_le_i32_e64 s[0:1], s25, v2
	s_or_b64 s[0:1], vcc, s[0:1]
	s_waitcnt vmcnt(0)
	v_mul_f32_e32 v9, v8, v3
	s_and_saveexec_b64 s[12:13], s[0:1]
	s_xor_b64 s[0:1], exec, s[12:13]
	s_cbranch_execz .LBB2_141
; %bb.138:
	v_ashrrev_i32_e32 v3, 31, v2
	v_lshlrev_b64 v[4:5], 2, v[2:3]
	v_mov_b32_e32 v3, s15
	v_add_co_u32_e32 v4, vcc, s14, v4
	v_addc_co_u32_e32 v5, vcc, v3, v5, vcc
	global_load_dword v7, v[4:5], off
	s_mov_b64 s[12:13], 0
.LBB2_139:                              ; =>This Inner Loop Header: Depth=1
	s_waitcnt vmcnt(0)
	v_add_f32_e32 v6, v7, v9
	global_atomic_cmpswap v3, v[4:5], v[6:7], off glc
	s_waitcnt vmcnt(0)
	v_cmp_eq_u32_e32 vcc, v3, v7
	s_or_b64 s[12:13], vcc, s[12:13]
	v_mov_b32_e32 v7, v3
	s_andn2_b64 exec, exec, s[12:13]
	s_cbranch_execnz .LBB2_139
; %bb.140:
	s_or_b64 exec, exec, s[12:13]
                                        ; implicit-def: $vgpr9
.LBB2_141:
	s_andn2_saveexec_b64 s[0:1], s[0:1]
	s_cbranch_execz .LBB2_143
; %bb.142:
	v_subrev_u32_e32 v3, s31, v2
	v_mov_b32_e32 v4, 0x1000
	v_lshl_add_u32 v3, v3, 2, v4
	ds_add_f32 v3, v9
.LBB2_143:
	s_or_b64 exec, exec, s[0:1]
.LBB2_144:
	s_or_b64 exec, exec, s[10:11]
.LBB2_145:
	s_andn2_saveexec_b64 s[0:1], s[2:3]
	s_cbranch_execz .LBB2_147
; %bb.146:
	ds_read_b32 v8, v1 offset:3072
.LBB2_147:
	s_or_b64 exec, exec, s[0:1]
	v_ashrrev_i32_e32 v3, 31, v2
	v_lshlrev_b64 v[2:3], 2, v[2:3]
	v_mov_b32_e32 v4, s23
	v_add_co_u32_e32 v2, vcc, s22, v2
	v_addc_co_u32_e32 v3, vcc, v4, v3, vcc
	global_load_dword v2, v[2:3], off
	s_waitcnt vmcnt(0) lgkmcnt(0)
	v_mul_f32_e32 v2, v2, v8
	ds_write_b32 v1, v2 offset:3072
.LBB2_148:
	s_or_b64 exec, exec, s[4:5]
	s_min_i32 s9, s25, s9
	s_sub_i32 s10, s9, s27
	v_cmp_gt_i32_e32 vcc, s10, v0
	s_waitcnt lgkmcnt(0)
	s_barrier
	s_and_saveexec_b64 s[0:1], vcc
	s_cbranch_execz .LBB2_153
; %bb.149:
	s_mov_b64 s[2:3], 0
	v_mov_b32_e32 v6, s15
	v_mov_b32_e32 v7, 0x1000
	v_mov_b32_e32 v8, v0
.LBB2_150:                              ; =>This Loop Header: Depth=1
                                        ;     Child Loop BB2_151 Depth 2
	v_add_u32_e32 v2, s31, v8
	v_ashrrev_i32_e32 v3, 31, v2
	v_lshlrev_b64 v[2:3], 2, v[2:3]
	v_add_co_u32_e32 v2, vcc, s14, v2
	v_addc_co_u32_e32 v3, vcc, v6, v3, vcc
	global_load_dword v5, v[2:3], off
	v_lshl_add_u32 v4, v8, 2, v7
	ds_read_b32 v9, v4
	s_mov_b64 s[4:5], 0
.LBB2_151:                              ;   Parent Loop BB2_150 Depth=1
                                        ; =>  This Inner Loop Header: Depth=2
	s_waitcnt vmcnt(0) lgkmcnt(0)
	v_add_f32_e32 v4, v5, v9
	global_atomic_cmpswap v4, v[2:3], v[4:5], off glc
	s_waitcnt vmcnt(0)
	v_cmp_eq_u32_e32 vcc, v4, v5
	s_or_b64 s[4:5], vcc, s[4:5]
	v_mov_b32_e32 v5, v4
	s_andn2_b64 exec, exec, s[4:5]
	s_cbranch_execnz .LBB2_151
; %bb.152:                              ;   in Loop: Header=BB2_150 Depth=1
	s_or_b64 exec, exec, s[4:5]
	v_add_u32_e32 v8, 0x100, v8
	v_cmp_le_i32_e32 vcc, s10, v8
	s_or_b64 s[2:3], vcc, s[2:3]
	s_andn2_b64 exec, exec, s[2:3]
	s_cbranch_execnz .LBB2_150
.LBB2_153:
	s_or_b64 exec, exec, s[0:1]
	s_mul_i32 s0, s8, s27
	s_sub_i32 s0, s30, s0
	s_add_i32 s1, s8, 1
	s_sub_i32 s2, s0, s27
	s_cmp_ge_u32 s0, s27
	s_cselect_b32 s1, s1, s8
	s_cselect_b32 s0, s2, s0
	s_add_i32 s2, s1, 1
	s_cmp_ge_u32 s0, s27
	s_cselect_b32 s0, s2, s1
	s_add_i32 s0, s0, -1
	s_ashr_i32 s1, s0, 1
	s_or_b32 s0, s1, s0
	s_ashr_i32 s1, s0, 2
	s_or_b32 s0, s1, s0
	;; [unrolled: 2-line block ×5, first 2 shown]
	s_add_i32 s11, s11, 1
	s_ashr_i32 s12, s11, 1
	v_add_u32_e32 v2, s24, v0
	s_cmp_gt_i32 s12, 1
	s_mov_b64 s[0:1], -1
	s_barrier
	s_cbranch_scc1 .LBB2_164
; %bb.154:
	v_cmp_gt_i32_e32 vcc, s25, v2
	s_and_saveexec_b64 s[0:1], vcc
	s_cbranch_execz .LBB2_163
; %bb.155:
	s_sub_i32 s2, s9, s25
	s_lshl_b32 s2, s2, 2
	s_add_i32 s13, s2, 0x1000
	s_lshl_b32 s2, s33, 2
	s_sub_i32 s18, 0, s2
	s_mov_b64 s[2:3], 0
	v_mov_b32_e32 v3, s17
	v_mov_b32_e32 v10, s15
	;; [unrolled: 1-line block ×3, first 2 shown]
.LBB2_156:                              ; =>This Loop Header: Depth=1
                                        ;     Child Loop BB2_158 Depth 2
                                        ;     Child Loop BB2_161 Depth 2
	v_ashrrev_i32_e32 v5, 31, v4
	v_lshlrev_b64 v[6:7], 2, v[4:5]
	v_add_co_u32_e32 v8, vcc, s16, v6
	v_addc_co_u32_e32 v9, vcc, v3, v7, vcc
	global_load_dwordx2 v[8:9], v[8:9], off
	v_mov_b32_e32 v5, 0
	s_waitcnt vmcnt(0)
	v_cmp_lt_i32_e32 vcc, v8, v9
	s_and_saveexec_b64 s[4:5], vcc
	s_cbranch_execz .LBB2_160
; %bb.157:                              ;   in Loop: Header=BB2_156 Depth=1
	v_subrev_u32_e32 v9, s33, v9
	v_subrev_u32_e32 v11, s33, v8
	v_lshl_add_u32 v8, v8, 2, s18
	s_mov_b64 s[8:9], 0
	v_mov_b32_e32 v5, 0
.LBB2_158:                              ;   Parent Loop BB2_156 Depth=1
                                        ; =>  This Inner Loop Header: Depth=2
	ds_read_b32 v12, v8
	v_add_u32_e32 v11, 1, v11
	v_cmp_ge_i32_e32 vcc, v11, v9
	v_add_u32_e32 v8, 4, v8
	s_or_b64 s[8:9], vcc, s[8:9]
	s_waitcnt lgkmcnt(0)
	v_add_f32_e32 v5, v5, v12
	s_andn2_b64 exec, exec, s[8:9]
	s_cbranch_execnz .LBB2_158
; %bb.159:                              ;   in Loop: Header=BB2_156 Depth=1
	s_or_b64 exec, exec, s[8:9]
.LBB2_160:                              ;   in Loop: Header=BB2_156 Depth=1
	s_or_b64 exec, exec, s[4:5]
	v_add_co_u32_e32 v6, vcc, s14, v6
	v_addc_co_u32_e32 v7, vcc, v10, v7, vcc
	global_load_dword v9, v[6:7], off
	v_lshl_add_u32 v8, v4, 2, s13
	ds_read_b32 v8, v8
	s_mov_b64 s[4:5], 0
	s_waitcnt lgkmcnt(0)
	v_add_f32_e32 v5, v5, v8
.LBB2_161:                              ;   Parent Loop BB2_156 Depth=1
                                        ; =>  This Inner Loop Header: Depth=2
	s_waitcnt vmcnt(0)
	v_add_f32_e32 v8, v9, v5
	global_atomic_cmpswap v8, v[6:7], v[8:9], off glc
	s_waitcnt vmcnt(0)
	v_cmp_eq_u32_e32 vcc, v8, v9
	s_or_b64 s[4:5], vcc, s[4:5]
	v_mov_b32_e32 v9, v8
	s_andn2_b64 exec, exec, s[4:5]
	s_cbranch_execnz .LBB2_161
; %bb.162:                              ;   in Loop: Header=BB2_156 Depth=1
	s_or_b64 exec, exec, s[4:5]
	v_add_u32_e32 v4, s30, v4
	v_cmp_le_i32_e32 vcc, s25, v4
	s_or_b64 s[2:3], vcc, s[2:3]
	s_andn2_b64 exec, exec, s[2:3]
	s_cbranch_execnz .LBB2_156
.LBB2_163:
	s_or_b64 exec, exec, s[0:1]
	s_mov_b64 s[0:1], 0
.LBB2_164:
	s_andn2_b64 vcc, exec, s[0:1]
	s_cbranch_vccnz .LBB2_189
; %bb.165:
	v_cvt_f32_u32_e32 v3, s12
	s_sub_i32 s0, 0, s12
	v_mov_b32_e32 v8, 0
	v_rcp_iflag_f32_e32 v3, v3
	v_mul_f32_e32 v3, 0x4f7ffffe, v3
	v_cvt_u32_f32_e32 v3, v3
	v_mul_lo_u32 v4, s0, v3
	v_mul_hi_u32 v4, v3, v4
	v_add_u32_e32 v3, v3, v4
	v_mul_hi_u32 v3, v0, v3
	v_mul_lo_u32 v4, v3, s12
	v_sub_u32_e32 v4, v0, v4
	v_add_u32_e32 v5, 1, v3
	v_cmp_le_u32_e32 vcc, s12, v4
	v_cndmask_b32_e32 v3, v3, v5, vcc
	v_subrev_u32_e32 v5, s12, v4
	v_cndmask_b32_e32 v4, v4, v5, vcc
	v_add_u32_e32 v5, 1, v3
	v_cmp_le_u32_e32 vcc, s12, v4
	v_cndmask_b32_e32 v3, v3, v5, vcc
	v_lshlrev_b32_e32 v4, 2, v3
	global_load_dwordx2 v[6:7], v4, s[6:7]
	v_cmp_gt_i32_e32 vcc, s27, v3
	s_and_saveexec_b64 s[0:1], vcc
	s_cbranch_execz .LBB2_179
; %bb.166:
	s_abs_i32 s4, s12
	v_cvt_f32_u32_e32 v5, s4
	s_waitcnt vmcnt(0)
	v_subrev_u32_e32 v4, s33, v6
	v_subrev_u32_e32 v3, s33, v7
	v_sub_u32_e32 v7, v3, v4
	v_rcp_iflag_f32_e32 v5, v5
	s_sub_i32 s2, 0, s4
	v_sub_u32_e32 v8, 0, v7
	v_ashrrev_i32_e32 v10, 31, v7
	v_mul_f32_e32 v5, 0x4f7ffffe, v5
	v_cvt_u32_f32_e32 v5, v5
	v_max_i32_e32 v7, v7, v8
	s_ashr_i32 s5, s12, 31
	v_mul_lo_u32 v8, s2, v5
	v_mul_hi_u32 v8, v5, v8
	v_add_u32_e32 v5, v5, v8
	v_mad_u64_u32 v[8:9], s[2:3], v7, v5, 0
	v_mul_lo_u32 v8, v9, s4
	v_sub_u32_e32 v7, v7, v8
	v_add_u32_e32 v8, 1, v9
	v_cmp_le_u32_e32 vcc, s4, v7
	v_cndmask_b32_e32 v8, v9, v8, vcc
	v_subrev_u32_e32 v9, s4, v7
	v_cndmask_b32_e32 v7, v7, v9, vcc
	v_add_u32_e32 v9, 1, v8
	v_cmp_le_u32_e32 vcc, s4, v7
	v_xor_b32_e32 v5, s5, v10
	v_cndmask_b32_e32 v7, v8, v9, vcc
	v_xor_b32_e32 v7, v7, v5
	v_sub_u32_e32 v5, v7, v5
	s_add_i32 s2, s12, -1
	v_and_b32_e32 v7, s2, v0
	v_cmp_lt_i32_e32 vcc, 0, v5
	v_mov_b32_e32 v8, 0
	s_and_saveexec_b64 s[2:3], vcc
	s_cbranch_execz .LBB2_176
; %bb.167:
	v_cmp_lt_u32_e32 vcc, 7, v5
	v_mov_b32_e32 v9, 0
	v_mov_b32_e32 v8, 0
	s_and_saveexec_b64 s[4:5], vcc
	s_cbranch_execz .LBB2_171
; %bb.168:
	v_add_u32_e32 v8, v6, v7
	v_subrev_u32_e32 v8, s33, v8
	v_and_b32_e32 v9, 0x7ffffff8, v5
	v_lshlrev_b32_e32 v10, 2, v8
	s_lshl_b32 s8, s12, 5
	s_lshl_b32 s9, s12, 2
	s_mov_b32 s13, 0
	s_mov_b64 s[6:7], 0
	v_mov_b32_e32 v8, 0
.LBB2_169:                              ; =>This Inner Loop Header: Depth=1
	ds_read_b32 v11, v10
	v_add_u32_e32 v12, s9, v10
	v_add_u32_e32 v13, s9, v12
	ds_read_b32 v12, v12
	v_add_u32_e32 v14, s9, v13
	ds_read_b32 v13, v13
	;; [unrolled: 2-line block ×4, first 2 shown]
	s_waitcnt lgkmcnt(4)
	v_add_f32_e32 v8, v8, v11
	v_add_u32_e32 v11, s9, v16
	ds_read_b32 v16, v16
	ds_read_b32 v17, v11
	s_waitcnt lgkmcnt(5)
	v_add_f32_e32 v8, v8, v12
	v_add_u32_e32 v11, s9, v11
	s_waitcnt lgkmcnt(4)
	v_add_f32_e32 v8, v8, v13
	ds_read_b32 v11, v11
	s_waitcnt lgkmcnt(4)
	v_add_f32_e32 v8, v8, v14
	s_waitcnt lgkmcnt(3)
	v_add_f32_e32 v8, v8, v15
	s_add_i32 s13, s13, 8
	s_waitcnt lgkmcnt(2)
	v_add_f32_e32 v8, v8, v16
	v_cmp_eq_u32_e32 vcc, s13, v9
	s_waitcnt lgkmcnt(1)
	v_add_f32_e32 v8, v8, v17
	v_add_u32_e32 v10, s8, v10
	s_or_b64 s[6:7], vcc, s[6:7]
	s_waitcnt lgkmcnt(0)
	v_add_f32_e32 v8, v8, v11
	s_andn2_b64 exec, exec, s[6:7]
	s_cbranch_execnz .LBB2_169
; %bb.170:
	s_or_b64 exec, exec, s[6:7]
.LBB2_171:
	s_or_b64 exec, exec, s[4:5]
	v_and_b32_e32 v10, 7, v5
	v_cmp_ne_u32_e32 vcc, 0, v10
	s_and_saveexec_b64 s[4:5], vcc
	s_cbranch_execz .LBB2_175
; %bb.172:
	v_mul_lo_u32 v9, v9, s12
	v_add3_u32 v6, v6, v7, v9
	v_subrev_u32_e32 v6, s33, v6
	v_lshlrev_b32_e32 v6, 2, v6
	s_lshl_b32 s8, s12, 2
	s_mov_b64 s[6:7], 0
.LBB2_173:                              ; =>This Inner Loop Header: Depth=1
	ds_read_b32 v9, v6
	v_add_u32_e32 v10, -1, v10
	v_cmp_eq_u32_e32 vcc, 0, v10
	v_add_u32_e32 v6, s8, v6
	s_or_b64 s[6:7], vcc, s[6:7]
	s_waitcnt lgkmcnt(0)
	v_add_f32_e32 v8, v8, v9
	s_andn2_b64 exec, exec, s[6:7]
	s_cbranch_execnz .LBB2_173
; %bb.174:
	s_or_b64 exec, exec, s[6:7]
.LBB2_175:
	s_or_b64 exec, exec, s[4:5]
.LBB2_176:
	s_or_b64 exec, exec, s[2:3]
	v_mad_u64_u32 v[4:5], s[2:3], v5, s12, v[4:5]
	v_sub_u32_e32 v3, v3, v4
	v_cmp_lt_i32_e32 vcc, v7, v3
	s_and_saveexec_b64 s[2:3], vcc
	s_cbranch_execz .LBB2_178
; %bb.177:
	v_add_lshl_u32 v3, v4, v7, 2
	ds_read_b32 v3, v3
	s_waitcnt lgkmcnt(0)
	v_add_f32_e32 v8, v8, v3
.LBB2_178:
	s_or_b64 exec, exec, s[2:3]
.LBB2_179:
	s_or_b64 exec, exec, s[0:1]
	v_cmp_gt_i32_e32 vcc, s27, v0
	s_barrier
	ds_write_b32 v1, v8
	s_waitcnt lgkmcnt(0)
	s_barrier
	s_and_saveexec_b64 s[0:1], vcc
	s_cbranch_execz .LBB2_189
; %bb.180:
	s_cmp_lt_u32 s12, 8
	v_mul_lo_u32 v1, s12, v0
	s_cbranch_scc1 .LBB2_183
; %bb.181:
	s_and_b32 s0, s12, 0x7ffffff8
	v_lshlrev_b32_e32 v3, 2, v1
	s_mov_b32 s1, 0
	v_mov_b32_e32 v4, 0
.LBB2_182:                              ; =>This Inner Loop Header: Depth=1
	s_waitcnt vmcnt(0)
	ds_read2_b32 v[6:7], v3 offset1:1
	ds_read2_b32 v[8:9], v3 offset0:2 offset1:3
	ds_read2_b32 v[10:11], v3 offset0:4 offset1:5
	;; [unrolled: 1-line block ×3, first 2 shown]
	s_add_i32 s1, s1, 8
	s_waitcnt lgkmcnt(3)
	v_add_f32_e32 v4, v4, v6
	v_add_f32_e32 v4, v4, v7
	s_waitcnt lgkmcnt(2)
	v_add_f32_e32 v4, v4, v8
	v_add_f32_e32 v4, v4, v9
	;; [unrolled: 3-line block ×3, first 2 shown]
	s_waitcnt lgkmcnt(0)
	v_add_f32_e32 v4, v4, v12
	v_add_u32_e32 v3, 32, v3
	s_cmp_eq_u32 s0, s1
	v_add_f32_e32 v4, v4, v13
	s_cbranch_scc0 .LBB2_182
	s_branch .LBB2_184
.LBB2_183:
	s_mov_b32 s0, 0
	v_mov_b32_e32 v4, 0
.LBB2_184:
	s_bfe_u32 s1, s11, 0x30001
	s_cmp_eq_u32 s1, 0
	s_cbranch_scc1 .LBB2_187
; %bb.185:
	v_add_lshl_u32 v1, s0, v1, 2
.LBB2_186:                              ; =>This Inner Loop Header: Depth=1
	ds_read_b32 v3, v1
	s_add_i32 s1, s1, -1
	v_add_u32_e32 v1, 4, v1
	s_cmp_lg_u32 s1, 0
	s_waitcnt lgkmcnt(0)
	v_add_f32_e32 v4, v4, v3
	s_cbranch_scc1 .LBB2_186
.LBB2_187:
	v_ashrrev_i32_e32 v3, 31, v2
	v_lshlrev_b64 v[2:3], 2, v[2:3]
	v_mov_b32_e32 v1, s15
	v_add_co_u32_e32 v2, vcc, s14, v2
	v_addc_co_u32_e32 v3, vcc, v1, v3, vcc
	global_load_dword v1, v[2:3], off
	s_lshl_b32 s0, s10, 2
	s_addk_i32 s0, 0x1000
	v_lshl_add_u32 v0, v0, 2, s0
	ds_read_b32 v0, v0
	s_mov_b64 s[0:1], 0
	s_waitcnt lgkmcnt(0)
	v_add_f32_e32 v4, v4, v0
.LBB2_188:                              ; =>This Inner Loop Header: Depth=1
	s_waitcnt vmcnt(0)
	v_add_f32_e32 v0, v1, v4
	global_atomic_cmpswap v0, v[2:3], v[0:1], off glc
	s_waitcnt vmcnt(0)
	v_cmp_eq_u32_e32 vcc, v0, v1
	s_or_b64 s[0:1], vcc, s[0:1]
	v_mov_b32_e32 v1, v0
	s_andn2_b64 exec, exec, s[0:1]
	s_cbranch_execnz .LBB2_188
.LBB2_189:
	s_endpgm
	.section	.rodata,"a",@progbits
	.p2align	6, 0x0
	.amdhsa_kernel _ZN9rocsparseL27csrmvn_symm_adaptive_kernelIiiffffEEvbT_S1_PKS1_NS_24const_host_device_scalarIT4_EES3_PKT0_PKT1_PKT2_S6_PT3_21rocsparse_index_base_b
		.amdhsa_group_segment_fixed_size 4096
		.amdhsa_private_segment_fixed_size 0
		.amdhsa_kernarg_size 344
		.amdhsa_user_sgpr_count 6
		.amdhsa_user_sgpr_private_segment_buffer 1
		.amdhsa_user_sgpr_dispatch_ptr 0
		.amdhsa_user_sgpr_queue_ptr 0
		.amdhsa_user_sgpr_kernarg_segment_ptr 1
		.amdhsa_user_sgpr_dispatch_id 0
		.amdhsa_user_sgpr_flat_scratch_init 0
		.amdhsa_user_sgpr_kernarg_preload_length 0
		.amdhsa_user_sgpr_kernarg_preload_offset 0
		.amdhsa_user_sgpr_private_segment_size 0
		.amdhsa_uses_dynamic_stack 0
		.amdhsa_system_sgpr_private_segment_wavefront_offset 0
		.amdhsa_system_sgpr_workgroup_id_x 1
		.amdhsa_system_sgpr_workgroup_id_y 0
		.amdhsa_system_sgpr_workgroup_id_z 0
		.amdhsa_system_sgpr_workgroup_info 0
		.amdhsa_system_vgpr_workitem_id 0
		.amdhsa_next_free_vgpr 28
		.amdhsa_next_free_sgpr 49
		.amdhsa_accum_offset 28
		.amdhsa_reserve_vcc 1
		.amdhsa_reserve_flat_scratch 0
		.amdhsa_float_round_mode_32 0
		.amdhsa_float_round_mode_16_64 0
		.amdhsa_float_denorm_mode_32 3
		.amdhsa_float_denorm_mode_16_64 3
		.amdhsa_dx10_clamp 1
		.amdhsa_ieee_mode 1
		.amdhsa_fp16_overflow 0
		.amdhsa_tg_split 0
		.amdhsa_exception_fp_ieee_invalid_op 0
		.amdhsa_exception_fp_denorm_src 0
		.amdhsa_exception_fp_ieee_div_zero 0
		.amdhsa_exception_fp_ieee_overflow 0
		.amdhsa_exception_fp_ieee_underflow 0
		.amdhsa_exception_fp_ieee_inexact 0
		.amdhsa_exception_int_div_zero 0
	.end_amdhsa_kernel
	.section	.text._ZN9rocsparseL27csrmvn_symm_adaptive_kernelIiiffffEEvbT_S1_PKS1_NS_24const_host_device_scalarIT4_EES3_PKT0_PKT1_PKT2_S6_PT3_21rocsparse_index_base_b,"axG",@progbits,_ZN9rocsparseL27csrmvn_symm_adaptive_kernelIiiffffEEvbT_S1_PKS1_NS_24const_host_device_scalarIT4_EES3_PKT0_PKT1_PKT2_S6_PT3_21rocsparse_index_base_b,comdat
.Lfunc_end2:
	.size	_ZN9rocsparseL27csrmvn_symm_adaptive_kernelIiiffffEEvbT_S1_PKS1_NS_24const_host_device_scalarIT4_EES3_PKT0_PKT1_PKT2_S6_PT3_21rocsparse_index_base_b, .Lfunc_end2-_ZN9rocsparseL27csrmvn_symm_adaptive_kernelIiiffffEEvbT_S1_PKS1_NS_24const_host_device_scalarIT4_EES3_PKT0_PKT1_PKT2_S6_PT3_21rocsparse_index_base_b
                                        ; -- End function
	.section	.AMDGPU.csdata,"",@progbits
; Kernel info:
; codeLenInByte = 7632
; NumSgprs: 53
; NumVgprs: 28
; NumAgprs: 0
; TotalNumVgprs: 28
; ScratchSize: 0
; MemoryBound: 0
; FloatMode: 240
; IeeeMode: 1
; LDSByteSize: 4096 bytes/workgroup (compile time only)
; SGPRBlocks: 6
; VGPRBlocks: 3
; NumSGPRsForWavesPerEU: 53
; NumVGPRsForWavesPerEU: 28
; AccumOffset: 28
; Occupancy: 8
; WaveLimiterHint : 1
; COMPUTE_PGM_RSRC2:SCRATCH_EN: 0
; COMPUTE_PGM_RSRC2:USER_SGPR: 6
; COMPUTE_PGM_RSRC2:TRAP_HANDLER: 0
; COMPUTE_PGM_RSRC2:TGID_X_EN: 1
; COMPUTE_PGM_RSRC2:TGID_Y_EN: 0
; COMPUTE_PGM_RSRC2:TGID_Z_EN: 0
; COMPUTE_PGM_RSRC2:TIDIG_COMP_CNT: 0
; COMPUTE_PGM_RSRC3_GFX90A:ACCUM_OFFSET: 6
; COMPUTE_PGM_RSRC3_GFX90A:TG_SPLIT: 0
	.section	.text._ZL33csrmvn_symm_large_adaptive_kernelIiiffffEvbT_PKS0_N9rocsparse24const_host_device_scalarIT4_EES2_PKT0_PKT1_PKT2_S6_PT3_21rocsparse_index_base_b,"axG",@progbits,_ZL33csrmvn_symm_large_adaptive_kernelIiiffffEvbT_PKS0_N9rocsparse24const_host_device_scalarIT4_EES2_PKT0_PKT1_PKT2_S6_PT3_21rocsparse_index_base_b,comdat
	.globl	_ZL33csrmvn_symm_large_adaptive_kernelIiiffffEvbT_PKS0_N9rocsparse24const_host_device_scalarIT4_EES2_PKT0_PKT1_PKT2_S6_PT3_21rocsparse_index_base_b ; -- Begin function _ZL33csrmvn_symm_large_adaptive_kernelIiiffffEvbT_PKS0_N9rocsparse24const_host_device_scalarIT4_EES2_PKT0_PKT1_PKT2_S6_PT3_21rocsparse_index_base_b
	.p2align	8
	.type	_ZL33csrmvn_symm_large_adaptive_kernelIiiffffEvbT_PKS0_N9rocsparse24const_host_device_scalarIT4_EES2_PKT0_PKT1_PKT2_S6_PT3_21rocsparse_index_base_b,@function
_ZL33csrmvn_symm_large_adaptive_kernelIiiffffEvbT_PKS0_N9rocsparse24const_host_device_scalarIT4_EES2_PKT0_PKT1_PKT2_S6_PT3_21rocsparse_index_base_b: ; @_ZL33csrmvn_symm_large_adaptive_kernelIiiffffEvbT_PKS0_N9rocsparse24const_host_device_scalarIT4_EES2_PKT0_PKT1_PKT2_S6_PT3_21rocsparse_index_base_b
; %bb.0:
	s_load_dwordx2 s[20:21], s[4:5], 0x48
	s_load_dwordx2 s[22:23], s[4:5], 0x10
	;; [unrolled: 1-line block ×3, first 2 shown]
	s_waitcnt lgkmcnt(0)
	s_bitcmp1_b32 s21, 0
	s_cselect_b64 s[8:9], -1, 0
	s_xor_b64 s[2:3], s[8:9], -1
	s_and_b64 vcc, exec, s[8:9]
	s_cbranch_vccnz .LBB3_2
; %bb.1:
	s_load_dword s22, s[22:23], 0x0
.LBB3_2:
	s_andn2_b64 vcc, exec, s[2:3]
	s_cbranch_vccnz .LBB3_4
; %bb.3:
	s_load_dword s0, s[0:1], 0x0
.LBB3_4:
	s_waitcnt lgkmcnt(0)
	v_cmp_neq_f32_e64 s[2:3], s22, 0
	v_cmp_neq_f32_e64 s[0:1], s0, 1.0
	s_or_b64 s[0:1], s[2:3], s[0:1]
	s_andn2_b64 vcc, exec, s[0:1]
	s_cbranch_vccnz .LBB3_38
; %bb.5:
	s_load_dwordx2 s[0:1], s[4:5], 0x8
	s_ashr_i32 s7, s6, 31
	s_lshl_b64 s[2:3], s[6:7], 2
	v_lshlrev_b32_e32 v6, 2, v0
	v_mov_b32_e32 v1, 0
	s_waitcnt lgkmcnt(0)
	s_add_u32 s0, s0, s2
	s_addc_u32 s1, s1, s3
	ds_write2st64_b32 v6, v1, v1 offset1:4
	ds_write2st64_b32 v6, v1, v1 offset0:8 offset1:12
	s_waitcnt lgkmcnt(0)
	s_barrier
	s_load_dwordx2 s[24:25], s[0:1], 0x0
	s_load_dwordx8 s[12:19], s[4:5], 0x18
	s_load_dwordx2 s[26:27], s[4:5], 0x40
	s_waitcnt lgkmcnt(0)
	s_cmp_lt_i32 s24, s25
	s_cbranch_scc1 .LBB3_7
; %bb.6:
	s_ashr_i32 s1, s24, 31
	s_mov_b32 s0, s24
	s_lshl_b64 s[0:1], s[0:1], 2
	s_add_u32 s0, s12, s0
	s_addc_u32 s1, s13, s1
	s_load_dword s21, s[0:1], 0x0
	v_subrev_u32_e32 v7, s20, v0
	s_cbranch_execz .LBB3_8
	s_branch .LBB3_28
.LBB3_7:
                                        ; implicit-def: $sgpr21
	v_subrev_u32_e32 v7, s20, v0
.LBB3_8:
	s_ashr_i32 s11, s24, 31
	s_mov_b32 s10, s24
	s_lshl_b64 s[10:11], s[10:11], 2
	s_add_u32 s10, s12, s10
	s_addc_u32 s11, s13, s11
	s_waitcnt lgkmcnt(0)
	s_load_dword s21, s[10:11], 0x0
	s_movk_i32 s0, 0x100
	s_add_u32 s23, s12, 4
	v_cmp_gt_u32_e64 s[0:1], s0, v0
	v_cmp_gt_u32_e64 s[2:3], 64, v0
	;; [unrolled: 1-line block ×4, first 2 shown]
	v_cmp_eq_u32_e64 s[8:9], 0, v0
	s_addc_u32 s33, s13, 0
	v_mov_b32_e32 v8, s19
	v_mov_b32_e32 v9, 0
	s_waitcnt lgkmcnt(0)
	s_mov_b32 s29, s21
	s_mov_b32 s28, s24
	s_branch .LBB3_10
.LBB3_9:                                ;   in Loop: Header=BB3_10 Depth=1
	s_or_b64 exec, exec, s[10:11]
	s_add_i32 s28, s28, 1
	s_cmp_ge_i32 s28, s25
	s_cbranch_scc1 .LBB3_28
.LBB3_10:                               ; =>This Loop Header: Depth=1
                                        ;     Child Loop BB3_12 Depth 2
                                        ;     Child Loop BB3_27 Depth 2
	s_mov_b32 s34, s29
	s_ashr_i32 s29, s28, 31
	s_lshl_b64 s[30:31], s[28:29], 2
	s_add_u32 s10, s23, s30
	s_addc_u32 s11, s33, s31
	s_load_dword s29, s[10:11], 0x0
	v_add_u32_e32 v0, s34, v7
	v_mov_b32_e32 v1, 0
	s_waitcnt lgkmcnt(0)
	s_sub_i32 s38, s29, s20
	v_cmp_gt_i32_e32 vcc, s38, v0
	s_and_saveexec_b64 s[34:35], vcc
	s_cbranch_execz .LBB3_14
; %bb.11:                               ;   in Loop: Header=BB3_10 Depth=1
	v_ashrrev_i32_e32 v1, 31, v0
	v_lshlrev_b64 v[4:5], 2, v[0:1]
	v_mov_b32_e32 v1, s15
	v_add_co_u32_e32 v2, vcc, s14, v4
	v_addc_co_u32_e32 v3, vcc, v1, v5, vcc
	v_mov_b32_e32 v1, s17
	v_add_co_u32_e32 v4, vcc, s16, v4
	v_addc_co_u32_e32 v5, vcc, v1, v5, vcc
	s_mov_b64 s[36:37], 0
	v_mov_b32_e32 v1, 0
.LBB3_12:                               ;   Parent Loop BB3_10 Depth=1
                                        ; =>  This Inner Loop Header: Depth=2
	global_load_dword v10, v[2:3], off
	global_load_dword v12, v[4:5], off
	v_add_u32_e32 v0, 0x100, v0
	v_cmp_le_i32_e64 s[10:11], s38, v0
	s_or_b64 s[36:37], s[10:11], s[36:37]
	s_waitcnt vmcnt(1)
	v_subrev_u32_e32 v10, s20, v10
	v_ashrrev_i32_e32 v11, 31, v10
	v_lshlrev_b64 v[10:11], 2, v[10:11]
	v_add_co_u32_e32 v10, vcc, s18, v10
	v_addc_co_u32_e32 v11, vcc, v8, v11, vcc
	global_load_dword v10, v[10:11], off
	v_add_co_u32_e32 v2, vcc, 0x400, v2
	v_addc_co_u32_e32 v3, vcc, 0, v3, vcc
	v_add_co_u32_e32 v4, vcc, 0x400, v4
	v_addc_co_u32_e32 v5, vcc, 0, v5, vcc
	s_waitcnt vmcnt(0)
	v_fmac_f32_e32 v1, v12, v10
	s_andn2_b64 exec, exec, s[36:37]
	s_cbranch_execnz .LBB3_12
; %bb.13:                               ;   in Loop: Header=BB3_10 Depth=1
	s_or_b64 exec, exec, s[36:37]
.LBB3_14:                               ;   in Loop: Header=BB3_10 Depth=1
	s_or_b64 exec, exec, s[34:35]
	ds_write_b32 v6, v1
	s_waitcnt lgkmcnt(0)
	s_barrier
	s_and_saveexec_b64 s[10:11], s[0:1]
	s_cbranch_execz .LBB3_16
; %bb.15:                               ;   in Loop: Header=BB3_10 Depth=1
	ds_read2st64_b32 v[0:1], v6 offset1:4
	ds_read2st64_b32 v[2:3], v6 offset0:8 offset1:12
	s_waitcnt lgkmcnt(0)
	v_add_f32_e32 v1, v1, v2
	v_add_f32_e32 v1, v1, v3
	v_add_f32_e32 v0, v0, v1
	ds_write_b32 v6, v0
.LBB3_16:                               ;   in Loop: Header=BB3_10 Depth=1
	s_or_b64 exec, exec, s[10:11]
	s_waitcnt lgkmcnt(0)
	s_barrier
	s_and_saveexec_b64 s[10:11], s[2:3]
	s_cbranch_execz .LBB3_18
; %bb.17:                               ;   in Loop: Header=BB3_10 Depth=1
	ds_read2st64_b32 v[0:1], v6 offset1:1
	ds_read2st64_b32 v[2:3], v6 offset0:2 offset1:3
	s_waitcnt lgkmcnt(0)
	v_add_f32_e32 v1, v1, v2
	v_add_f32_e32 v1, v1, v3
	;; [unrolled: 1-line block ×3, first 2 shown]
	ds_write_b32 v6, v0
.LBB3_18:                               ;   in Loop: Header=BB3_10 Depth=1
	s_or_b64 exec, exec, s[10:11]
	s_waitcnt lgkmcnt(0)
	s_barrier
	s_and_saveexec_b64 s[10:11], s[4:5]
	s_cbranch_execz .LBB3_20
; %bb.19:                               ;   in Loop: Header=BB3_10 Depth=1
	ds_read2_b32 v[0:1], v6 offset1:16
	ds_read2_b32 v[2:3], v6 offset0:32 offset1:48
	s_waitcnt lgkmcnt(0)
	v_add_f32_e32 v1, v1, v2
	v_add_f32_e32 v1, v1, v3
	;; [unrolled: 1-line block ×3, first 2 shown]
	ds_write_b32 v6, v0
.LBB3_20:                               ;   in Loop: Header=BB3_10 Depth=1
	s_or_b64 exec, exec, s[10:11]
	s_waitcnt lgkmcnt(0)
	s_barrier
	s_and_saveexec_b64 s[10:11], s[6:7]
	s_cbranch_execz .LBB3_22
; %bb.21:                               ;   in Loop: Header=BB3_10 Depth=1
	ds_read2_b32 v[0:1], v6 offset1:4
	ds_read2_b32 v[2:3], v6 offset0:8 offset1:12
	s_waitcnt lgkmcnt(0)
	v_add_f32_e32 v1, v1, v2
	v_add_f32_e32 v1, v1, v3
	;; [unrolled: 1-line block ×3, first 2 shown]
	ds_write_b32 v6, v0
.LBB3_22:                               ;   in Loop: Header=BB3_10 Depth=1
	s_or_b64 exec, exec, s[10:11]
	s_waitcnt lgkmcnt(0)
	s_barrier
	s_and_saveexec_b64 s[10:11], s[8:9]
	s_cbranch_execz .LBB3_24
; %bb.23:                               ;   in Loop: Header=BB3_10 Depth=1
	ds_read2_b32 v[0:1], v9 offset0:1 offset1:2
	ds_read_b32 v2, v9 offset:12
	ds_read_b32 v3, v6
	s_waitcnt lgkmcnt(2)
	v_add_f32_e32 v0, v0, v1
	s_waitcnt lgkmcnt(1)
	v_add_f32_e32 v0, v0, v2
	;; [unrolled: 2-line block ×3, first 2 shown]
	ds_write_b32 v6, v0
.LBB3_24:                               ;   in Loop: Header=BB3_10 Depth=1
	s_or_b64 exec, exec, s[10:11]
	s_waitcnt lgkmcnt(0)
	s_barrier
	s_and_saveexec_b64 s[10:11], s[8:9]
	s_cbranch_execz .LBB3_9
; %bb.25:                               ;   in Loop: Header=BB3_10 Depth=1
	s_mov_b64 s[34:35], exec
	v_mbcnt_lo_u32_b32 v0, s34, 0
	v_mbcnt_hi_u32_b32 v0, s35, v0
	v_cmp_eq_u32_e32 vcc, 0, v0
	s_and_b64 s[36:37], exec, vcc
	s_mov_b64 exec, s[36:37]
	s_cbranch_execz .LBB3_9
; %bb.26:                               ;   in Loop: Header=BB3_10 Depth=1
	s_add_u32 s30, s26, s30
	s_addc_u32 s31, s27, s31
	global_load_dword v1, v9, s[30:31]
	ds_read_b32 v0, v9
	s_bcnt1_i32_b64 s34, s[34:35]
	v_cvt_f32_ubyte0_e32 v2, s34
	s_mov_b64 s[34:35], 0
	s_waitcnt lgkmcnt(0)
	v_mul_f32_e32 v0, s22, v0
	v_mul_f32_e32 v2, v0, v2
.LBB3_27:                               ;   Parent Loop BB3_10 Depth=1
                                        ; =>  This Inner Loop Header: Depth=2
	s_waitcnt vmcnt(0)
	v_add_f32_e32 v0, v1, v2
	global_atomic_cmpswap v0, v9, v[0:1], s[30:31] glc
	s_waitcnt vmcnt(0)
	v_cmp_eq_u32_e32 vcc, v0, v1
	s_or_b64 s[34:35], vcc, s[34:35]
	v_mov_b32_e32 v1, v0
	s_andn2_b64 exec, exec, s[34:35]
	s_cbranch_execnz .LBB3_27
	s_branch .LBB3_9
.LBB3_28:
	s_ashr_i32 s1, s25, 31
	s_mov_b32 s0, s25
	s_lshl_b64 s[0:1], s[0:1], 2
	s_add_u32 s0, s12, s0
	s_addc_u32 s1, s13, s1
	s_load_dword s0, s[0:1], 0x0
	s_waitcnt lgkmcnt(0)
	v_add_u32_e32 v0, s21, v7
	s_sub_i32 s8, s0, s20
	v_cmp_gt_i32_e32 vcc, s8, v0
	s_and_saveexec_b64 s[0:1], vcc
	s_cbranch_execz .LBB3_38
; %bb.29:
	s_add_i32 s9, s25, -1
	s_cmp_gt_i32 s9, s24
	s_cselect_b64 s[0:1], -1, 0
	s_add_i32 s2, s25, -2
	s_cmp_lg_u32 s2, s24
	s_cselect_b64 s[2:3], -1, 0
	s_and_b64 s[0:1], s[0:1], s[2:3]
	v_cndmask_b32_e64 v1, 0, 1, s[0:1]
	s_mov_b64 s[4:5], 0
	v_cmp_ne_u32_e64 s[0:1], 1, v1
	v_mov_b32_e32 v8, s13
	v_mov_b32_e32 v9, s15
	s_branch .LBB3_31
.LBB3_30:                               ;   in Loop: Header=BB3_31 Depth=1
	s_or_b64 exec, exec, s[2:3]
	v_add_u32_e32 v0, 0x100, v0
	v_cmp_le_i32_e32 vcc, s8, v0
	s_or_b64 s[4:5], vcc, s[4:5]
	s_andn2_b64 exec, exec, s[4:5]
	s_cbranch_execz .LBB3_38
.LBB3_31:                               ; =>This Loop Header: Depth=1
                                        ;     Child Loop BB3_33 Depth 2
                                        ;     Child Loop BB3_37 Depth 2
	s_and_b64 vcc, exec, s[0:1]
	v_mov_b32_e32 v6, s24
	v_mov_b32_e32 v2, s9
	s_cbranch_vccnz .LBB3_35
; %bb.32:                               ;   in Loop: Header=BB3_31 Depth=1
	s_mov_b64 s[6:7], 0
	v_mov_b32_e32 v6, s24
	v_mov_b32_e32 v2, s9
.LBB3_33:                               ;   Parent Loop BB3_31 Depth=1
                                        ; =>  This Inner Loop Header: Depth=2
	v_add_u32_e32 v1, v2, v6
	v_lshrrev_b32_e32 v4, 31, v1
	v_add_u32_e32 v1, v1, v4
	v_ashrrev_i32_e32 v4, 1, v1
	v_ashrrev_i32_e32 v5, 31, v4
	v_lshlrev_b64 v[10:11], 2, v[4:5]
	v_mov_b32_e32 v3, s13
	v_add_co_u32_e32 v10, vcc, s12, v10
	v_addc_co_u32_e32 v11, vcc, v3, v11, vcc
	global_load_dword v1, v[10:11], off
	s_waitcnt vmcnt(0)
	v_subrev_u32_e32 v1, s20, v1
	v_cmp_gt_i32_e32 vcc, v1, v0
	v_cndmask_b32_e32 v2, v2, v4, vcc
	v_cndmask_b32_e32 v6, v4, v6, vcc
	v_add_u32_e32 v1, -1, v2
	v_cmp_ge_i32_e32 vcc, v6, v2
	v_cmp_eq_u32_e64 s[2:3], v6, v1
	s_or_b64 s[2:3], vcc, s[2:3]
	s_and_b64 s[2:3], exec, s[2:3]
	s_or_b64 s[6:7], s[2:3], s[6:7]
	s_andn2_b64 exec, exec, s[6:7]
	s_cbranch_execnz .LBB3_33
; %bb.34:                               ;   in Loop: Header=BB3_31 Depth=1
	s_or_b64 exec, exec, s[6:7]
.LBB3_35:                               ;   in Loop: Header=BB3_31 Depth=1
	v_ashrrev_i32_e32 v3, 31, v2
	v_lshlrev_b64 v[4:5], 2, v[2:3]
	v_add_co_u32_e32 v4, vcc, s12, v4
	v_addc_co_u32_e32 v5, vcc, v8, v5, vcc
	v_ashrrev_i32_e32 v1, 31, v0
	global_load_dword v3, v[4:5], off
	v_lshlrev_b64 v[4:5], 2, v[0:1]
	v_add_co_u32_e32 v10, vcc, s14, v4
	v_addc_co_u32_e32 v11, vcc, v9, v5, vcc
	global_load_dword v1, v[10:11], off
	s_waitcnt vmcnt(1)
	v_subrev_u32_e32 v3, s20, v3
	v_cmp_gt_i32_e32 vcc, v3, v0
	v_cndmask_b32_e32 v2, v2, v6, vcc
	s_waitcnt vmcnt(0)
	v_subrev_u32_e32 v6, s20, v1
	v_cmp_ne_u32_e32 vcc, v6, v2
	s_and_saveexec_b64 s[2:3], vcc
	s_cbranch_execz .LBB3_30
; %bb.36:                               ;   in Loop: Header=BB3_31 Depth=1
	v_mov_b32_e32 v3, s17
	v_add_co_u32_e32 v4, vcc, s16, v4
	v_addc_co_u32_e32 v5, vcc, v3, v5, vcc
	v_ashrrev_i32_e32 v3, 31, v2
	v_lshlrev_b64 v[2:3], 2, v[2:3]
	v_ashrrev_i32_e32 v7, 31, v6
	global_load_dword v4, v[4:5], off
	v_mov_b32_e32 v5, s19
	v_add_co_u32_e32 v2, vcc, s18, v2
	v_lshlrev_b64 v[6:7], 2, v[6:7]
	v_addc_co_u32_e32 v3, vcc, v5, v3, vcc
	v_mov_b32_e32 v1, s27
	global_load_dword v10, v[2:3], off
	v_add_co_u32_e32 v2, vcc, s26, v6
	v_addc_co_u32_e32 v3, vcc, v1, v7, vcc
	global_load_dword v5, v[2:3], off
	s_mov_b64 s[6:7], 0
	s_waitcnt vmcnt(2)
	v_mul_f32_e32 v1, s22, v4
	s_waitcnt vmcnt(1)
	v_mul_f32_e32 v1, v1, v10
.LBB3_37:                               ;   Parent Loop BB3_31 Depth=1
                                        ; =>  This Inner Loop Header: Depth=2
	s_waitcnt vmcnt(0)
	v_add_f32_e32 v4, v5, v1
	global_atomic_cmpswap v4, v[2:3], v[4:5], off glc
	s_waitcnt vmcnt(0)
	v_cmp_eq_u32_e32 vcc, v4, v5
	s_or_b64 s[6:7], vcc, s[6:7]
	v_mov_b32_e32 v5, v4
	s_andn2_b64 exec, exec, s[6:7]
	s_cbranch_execnz .LBB3_37
	s_branch .LBB3_30
.LBB3_38:
	s_endpgm
	.section	.rodata,"a",@progbits
	.p2align	6, 0x0
	.amdhsa_kernel _ZL33csrmvn_symm_large_adaptive_kernelIiiffffEvbT_PKS0_N9rocsparse24const_host_device_scalarIT4_EES2_PKT0_PKT1_PKT2_S6_PT3_21rocsparse_index_base_b
		.amdhsa_group_segment_fixed_size 4096
		.amdhsa_private_segment_fixed_size 0
		.amdhsa_kernarg_size 80
		.amdhsa_user_sgpr_count 6
		.amdhsa_user_sgpr_private_segment_buffer 1
		.amdhsa_user_sgpr_dispatch_ptr 0
		.amdhsa_user_sgpr_queue_ptr 0
		.amdhsa_user_sgpr_kernarg_segment_ptr 1
		.amdhsa_user_sgpr_dispatch_id 0
		.amdhsa_user_sgpr_flat_scratch_init 0
		.amdhsa_user_sgpr_kernarg_preload_length 0
		.amdhsa_user_sgpr_kernarg_preload_offset 0
		.amdhsa_user_sgpr_private_segment_size 0
		.amdhsa_uses_dynamic_stack 0
		.amdhsa_system_sgpr_private_segment_wavefront_offset 0
		.amdhsa_system_sgpr_workgroup_id_x 1
		.amdhsa_system_sgpr_workgroup_id_y 0
		.amdhsa_system_sgpr_workgroup_id_z 0
		.amdhsa_system_sgpr_workgroup_info 0
		.amdhsa_system_vgpr_workitem_id 0
		.amdhsa_next_free_vgpr 13
		.amdhsa_next_free_sgpr 39
		.amdhsa_accum_offset 16
		.amdhsa_reserve_vcc 1
		.amdhsa_reserve_flat_scratch 0
		.amdhsa_float_round_mode_32 0
		.amdhsa_float_round_mode_16_64 0
		.amdhsa_float_denorm_mode_32 3
		.amdhsa_float_denorm_mode_16_64 3
		.amdhsa_dx10_clamp 1
		.amdhsa_ieee_mode 1
		.amdhsa_fp16_overflow 0
		.amdhsa_tg_split 0
		.amdhsa_exception_fp_ieee_invalid_op 0
		.amdhsa_exception_fp_denorm_src 0
		.amdhsa_exception_fp_ieee_div_zero 0
		.amdhsa_exception_fp_ieee_overflow 0
		.amdhsa_exception_fp_ieee_underflow 0
		.amdhsa_exception_fp_ieee_inexact 0
		.amdhsa_exception_int_div_zero 0
	.end_amdhsa_kernel
	.section	.text._ZL33csrmvn_symm_large_adaptive_kernelIiiffffEvbT_PKS0_N9rocsparse24const_host_device_scalarIT4_EES2_PKT0_PKT1_PKT2_S6_PT3_21rocsparse_index_base_b,"axG",@progbits,_ZL33csrmvn_symm_large_adaptive_kernelIiiffffEvbT_PKS0_N9rocsparse24const_host_device_scalarIT4_EES2_PKT0_PKT1_PKT2_S6_PT3_21rocsparse_index_base_b,comdat
.Lfunc_end3:
	.size	_ZL33csrmvn_symm_large_adaptive_kernelIiiffffEvbT_PKS0_N9rocsparse24const_host_device_scalarIT4_EES2_PKT0_PKT1_PKT2_S6_PT3_21rocsparse_index_base_b, .Lfunc_end3-_ZL33csrmvn_symm_large_adaptive_kernelIiiffffEvbT_PKS0_N9rocsparse24const_host_device_scalarIT4_EES2_PKT0_PKT1_PKT2_S6_PT3_21rocsparse_index_base_b
                                        ; -- End function
	.section	.AMDGPU.csdata,"",@progbits
; Kernel info:
; codeLenInByte = 1576
; NumSgprs: 43
; NumVgprs: 13
; NumAgprs: 0
; TotalNumVgprs: 13
; ScratchSize: 0
; MemoryBound: 0
; FloatMode: 240
; IeeeMode: 1
; LDSByteSize: 4096 bytes/workgroup (compile time only)
; SGPRBlocks: 5
; VGPRBlocks: 1
; NumSGPRsForWavesPerEU: 43
; NumVGPRsForWavesPerEU: 13
; AccumOffset: 16
; Occupancy: 8
; WaveLimiterHint : 1
; COMPUTE_PGM_RSRC2:SCRATCH_EN: 0
; COMPUTE_PGM_RSRC2:USER_SGPR: 6
; COMPUTE_PGM_RSRC2:TRAP_HANDLER: 0
; COMPUTE_PGM_RSRC2:TGID_X_EN: 1
; COMPUTE_PGM_RSRC2:TGID_Y_EN: 0
; COMPUTE_PGM_RSRC2:TGID_Z_EN: 0
; COMPUTE_PGM_RSRC2:TIDIG_COMP_CNT: 0
; COMPUTE_PGM_RSRC3_GFX90A:ACCUM_OFFSET: 3
; COMPUTE_PGM_RSRC3_GFX90A:TG_SPLIT: 0
	.section	.text._ZN9rocsparseL22csrmvn_adaptive_kernelIliffffEEvbT_PKS1_PjPKT0_NS_24const_host_device_scalarIT4_EES3_S7_PKT1_PKT2_SA_PT3_21rocsparse_index_base_b,"axG",@progbits,_ZN9rocsparseL22csrmvn_adaptive_kernelIliffffEEvbT_PKS1_PjPKT0_NS_24const_host_device_scalarIT4_EES3_S7_PKT1_PKT2_SA_PT3_21rocsparse_index_base_b,comdat
	.globl	_ZN9rocsparseL22csrmvn_adaptive_kernelIliffffEEvbT_PKS1_PjPKT0_NS_24const_host_device_scalarIT4_EES3_S7_PKT1_PKT2_SA_PT3_21rocsparse_index_base_b ; -- Begin function _ZN9rocsparseL22csrmvn_adaptive_kernelIliffffEEvbT_PKS1_PjPKT0_NS_24const_host_device_scalarIT4_EES3_S7_PKT1_PKT2_SA_PT3_21rocsparse_index_base_b
	.p2align	8
	.type	_ZN9rocsparseL22csrmvn_adaptive_kernelIliffffEEvbT_PKS1_PjPKT0_NS_24const_host_device_scalarIT4_EES3_S7_PKT1_PKT2_SA_PT3_21rocsparse_index_base_b,@function
_ZN9rocsparseL22csrmvn_adaptive_kernelIliffffEEvbT_PKS1_PjPKT0_NS_24const_host_device_scalarIT4_EES3_S7_PKT1_PKT2_SA_PT3_21rocsparse_index_base_b: ; @_ZN9rocsparseL22csrmvn_adaptive_kernelIliffffEEvbT_PKS1_PjPKT0_NS_24const_host_device_scalarIT4_EES3_S7_PKT1_PKT2_SA_PT3_21rocsparse_index_base_b
; %bb.0:
	s_load_dwordx2 s[48:49], s[4:5], 0x60
	s_load_dwordx2 s[46:47], s[4:5], 0x28
	;; [unrolled: 1-line block ×3, first 2 shown]
	s_waitcnt lgkmcnt(0)
	s_bitcmp1_b32 s49, 0
	s_cselect_b64 s[2:3], -1, 0
	s_xor_b64 s[0:1], s[2:3], -1
	s_and_b64 vcc, exec, s[2:3]
	s_cbranch_vccnz .LBB4_2
; %bb.1:
	s_load_dword s46, s[46:47], 0x0
.LBB4_2:
	s_andn2_b64 vcc, exec, s[0:1]
	s_cbranch_vccnz .LBB4_4
; %bb.3:
	s_load_dword s34, s[34:35], 0x0
.LBB4_4:
	s_waitcnt lgkmcnt(0)
	v_cmp_neq_f32_e64 s[0:1], s46, 0
	v_cmp_neq_f32_e64 s[2:3], s34, 1.0
	s_or_b64 s[0:1], s[0:1], s[2:3]
	s_andn2_b64 vcc, exec, s[0:1]
	s_cbranch_vccnz .LBB4_121
; %bb.5:
	s_load_dwordx2 s[0:1], s[4:5], 0x10
	s_load_dwordx2 s[8:9], s[4:5], 0x20
	s_ashr_i32 s7, s6, 31
	s_lshl_b64 s[2:3], s[6:7], 3
	s_waitcnt lgkmcnt(0)
	s_add_u32 s0, s0, s2
	s_addc_u32 s1, s1, s3
	s_load_dwordx4 s[36:39], s[0:1], 0x0
	s_load_dwordx2 s[40:41], s[4:5], 0x58
	s_load_dwordx8 s[24:31], s[4:5], 0x30
	s_lshl_b64 s[50:51], s[6:7], 2
	s_waitcnt lgkmcnt(0)
	s_sub_i32 s2, s38, s36
	s_add_u32 s0, s8, s50
	s_addc_u32 s1, s9, s51
	s_lshl_b64 s[8:9], s[36:37], 3
	s_add_u32 s42, s24, s8
	s_addc_u32 s43, s25, s9
	s_load_dword s33, s[0:1], 0x0
	s_load_dwordx2 s[44:45], s[42:43], 0x0
	s_cmp_lt_i32 s2, 2
	s_mov_b64 s[0:1], -1
	s_cbranch_scc0 .LBB4_72
; %bb.6:
	s_cmp_lg_u32 s2, 1
	s_cselect_b64 s[0:1], -1, 0
	s_waitcnt lgkmcnt(0)
	s_cmp_lg_u32 s33, 0
	s_cselect_b64 s[2:3], -1, 0
	s_or_b64 s[2:3], s[0:1], s[2:3]
	s_mov_b64 s[0:1], -1
	s_and_b64 vcc, exec, s[2:3]
	s_cbranch_vccnz .LBB4_35
; %bb.7:
	v_pk_mov_b32 v[2:3], s[36:37], s[36:37] op_sel:[0,1]
	v_cmp_le_i64_e32 vcc, s[38:39], v[2:3]
	s_cbranch_vccnz .LBB4_34
; %bb.8:
	v_subrev_co_u32_e32 v1, vcc, s48, v0
	v_subb_co_u32_e64 v10, s[0:1], 0, 0, vcc
	v_cmp_neq_f32_e64 s[20:21], s34, 0
	s_movk_i32 s0, 0x80
	s_add_u32 s7, s24, 8
	v_cndmask_b32_e64 v2, 0, 1, s[20:21]
	v_lshlrev_b32_e32 v11, 2, v0
	v_cmp_gt_u32_e64 s[0:1], s0, v0
	v_cmp_gt_u32_e64 s[2:3], 64, v0
	v_cmp_gt_u32_e64 s[8:9], 32, v0
	v_cmp_gt_u32_e64 s[10:11], 16, v0
	v_cmp_gt_u32_e64 s[12:13], 8, v0
	v_cmp_gt_u32_e64 s[14:15], 4, v0
	v_cmp_gt_u32_e64 s[16:17], 2, v0
	v_cmp_eq_u32_e64 s[18:19], 0, v0
	s_addc_u32 s35, s25, 0
	v_mov_b32_e32 v12, s31
	s_movk_i32 s47, 0x100
	v_mov_b32_e32 v13, 0
	v_cmp_ne_u32_e64 s[20:21], 1, v2
	v_pk_mov_b32 v[2:3], s[38:39], s[38:39] op_sel:[0,1]
	s_mov_b64 s[54:55], s[44:45]
	s_mov_b64 s[52:53], s[36:37]
	s_branch .LBB4_11
.LBB4_9:                                ;   in Loop: Header=BB4_11 Depth=1
	s_lshl_b64 s[56:57], s[52:53], 2
	s_add_u32 s56, s40, s56
	s_addc_u32 s57, s41, s57
	s_waitcnt lgkmcnt(0)
	global_store_dword v13, v4, s[56:57]
.LBB4_10:                               ;   in Loop: Header=BB4_11 Depth=1
	s_or_b64 exec, exec, s[22:23]
	s_add_u32 s52, s52, 1
	s_addc_u32 s53, s53, 0
	v_cmp_ge_i64_e32 vcc, s[52:53], v[2:3]
	s_cbranch_vccnz .LBB4_34
.LBB4_11:                               ; =>This Loop Header: Depth=1
                                        ;     Child Loop BB4_13 Depth 2
	s_mov_b64 s[22:23], s[54:55]
	s_lshl_b64 s[54:55], s[52:53], 3
	s_add_u32 s54, s7, s54
	s_addc_u32 s55, s35, s55
	s_load_dwordx2 s[54:55], s[54:55], 0x0
	v_mov_b32_e32 v5, s23
	v_add_co_u32_e32 v4, vcc, s22, v1
	v_addc_co_u32_e32 v5, vcc, v5, v10, vcc
	s_waitcnt lgkmcnt(0)
	s_sub_u32 s56, s54, s48
	s_subb_u32 s57, s55, 0
	v_cmp_gt_i64_e32 vcc, s[56:57], v[4:5]
	v_mov_b32_e32 v14, 0
	s_and_saveexec_b64 s[58:59], vcc
	s_cbranch_execz .LBB4_15
; %bb.12:                               ;   in Loop: Header=BB4_11 Depth=1
	v_lshlrev_b64 v[8:9], 2, v[4:5]
	v_mov_b32_e32 v7, s29
	v_add_co_u32_e32 v6, vcc, s28, v8
	v_addc_co_u32_e32 v7, vcc, v7, v9, vcc
	v_mov_b32_e32 v14, s27
	v_add_co_u32_e32 v8, vcc, s26, v8
	v_addc_co_u32_e32 v9, vcc, v14, v9, vcc
	s_mov_b64 s[60:61], 0
	v_mov_b32_e32 v14, 0
.LBB4_13:                               ;   Parent Loop BB4_11 Depth=1
                                        ; =>  This Inner Loop Header: Depth=2
	global_load_dword v15, v[8:9], off
	global_load_dword v18, v[6:7], off
	s_waitcnt vmcnt(1)
	v_subrev_u32_e32 v16, s48, v15
	v_ashrrev_i32_e32 v17, 31, v16
	v_lshlrev_b64 v[16:17], 2, v[16:17]
	v_add_co_u32_e32 v16, vcc, s30, v16
	v_addc_co_u32_e32 v17, vcc, v12, v17, vcc
	global_load_dword v15, v[16:17], off
	v_add_co_u32_e32 v4, vcc, s47, v4
	v_addc_co_u32_e32 v5, vcc, 0, v5, vcc
	v_add_co_u32_e32 v6, vcc, 0x400, v6
	v_addc_co_u32_e32 v7, vcc, 0, v7, vcc
	v_add_co_u32_e32 v8, vcc, 0x400, v8
	v_cmp_le_i64_e64 s[22:23], s[56:57], v[4:5]
	s_waitcnt vmcnt(1)
	v_mul_f32_e32 v16, s46, v18
	v_addc_co_u32_e32 v9, vcc, 0, v9, vcc
	s_or_b64 s[60:61], s[22:23], s[60:61]
	s_waitcnt vmcnt(0)
	v_fmac_f32_e32 v14, v16, v15
	s_andn2_b64 exec, exec, s[60:61]
	s_cbranch_execnz .LBB4_13
; %bb.14:                               ;   in Loop: Header=BB4_11 Depth=1
	s_or_b64 exec, exec, s[60:61]
.LBB4_15:                               ;   in Loop: Header=BB4_11 Depth=1
	s_or_b64 exec, exec, s[58:59]
	ds_write_b32 v11, v14
	s_waitcnt lgkmcnt(0)
	s_barrier
	s_and_saveexec_b64 s[22:23], s[0:1]
	s_cbranch_execz .LBB4_17
; %bb.16:                               ;   in Loop: Header=BB4_11 Depth=1
	ds_read2st64_b32 v[4:5], v11 offset1:2
	s_waitcnt lgkmcnt(0)
	v_add_f32_e32 v4, v4, v5
	ds_write_b32 v11, v4
.LBB4_17:                               ;   in Loop: Header=BB4_11 Depth=1
	s_or_b64 exec, exec, s[22:23]
	s_waitcnt lgkmcnt(0)
	s_barrier
	s_and_saveexec_b64 s[22:23], s[2:3]
	s_cbranch_execz .LBB4_19
; %bb.18:                               ;   in Loop: Header=BB4_11 Depth=1
	ds_read2st64_b32 v[4:5], v11 offset1:1
	s_waitcnt lgkmcnt(0)
	v_add_f32_e32 v4, v4, v5
	ds_write_b32 v11, v4
.LBB4_19:                               ;   in Loop: Header=BB4_11 Depth=1
	s_or_b64 exec, exec, s[22:23]
	s_waitcnt lgkmcnt(0)
	s_barrier
	s_and_saveexec_b64 s[22:23], s[8:9]
	s_cbranch_execz .LBB4_21
; %bb.20:                               ;   in Loop: Header=BB4_11 Depth=1
	ds_read2_b32 v[4:5], v11 offset1:32
	s_waitcnt lgkmcnt(0)
	v_add_f32_e32 v4, v4, v5
	ds_write_b32 v11, v4
.LBB4_21:                               ;   in Loop: Header=BB4_11 Depth=1
	s_or_b64 exec, exec, s[22:23]
	s_waitcnt lgkmcnt(0)
	s_barrier
	s_and_saveexec_b64 s[22:23], s[10:11]
	s_cbranch_execz .LBB4_23
; %bb.22:                               ;   in Loop: Header=BB4_11 Depth=1
	ds_read2_b32 v[4:5], v11 offset1:16
	s_waitcnt lgkmcnt(0)
	v_add_f32_e32 v4, v4, v5
	ds_write_b32 v11, v4
.LBB4_23:                               ;   in Loop: Header=BB4_11 Depth=1
	;; [unrolled: 11-line block ×5, first 2 shown]
	s_or_b64 exec, exec, s[22:23]
	s_waitcnt lgkmcnt(0)
	s_barrier
	s_and_saveexec_b64 s[22:23], s[18:19]
	s_cbranch_execz .LBB4_31
; %bb.30:                               ;   in Loop: Header=BB4_11 Depth=1
	ds_read_b64 v[4:5], v13
	s_waitcnt lgkmcnt(0)
	v_add_f32_e32 v4, v4, v5
	ds_write_b32 v13, v4
.LBB4_31:                               ;   in Loop: Header=BB4_11 Depth=1
	s_or_b64 exec, exec, s[22:23]
	s_waitcnt lgkmcnt(0)
	s_barrier
	s_and_saveexec_b64 s[22:23], s[18:19]
	s_cbranch_execz .LBB4_10
; %bb.32:                               ;   in Loop: Header=BB4_11 Depth=1
	ds_read_b32 v4, v13
	s_and_b64 vcc, exec, s[20:21]
	s_cbranch_vccnz .LBB4_9
; %bb.33:                               ;   in Loop: Header=BB4_11 Depth=1
	s_lshl_b64 s[56:57], s[52:53], 2
	s_add_u32 s56, s40, s56
	s_addc_u32 s57, s41, s57
	global_load_dword v5, v13, s[56:57]
	s_waitcnt vmcnt(0) lgkmcnt(0)
	v_fmac_f32_e32 v4, s34, v5
	s_branch .LBB4_9
.LBB4_34:
	s_mov_b64 s[0:1], 0
.LBB4_35:
	s_andn2_b64 vcc, exec, s[0:1]
	s_cbranch_vccnz .LBB4_71
; %bb.36:
	s_load_dwordx2 s[8:9], s[4:5], 0x18
	s_sub_i32 s6, s6, s33
	v_or_b32_e32 v1, s33, v0
	v_cmp_eq_u32_e32 vcc, 0, v1
	v_mov_b32_e32 v1, 0
	s_waitcnt lgkmcnt(0)
	s_add_u32 s2, s8, s50
	s_addc_u32 s3, s9, s51
	s_load_dword s16, s[2:3], 0x0
	s_and_saveexec_b64 s[0:1], vcc
	s_cbranch_execz .LBB4_40
; %bb.37:
	s_lshl_b64 s[12:13], s[36:37], 2
	s_add_u32 s12, s40, s12
	s_addc_u32 s13, s41, s13
	s_load_dword s14, s[12:13], 0x0
	s_mov_b64 s[10:11], exec
	v_mbcnt_lo_u32_b32 v2, s10, 0
	v_mbcnt_hi_u32_b32 v2, s11, v2
	v_add_f32_e64 v1, s34, -1.0
	v_cmp_eq_u32_e32 vcc, 0, v2
	s_waitcnt vmcnt(0) expcnt(0) lgkmcnt(0)
	s_and_saveexec_b64 s[12:13], vcc
	s_cbranch_execz .LBB4_39
; %bb.38:
	s_ashr_i32 s7, s6, 31
	s_lshl_b64 s[18:19], s[6:7], 2
	s_add_u32 s18, s8, s18
	s_addc_u32 s19, s9, s19
	s_bcnt1_i32_b64 s7, s[10:11]
	s_and_b32 s7, s7, 1
	v_mov_b32_e32 v2, 0
	v_mov_b32_e32 v3, s7
	global_atomic_xor v2, v3, s[18:19]
.LBB4_39:
	s_or_b64 exec, exec, s[12:13]
	v_mul_f32_e32 v1, s14, v1
.LBB4_40:
	s_or_b64 exec, exec, s[0:1]
	s_load_dwordx2 s[0:1], s[42:43], 0x8
	s_sub_u32 s11, s44, s48
	s_mul_i32 s7, s33, 0xc00
	s_subb_u32 s12, s45, 0
	s_mul_hi_i32 s10, s33, 0xc00
	s_add_u32 s7, s11, s7
	s_addc_u32 s12, s12, s10
	s_waitcnt lgkmcnt(0)
	s_sub_u32 s0, s0, s48
	v_mov_b32_e32 v3, s12
	v_add_co_u32_e32 v2, vcc, s7, v0
	s_subb_u32 s1, s1, 0
	v_addc_co_u32_e32 v3, vcc, 0, v3, vcc
	v_cmp_gt_i64_e32 vcc, s[0:1], v[2:3]
	s_and_saveexec_b64 s[10:11], vcc
	s_cbranch_execz .LBB4_44
; %bb.41:
	s_add_u32 s14, s7, 0xc00
	s_addc_u32 s15, s12, 0
	v_pk_mov_b32 v[4:5], s[0:1], s[0:1] op_sel:[0,1]
	v_cmp_lt_i64_e32 vcc, s[14:15], v[4:5]
	v_lshlrev_b64 v[6:7], 2, v[2:3]
	s_and_b64 s[12:13], vcc, exec
	v_mov_b32_e32 v5, s29
	v_add_co_u32_e32 v4, vcc, s28, v6
	v_addc_co_u32_e32 v5, vcc, v5, v7, vcc
	v_mov_b32_e32 v8, s27
	v_add_co_u32_e32 v6, vcc, s26, v6
	s_cselect_b32 s13, s15, s1
	s_cselect_b32 s12, s14, s0
	v_addc_co_u32_e32 v7, vcc, v8, v7, vcc
	s_mov_b64 s[14:15], 0
	v_mov_b32_e32 v8, s31
	s_movk_i32 s7, 0x100
.LBB4_42:                               ; =>This Inner Loop Header: Depth=1
	global_load_dword v9, v[6:7], off
	global_load_dword v12, v[4:5], off
	s_waitcnt vmcnt(1)
	v_subrev_u32_e32 v10, s48, v9
	v_ashrrev_i32_e32 v11, 31, v10
	v_lshlrev_b64 v[10:11], 2, v[10:11]
	v_add_co_u32_e32 v10, vcc, s30, v10
	v_addc_co_u32_e32 v11, vcc, v8, v11, vcc
	global_load_dword v9, v[10:11], off
	v_add_co_u32_e32 v2, vcc, s7, v2
	v_addc_co_u32_e32 v3, vcc, 0, v3, vcc
	v_add_co_u32_e32 v4, vcc, 0x400, v4
	v_addc_co_u32_e32 v5, vcc, 0, v5, vcc
	v_add_co_u32_e32 v6, vcc, 0x400, v6
	v_cmp_le_i64_e64 s[0:1], s[12:13], v[2:3]
	s_waitcnt vmcnt(1)
	v_mul_f32_e32 v10, s46, v12
	v_addc_co_u32_e32 v7, vcc, 0, v7, vcc
	s_or_b64 s[14:15], s[0:1], s[14:15]
	s_waitcnt vmcnt(0)
	v_fmac_f32_e32 v1, v10, v9
	s_andn2_b64 exec, exec, s[14:15]
	s_cbranch_execnz .LBB4_42
; %bb.43:
	s_or_b64 exec, exec, s[14:15]
.LBB4_44:
	s_or_b64 exec, exec, s[10:11]
	s_movk_i32 s0, 0x80
	v_lshlrev_b32_e32 v2, 2, v0
	v_cmp_gt_u32_e32 vcc, s0, v0
	ds_write_b32 v2, v1
	s_waitcnt lgkmcnt(0)
	s_barrier
	s_and_saveexec_b64 s[0:1], vcc
	s_cbranch_execz .LBB4_46
; %bb.45:
	ds_read2st64_b32 v[4:5], v2 offset1:2
	s_waitcnt lgkmcnt(0)
	v_add_f32_e32 v1, v4, v5
	ds_write_b32 v2, v1
.LBB4_46:
	s_or_b64 exec, exec, s[0:1]
	v_cmp_gt_u32_e32 vcc, 64, v0
	s_waitcnt lgkmcnt(0)
	s_barrier
	s_and_saveexec_b64 s[0:1], vcc
	s_cbranch_execz .LBB4_48
; %bb.47:
	ds_read2st64_b32 v[4:5], v2 offset1:1
	s_waitcnt lgkmcnt(0)
	v_add_f32_e32 v1, v4, v5
	ds_write_b32 v2, v1
.LBB4_48:
	s_or_b64 exec, exec, s[0:1]
	v_cmp_gt_u32_e32 vcc, 32, v0
	s_waitcnt lgkmcnt(0)
	s_barrier
	s_and_saveexec_b64 s[0:1], vcc
	s_cbranch_execz .LBB4_50
; %bb.49:
	ds_read2_b32 v[4:5], v2 offset1:32
	s_waitcnt lgkmcnt(0)
	v_add_f32_e32 v1, v4, v5
	ds_write_b32 v2, v1
.LBB4_50:
	s_or_b64 exec, exec, s[0:1]
	v_cmp_gt_u32_e32 vcc, 16, v0
	s_waitcnt lgkmcnt(0)
	s_barrier
	s_and_saveexec_b64 s[0:1], vcc
	s_cbranch_execz .LBB4_52
; %bb.51:
	ds_read2_b32 v[4:5], v2 offset1:16
	s_waitcnt lgkmcnt(0)
	v_add_f32_e32 v1, v4, v5
	ds_write_b32 v2, v1
.LBB4_52:
	;; [unrolled: 12-line block ×5, first 2 shown]
	s_or_b64 exec, exec, s[0:1]
	v_cmp_eq_u32_e32 vcc, 0, v0
	s_waitcnt lgkmcnt(0)
	s_barrier
	s_and_saveexec_b64 s[0:1], vcc
	s_cbranch_execz .LBB4_60
; %bb.59:
	v_mov_b32_e32 v1, 0
	ds_read_b64 v[2:3], v1
	s_waitcnt lgkmcnt(0)
	v_add_f32_e32 v2, v2, v3
	ds_write_b32 v1, v2
.LBB4_60:
	s_or_b64 exec, exec, s[0:1]
	s_waitcnt lgkmcnt(0)
	s_barrier
	s_and_saveexec_b64 s[0:1], vcc
	s_cbranch_execz .LBB4_70
; %bb.61:
	s_cmp_eq_u32 s33, 0
	s_cbranch_scc1 .LBB4_67
; %bb.62:
	s_ashr_i32 s7, s6, 31
	s_lshl_b64 s[6:7], s[6:7], 2
	s_add_u32 s6, s8, s6
	s_addc_u32 s7, s9, s7
	v_mov_b32_e32 v1, 0
	s_branch .LBB4_64
.LBB4_63:                               ;   in Loop: Header=BB4_64 Depth=1
	s_or_b64 exec, exec, s[8:9]
	s_waitcnt vmcnt(0)
	v_readfirstlane_b32 s8, v2
	s_cmp_eq_u32 s8, s16
	s_cbranch_scc0 .LBB4_66
.LBB4_64:                               ; =>This Inner Loop Header: Depth=1
	v_mbcnt_lo_u32_b32 v2, exec_lo, 0
	v_mbcnt_hi_u32_b32 v2, exec_hi, v2
	v_cmp_eq_u32_e32 vcc, 0, v2
                                        ; implicit-def: $vgpr2
	s_and_saveexec_b64 s[8:9], vcc
	s_cbranch_execz .LBB4_63
; %bb.65:                               ;   in Loop: Header=BB4_64 Depth=1
	global_load_dword v2, v1, s[6:7] glc
	s_branch .LBB4_63
.LBB4_66:
	v_mov_b32_e32 v1, 0
	global_load_dword v2, v1, s[2:3]
	s_waitcnt vmcnt(0)
	v_xor_b32_e32 v2, 1, v2
	global_store_dword v1, v2, s[2:3]
.LBB4_67:
	s_mov_b64 s[6:7], exec
	v_mbcnt_lo_u32_b32 v1, s6, 0
	v_mbcnt_hi_u32_b32 v1, s7, v1
	v_cmp_eq_u32_e32 vcc, 0, v1
	s_and_b64 s[2:3], exec, vcc
	s_mov_b64 exec, s[2:3]
	s_cbranch_execz .LBB4_70
; %bb.68:
	s_lshl_b64 s[2:3], s[36:37], 2
	s_add_u32 s2, s40, s2
	s_addc_u32 s3, s41, s3
	v_mov_b32_e32 v1, 0
	global_load_dword v3, v1, s[2:3]
	ds_read_b32 v2, v1
	s_bcnt1_i32_b64 s6, s[6:7]
	v_cvt_f32_ubyte0_e32 v4, s6
	s_mov_b64 s[6:7], 0
	s_waitcnt lgkmcnt(0)
	v_mul_f32_e32 v4, v2, v4
.LBB4_69:                               ; =>This Inner Loop Header: Depth=1
	s_waitcnt vmcnt(0)
	v_add_f32_e32 v2, v3, v4
	global_atomic_cmpswap v2, v1, v[2:3], s[2:3] glc
	s_waitcnt vmcnt(0)
	v_cmp_eq_u32_e32 vcc, v2, v3
	s_or_b64 s[6:7], vcc, s[6:7]
	v_mov_b32_e32 v3, v2
	s_andn2_b64 exec, exec, s[6:7]
	s_cbranch_execnz .LBB4_69
.LBB4_70:
	s_or_b64 exec, exec, s[0:1]
.LBB4_71:
	s_mov_b64 s[0:1], 0
.LBB4_72:
	s_andn2_b64 vcc, exec, s[0:1]
	s_cbranch_vccnz .LBB4_121
; %bb.73:
	s_load_dwordx2 s[0:1], s[4:5], 0x8
	v_subrev_co_u32_e32 v1, vcc, s48, v0
	v_subb_co_u32_e64 v2, s[2:3], 0, 0, vcc
	s_waitcnt lgkmcnt(0)
	v_mov_b32_e32 v3, s45
	v_add_co_u32_e32 v4, vcc, s44, v1
	v_addc_co_u32_e32 v5, vcc, v3, v2, vcc
	v_add_co_u32_e32 v2, vcc, 0x300, v4
	v_addc_co_u32_e32 v3, vcc, 0, v5, vcc
	s_mov_b32 s16, 0
	v_cmp_le_i64_e32 vcc, s[0:1], v[2:3]
	s_and_saveexec_b64 s[0:1], vcc
	s_xor_b64 s[2:3], exec, s[0:1]
	s_cbranch_execz .LBB4_83
; %bb.74:
	s_lshl_b64 s[0:1], s[38:39], 3
	s_add_u32 s0, s24, s0
	s_addc_u32 s1, s25, s1
	s_load_dwordx2 s[0:1], s[0:1], 0x0
	s_waitcnt lgkmcnt(0)
	s_sub_u32 s4, s0, s48
	s_subb_u32 s5, s1, 0
	v_cmp_gt_i64_e32 vcc, s[4:5], v[4:5]
	s_and_saveexec_b64 s[6:7], vcc
	s_cbranch_execz .LBB4_82
; %bb.75:
	v_mov_b32_e32 v1, s45
	v_add_co_u32_e32 v2, vcc, s44, v0
	v_addc_co_u32_e32 v1, vcc, 0, v1, vcc
	v_mov_b32_e32 v3, s16
	v_subrev_co_u32_e32 v2, vcc, s48, v2
	v_subb_co_u32_e32 v1, vcc, v1, v3, vcc
	v_add_co_u32_e32 v2, vcc, 0x100, v2
	v_addc_co_u32_e32 v3, vcc, 0, v1, vcc
	v_mov_b32_e32 v1, s5
	v_cmp_lt_i64_e32 vcc, s[4:5], v[2:3]
	s_not_b64 s[0:1], s[44:45]
	v_cndmask_b32_e32 v1, v1, v3, vcc
	v_mov_b32_e32 v3, s4
	s_add_u32 s0, s0, s48
	v_cndmask_b32_e32 v2, v3, v2, vcc
	s_addc_u32 s1, s1, 0
	v_mov_b32_e32 v3, s1
	v_add_co_u32_e32 v2, vcc, s0, v2
	v_addc_co_u32_e32 v1, vcc, v3, v1, vcc
	v_sub_co_u32_e32 v2, vcc, v2, v0
	v_subbrev_co_u32_e32 v3, vcc, 0, v1, vcc
	s_mov_b64 s[0:1], 0xff
	s_mov_b64 s[8:9], 0x100
	v_cmp_lt_u64_e32 vcc, s[0:1], v[2:3]
	s_mov_b64 s[0:1], -1
	v_pk_mov_b32 v[10:11], 0, 0
	s_and_saveexec_b64 s[10:11], vcc
	s_cbranch_execz .LBB4_79
; %bb.76:
	v_lshrrev_b64 v[2:3], 8, v[2:3]
	v_add_co_u32_e32 v6, vcc, 1, v2
	v_addc_co_u32_e32 v7, vcc, 0, v3, vcc
	v_and_b32_e32 v8, -2, v6
	v_mov_b32_e32 v9, v7
	v_mov_b32_e32 v2, v4
	;; [unrolled: 1-line block ×3, first 2 shown]
	s_mov_b32 s47, s46
	s_mov_b32 s17, s48
	;; [unrolled: 1-line block ×3, first 2 shown]
	v_mov_b32_e32 v1, v0
	s_mov_b64 s[12:13], 0
	v_mov_b32_e32 v12, s29
	v_mov_b32_e32 v13, s27
	;; [unrolled: 1-line block ×3, first 2 shown]
	v_pk_mov_b32 v[10:11], v[8:9], v[8:9] op_sel:[0,1]
	s_mov_b64 s[14:15], 0
.LBB4_77:                               ; =>This Inner Loop Header: Depth=1
	v_mov_b32_e32 v17, s15
	v_add_co_u32_e32 v16, vcc, s14, v4
	v_addc_co_u32_e32 v17, vcc, v17, v5, vcc
	v_mov_b32_e32 v15, s9
	v_add_co_u32_e64 v18, s[0:1], s8, v2
	v_lshlrev_b64 v[16:17], 2, v[16:17]
	v_addc_co_u32_e64 v19, s[0:1], v15, v3, s[0:1]
	v_add_co_u32_e32 v20, vcc, s26, v16
	v_lshlrev_b64 v[18:19], 2, v[18:19]
	v_addc_co_u32_e32 v21, vcc, v13, v17, vcc
	v_add_co_u32_e32 v22, vcc, s26, v18
	v_addc_co_u32_e32 v23, vcc, v13, v19, vcc
	global_load_dword v15, v[20:21], off
	global_load_dword v24, v[22:23], off
	v_add_co_u32_e32 v16, vcc, s28, v16
	v_addc_co_u32_e32 v17, vcc, v12, v17, vcc
	v_add_co_u32_e32 v18, vcc, s28, v18
	v_addc_co_u32_e32 v19, vcc, v12, v19, vcc
	global_load_dword v20, v[16:17], off
	global_load_dword v21, v[18:19], off
	s_waitcnt vmcnt(3)
	v_subrev_u32_e32 v16, s17, v15
	v_ashrrev_i32_e32 v17, 31, v16
	s_waitcnt vmcnt(2)
	v_subrev_u32_e32 v18, s18, v24
	v_lshlrev_b64 v[16:17], 2, v[16:17]
	v_ashrrev_i32_e32 v19, 31, v18
	v_add_co_u32_e32 v16, vcc, s30, v16
	v_lshlrev_b64 v[18:19], 2, v[18:19]
	v_addc_co_u32_e32 v17, vcc, v14, v17, vcc
	v_add_co_u32_e32 v18, vcc, s30, v18
	v_addc_co_u32_e32 v19, vcc, v14, v19, vcc
	global_load_dword v22, v[16:17], off
	global_load_dword v23, v[18:19], off
	v_add_lshl_u32 v15, v0, s14, 2
	s_add_u32 s14, s14, 0x200
	v_add_co_u32_e32 v10, vcc, -2, v10
	s_addc_u32 s15, s15, 0
	v_add_lshl_u32 v18, v1, s8, 2
	v_addc_co_u32_e32 v11, vcc, -1, v11, vcc
	s_add_u32 s8, s8, 0x200
	v_cmp_eq_u64_e32 vcc, 0, v[10:11]
	s_addc_u32 s9, s9, 0
	s_waitcnt vmcnt(2)
	v_pk_mul_f32 v[16:17], s[46:47], v[20:21]
	s_or_b64 s[12:13], vcc, s[12:13]
	s_waitcnt vmcnt(0)
	v_pk_mul_f32 v[16:17], v[16:17], v[22:23]
	ds_write_b32 v15, v16
	ds_write_b32 v18, v17
	s_andn2_b64 exec, exec, s[12:13]
	s_cbranch_execnz .LBB4_77
; %bb.78:
	s_or_b64 exec, exec, s[12:13]
	v_cmp_ne_u64_e32 vcc, v[6:7], v[8:9]
	v_lshlrev_b64 v[10:11], 8, v[8:9]
	s_orn2_b64 s[0:1], vcc, exec
.LBB4_79:
	s_or_b64 exec, exec, s[10:11]
	s_and_b64 exec, exec, s[0:1]
	s_cbranch_execz .LBB4_82
; %bb.80:
	v_mov_b32_e32 v1, s45
	v_add_co_u32_e32 v2, vcc, s44, v10
	v_addc_co_u32_e32 v1, vcc, v11, v1, vcc
	v_add_co_u32_e32 v2, vcc, v2, v0
	v_addc_co_u32_e32 v1, vcc, 0, v1, vcc
	v_mov_b32_e32 v3, s16
	v_subrev_co_u32_e32 v2, vcc, s48, v2
	v_subb_co_u32_e32 v3, vcc, v1, v3, vcc
	v_lshlrev_b64 v[6:7], 2, v[2:3]
	v_mov_b32_e32 v5, s29
	v_add_co_u32_e32 v4, vcc, s28, v6
	v_addc_co_u32_e32 v5, vcc, v5, v7, vcc
	v_mov_b32_e32 v8, s27
	v_add_co_u32_e32 v6, vcc, s26, v6
	v_add_lshl_u32 v1, v0, v10, 2
	v_addc_co_u32_e32 v7, vcc, v8, v7, vcc
	s_mov_b64 s[8:9], 0
	v_mov_b32_e32 v8, s31
	s_movk_i32 s10, 0x100
.LBB4_81:                               ; =>This Inner Loop Header: Depth=1
	global_load_dword v9, v[6:7], off
	global_load_dword v12, v[4:5], off
	s_waitcnt vmcnt(1)
	v_subrev_u32_e32 v10, s48, v9
	v_ashrrev_i32_e32 v11, 31, v10
	v_lshlrev_b64 v[10:11], 2, v[10:11]
	v_add_co_u32_e32 v10, vcc, s30, v10
	v_addc_co_u32_e32 v11, vcc, v8, v11, vcc
	global_load_dword v9, v[10:11], off
	v_add_co_u32_e32 v2, vcc, s10, v2
	v_addc_co_u32_e32 v3, vcc, 0, v3, vcc
	v_add_co_u32_e32 v4, vcc, 0x400, v4
	v_addc_co_u32_e32 v5, vcc, 0, v5, vcc
	s_waitcnt vmcnt(1)
	v_mul_f32_e32 v10, s46, v12
	v_add_co_u32_e32 v6, vcc, 0x400, v6
	v_cmp_le_i64_e64 s[0:1], s[4:5], v[2:3]
	v_addc_co_u32_e32 v7, vcc, 0, v7, vcc
	s_or_b64 s[8:9], s[0:1], s[8:9]
	s_waitcnt vmcnt(0)
	v_mul_f32_e32 v9, v10, v9
	ds_write_b32 v1, v9
	v_add_u32_e32 v1, 0x400, v1
	s_andn2_b64 exec, exec, s[8:9]
	s_cbranch_execnz .LBB4_81
.LBB4_82:
	s_or_b64 exec, exec, s[6:7]
                                        ; implicit-def: $vgpr4_vgpr5
.LBB4_83:
	s_or_saveexec_b64 s[0:1], s[2:3]
	v_lshlrev_b32_e32 v1, 2, v0
	s_xor_b64 exec, exec, s[0:1]
	s_cbranch_execz .LBB4_85
; %bb.84:
	v_lshlrev_b64 v[2:3], 2, v[4:5]
	v_mov_b32_e32 v5, s27
	v_add_co_u32_e32 v4, vcc, s26, v2
	v_addc_co_u32_e32 v5, vcc, v5, v3, vcc
	global_load_dword v6, v[4:5], off
	global_load_dword v7, v[4:5], off offset:1024
	global_load_dword v8, v[4:5], off offset:2048
	;; [unrolled: 1-line block ×3, first 2 shown]
	v_mov_b32_e32 v4, s29
	v_add_co_u32_e32 v2, vcc, s28, v2
	v_addc_co_u32_e32 v3, vcc, v4, v3, vcc
	global_load_dword v11, v[2:3], off
	global_load_dword v12, v[2:3], off offset:1024
	global_load_dword v13, v[2:3], off offset:2048
	;; [unrolled: 1-line block ×3, first 2 shown]
	v_mov_b32_e32 v10, s31
	s_waitcnt vmcnt(7)
	v_subrev_u32_e32 v2, s48, v6
	v_ashrrev_i32_e32 v3, 31, v2
	s_waitcnt vmcnt(6)
	v_subrev_u32_e32 v4, s48, v7
	v_lshlrev_b64 v[2:3], 2, v[2:3]
	v_ashrrev_i32_e32 v5, 31, v4
	v_add_co_u32_e32 v2, vcc, s30, v2
	s_waitcnt vmcnt(5)
	v_subrev_u32_e32 v6, s48, v8
	v_lshlrev_b64 v[4:5], 2, v[4:5]
	v_addc_co_u32_e32 v3, vcc, v10, v3, vcc
	v_ashrrev_i32_e32 v7, 31, v6
	v_add_co_u32_e32 v4, vcc, s30, v4
	s_waitcnt vmcnt(4)
	v_subrev_u32_e32 v8, s48, v9
	v_lshlrev_b64 v[6:7], 2, v[6:7]
	v_addc_co_u32_e32 v5, vcc, v10, v5, vcc
	v_ashrrev_i32_e32 v9, 31, v8
	v_add_co_u32_e32 v6, vcc, s30, v6
	v_lshlrev_b64 v[8:9], 2, v[8:9]
	v_addc_co_u32_e32 v7, vcc, v10, v7, vcc
	v_add_co_u32_e32 v8, vcc, s30, v8
	v_addc_co_u32_e32 v9, vcc, v10, v9, vcc
	global_load_dword v10, v[2:3], off
	global_load_dword v15, v[4:5], off
	;; [unrolled: 1-line block ×4, first 2 shown]
	s_waitcnt vmcnt(7)
	v_mul_f32_e32 v2, s46, v11
	s_waitcnt vmcnt(6)
	v_mul_f32_e32 v3, s46, v12
	;; [unrolled: 2-line block ×8, first 2 shown]
	ds_write2st64_b32 v1, v2, v3 offset1:4
	ds_write2st64_b32 v1, v4, v5 offset0:8 offset1:12
.LBB4_85:
	s_or_b64 exec, exec, s[0:1]
	s_cmp_lt_i32 s33, 2
	s_mov_b64 s[0:1], -1
	s_waitcnt lgkmcnt(0)
	s_barrier
	s_cbranch_scc0 .LBB4_96
; %bb.86:
	v_mov_b32_e32 v2, s37
	v_add_co_u32_e32 v6, vcc, s36, v0
	v_addc_co_u32_e32 v7, vcc, 0, v2, vcc
	v_cmp_gt_i64_e32 vcc, s[38:39], v[6:7]
	s_and_saveexec_b64 s[0:1], vcc
	s_cbranch_execz .LBB4_95
; %bb.87:
	s_lshl_b32 s4, s44, 2
	v_cmp_neq_f32_e64 s[2:3], s34, 0
	s_sub_i32 s10, 0, s4
	s_mov_b64 s[4:5], 0
	v_mov_b32_e32 v8, s25
	v_mov_b32_e32 v9, s41
	s_branch .LBB4_89
.LBB4_88:                               ;   in Loop: Header=BB4_89 Depth=1
	v_add_co_u32_e32 v2, vcc, s40, v2
	v_addc_co_u32_e32 v3, vcc, v9, v3, vcc
	v_add_co_u32_e32 v6, vcc, 0x100, v6
	v_addc_co_u32_e32 v7, vcc, 0, v7, vcc
	v_cmp_le_i64_e32 vcc, s[38:39], v[6:7]
	s_or_b64 s[4:5], vcc, s[4:5]
	global_store_dword v[2:3], v4, off
	s_andn2_b64 exec, exec, s[4:5]
	s_cbranch_execz .LBB4_95
.LBB4_89:                               ; =>This Loop Header: Depth=1
                                        ;     Child Loop BB4_91 Depth 2
	v_lshlrev_b64 v[2:3], 3, v[6:7]
	v_add_co_u32_e32 v2, vcc, s24, v2
	v_addc_co_u32_e32 v3, vcc, v8, v3, vcc
	global_load_dwordx4 v[2:5], v[2:3], off
	s_waitcnt vmcnt(0)
	v_subrev_u32_e32 v3, s44, v2
	v_subrev_u32_e32 v5, s44, v4
	v_cmp_lt_i32_e32 vcc, v3, v5
	v_mov_b32_e32 v4, 0
	s_and_saveexec_b64 s[6:7], vcc
	s_cbranch_execz .LBB4_93
; %bb.90:                               ;   in Loop: Header=BB4_89 Depth=1
	v_lshl_add_u32 v2, v2, 2, s10
	s_mov_b64 s[8:9], 0
	v_mov_b32_e32 v4, 0
.LBB4_91:                               ;   Parent Loop BB4_89 Depth=1
                                        ; =>  This Inner Loop Header: Depth=2
	ds_read_b32 v10, v2
	v_add_u32_e32 v3, 1, v3
	v_cmp_ge_i32_e32 vcc, v3, v5
	v_add_u32_e32 v2, 4, v2
	s_or_b64 s[8:9], vcc, s[8:9]
	s_waitcnt lgkmcnt(0)
	v_add_f32_e32 v4, v4, v10
	s_andn2_b64 exec, exec, s[8:9]
	s_cbranch_execnz .LBB4_91
; %bb.92:                               ;   in Loop: Header=BB4_89 Depth=1
	s_or_b64 exec, exec, s[8:9]
.LBB4_93:                               ;   in Loop: Header=BB4_89 Depth=1
	s_or_b64 exec, exec, s[6:7]
	s_and_b64 vcc, exec, s[2:3]
	v_lshlrev_b64 v[2:3], 2, v[6:7]
	s_cbranch_vccz .LBB4_88
; %bb.94:                               ;   in Loop: Header=BB4_89 Depth=1
	v_mov_b32_e32 v5, s41
	v_add_co_u32_e32 v10, vcc, s40, v2
	v_addc_co_u32_e32 v11, vcc, v5, v3, vcc
	global_load_dword v5, v[10:11], off
	s_waitcnt vmcnt(0)
	v_fmac_f32_e32 v4, s34, v5
	s_branch .LBB4_88
.LBB4_95:
	s_or_b64 exec, exec, s[0:1]
	s_mov_b64 s[0:1], 0
.LBB4_96:
	s_andn2_b64 vcc, exec, s[0:1]
	s_cbranch_vccnz .LBB4_121
; %bb.97:
	s_flbit_i32_b32 s0, s33
	s_xor_b32 s0, s0, 31
	v_lshrrev_b32_e32 v4, s0, v0
	v_mov_b32_e32 v3, s37
	v_add_co_u32_e32 v2, vcc, s36, v4
	v_addc_co_u32_e32 v3, vcc, 0, v3, vcc
	s_add_i32 s0, s33, -1
	v_mov_b32_e32 v5, 0
	v_and_b32_e32 v0, s0, v0
	v_cmp_le_i64_e32 vcc, s[38:39], v[2:3]
	v_cmp_gt_i64_e64 s[0:1], s[38:39], v[2:3]
	s_and_saveexec_b64 s[2:3], s[0:1]
	s_cbranch_execz .LBB4_103
; %bb.98:
	v_lshlrev_b32_e32 v4, 3, v4
	global_load_dword v5, v4, s[42:43] offset:8
	global_load_dword v6, v4, s[42:43]
	s_waitcnt vmcnt(1)
	v_subrev_u32_e32 v4, s44, v5
	s_waitcnt vmcnt(0)
	v_subrev_u32_e32 v5, s44, v6
	v_add_u32_e32 v6, v0, v5
	v_cmp_lt_i32_e64 s[0:1], v6, v4
	v_mov_b32_e32 v5, 0
	s_and_saveexec_b64 s[4:5], s[0:1]
	s_cbranch_execz .LBB4_102
; %bb.99:
	v_lshlrev_b32_e32 v7, 2, v6
	s_lshl_b32 s8, s33, 2
	s_mov_b64 s[6:7], 0
	v_mov_b32_e32 v5, 0
.LBB4_100:                              ; =>This Inner Loop Header: Depth=1
	ds_read_b32 v8, v7
	v_add_u32_e32 v6, s33, v6
	v_cmp_ge_i32_e64 s[0:1], v6, v4
	v_add_u32_e32 v7, s8, v7
	s_or_b64 s[6:7], s[0:1], s[6:7]
	s_waitcnt lgkmcnt(0)
	v_add_f32_e32 v5, v5, v8
	s_andn2_b64 exec, exec, s[6:7]
	s_cbranch_execnz .LBB4_100
; %bb.101:
	s_or_b64 exec, exec, s[6:7]
.LBB4_102:
	s_or_b64 exec, exec, s[4:5]
.LBB4_103:
	s_or_b64 exec, exec, s[2:3]
	s_cmpk_lt_i32 s33, 0x81
	s_barrier
	ds_write_b32 v1, v5
	s_waitcnt lgkmcnt(0)
	s_barrier
	s_cbranch_scc1 .LBB4_105
; %bb.104:
	ds_read_b32 v4, v1 offset:512
	s_waitcnt lgkmcnt(0)
	s_barrier
	v_add_f32_e32 v5, v5, v4
	ds_write_b32 v1, v5
.LBB4_105:
	s_cmpk_lt_i32 s33, 0x41
	s_waitcnt lgkmcnt(0)
	s_barrier
	s_cbranch_scc1 .LBB4_107
; %bb.106:
	ds_read_b32 v4, v1 offset:256
	s_waitcnt lgkmcnt(0)
	s_barrier
	v_add_f32_e32 v5, v5, v4
	ds_write_b32 v1, v5
.LBB4_107:
	s_cmp_lt_i32 s33, 33
	s_waitcnt lgkmcnt(0)
	s_barrier
	s_cbranch_scc1 .LBB4_109
; %bb.108:
	ds_read_b32 v4, v1 offset:128
	s_waitcnt lgkmcnt(0)
	s_barrier
	v_add_f32_e32 v5, v5, v4
	ds_write_b32 v1, v5
.LBB4_109:
	s_cmp_lt_i32 s33, 17
	;; [unrolled: 11-line block ×4, first 2 shown]
	s_waitcnt lgkmcnt(0)
	s_barrier
	s_cbranch_scc1 .LBB4_115
; %bb.114:
	ds_read_b32 v4, v1 offset:16
	s_waitcnt lgkmcnt(0)
	s_barrier
	v_add_f32_e32 v5, v5, v4
	ds_write_b32 v1, v5
.LBB4_115:
	s_cmp_eq_u32 s33, 2
	s_waitcnt lgkmcnt(0)
	s_barrier
	s_cbranch_scc1 .LBB4_117
; %bb.116:
	ds_read_b32 v4, v1 offset:8
	s_waitcnt lgkmcnt(0)
	s_barrier
	v_add_f32_e32 v5, v5, v4
	ds_write_b32 v1, v5
.LBB4_117:
	s_waitcnt lgkmcnt(0)
	s_barrier
	ds_read_b32 v4, v1 offset:4
	v_cmp_eq_u32_e64 s[0:1], 0, v0
	s_xor_b64 s[2:3], vcc, -1
	s_and_b64 s[0:1], s[0:1], s[2:3]
	s_waitcnt lgkmcnt(0)
	v_add_f32_e32 v4, v5, v4
	s_barrier
	ds_write_b32 v1, v4
	s_and_saveexec_b64 s[2:3], s[0:1]
	s_cbranch_execz .LBB4_121
; %bb.118:
	v_cmp_eq_f32_e64 s[0:1], s34, 0
	s_and_b64 vcc, exec, s[0:1]
	v_lshlrev_b64 v[0:1], 2, v[2:3]
	s_cbranch_vccnz .LBB4_120
; %bb.119:
	v_mov_b32_e32 v3, s41
	v_add_co_u32_e32 v2, vcc, s40, v0
	v_addc_co_u32_e32 v3, vcc, v3, v1, vcc
	global_load_dword v2, v[2:3], off
	s_waitcnt vmcnt(0)
	v_fmac_f32_e32 v4, s34, v2
.LBB4_120:
	v_mov_b32_e32 v2, s41
	v_add_co_u32_e32 v0, vcc, s40, v0
	v_addc_co_u32_e32 v1, vcc, v2, v1, vcc
	global_store_dword v[0:1], v4, off
.LBB4_121:
	s_endpgm
	.section	.rodata,"a",@progbits
	.p2align	6, 0x0
	.amdhsa_kernel _ZN9rocsparseL22csrmvn_adaptive_kernelIliffffEEvbT_PKS1_PjPKT0_NS_24const_host_device_scalarIT4_EES3_S7_PKT1_PKT2_SA_PT3_21rocsparse_index_base_b
		.amdhsa_group_segment_fixed_size 4096
		.amdhsa_private_segment_fixed_size 0
		.amdhsa_kernarg_size 104
		.amdhsa_user_sgpr_count 6
		.amdhsa_user_sgpr_private_segment_buffer 1
		.amdhsa_user_sgpr_dispatch_ptr 0
		.amdhsa_user_sgpr_queue_ptr 0
		.amdhsa_user_sgpr_kernarg_segment_ptr 1
		.amdhsa_user_sgpr_dispatch_id 0
		.amdhsa_user_sgpr_flat_scratch_init 0
		.amdhsa_user_sgpr_kernarg_preload_length 0
		.amdhsa_user_sgpr_kernarg_preload_offset 0
		.amdhsa_user_sgpr_private_segment_size 0
		.amdhsa_uses_dynamic_stack 0
		.amdhsa_system_sgpr_private_segment_wavefront_offset 0
		.amdhsa_system_sgpr_workgroup_id_x 1
		.amdhsa_system_sgpr_workgroup_id_y 0
		.amdhsa_system_sgpr_workgroup_id_z 0
		.amdhsa_system_sgpr_workgroup_info 0
		.amdhsa_system_vgpr_workitem_id 0
		.amdhsa_next_free_vgpr 25
		.amdhsa_next_free_sgpr 62
		.amdhsa_accum_offset 28
		.amdhsa_reserve_vcc 1
		.amdhsa_reserve_flat_scratch 0
		.amdhsa_float_round_mode_32 0
		.amdhsa_float_round_mode_16_64 0
		.amdhsa_float_denorm_mode_32 3
		.amdhsa_float_denorm_mode_16_64 3
		.amdhsa_dx10_clamp 1
		.amdhsa_ieee_mode 1
		.amdhsa_fp16_overflow 0
		.amdhsa_tg_split 0
		.amdhsa_exception_fp_ieee_invalid_op 0
		.amdhsa_exception_fp_denorm_src 0
		.amdhsa_exception_fp_ieee_div_zero 0
		.amdhsa_exception_fp_ieee_overflow 0
		.amdhsa_exception_fp_ieee_underflow 0
		.amdhsa_exception_fp_ieee_inexact 0
		.amdhsa_exception_int_div_zero 0
	.end_amdhsa_kernel
	.section	.text._ZN9rocsparseL22csrmvn_adaptive_kernelIliffffEEvbT_PKS1_PjPKT0_NS_24const_host_device_scalarIT4_EES3_S7_PKT1_PKT2_SA_PT3_21rocsparse_index_base_b,"axG",@progbits,_ZN9rocsparseL22csrmvn_adaptive_kernelIliffffEEvbT_PKS1_PjPKT0_NS_24const_host_device_scalarIT4_EES3_S7_PKT1_PKT2_SA_PT3_21rocsparse_index_base_b,comdat
.Lfunc_end4:
	.size	_ZN9rocsparseL22csrmvn_adaptive_kernelIliffffEEvbT_PKS1_PjPKT0_NS_24const_host_device_scalarIT4_EES3_S7_PKT1_PKT2_SA_PT3_21rocsparse_index_base_b, .Lfunc_end4-_ZN9rocsparseL22csrmvn_adaptive_kernelIliffffEEvbT_PKS1_PjPKT0_NS_24const_host_device_scalarIT4_EES3_S7_PKT1_PKT2_SA_PT3_21rocsparse_index_base_b
                                        ; -- End function
	.section	.AMDGPU.csdata,"",@progbits
; Kernel info:
; codeLenInByte = 4420
; NumSgprs: 66
; NumVgprs: 25
; NumAgprs: 0
; TotalNumVgprs: 25
; ScratchSize: 0
; MemoryBound: 0
; FloatMode: 240
; IeeeMode: 1
; LDSByteSize: 4096 bytes/workgroup (compile time only)
; SGPRBlocks: 8
; VGPRBlocks: 3
; NumSGPRsForWavesPerEU: 66
; NumVGPRsForWavesPerEU: 25
; AccumOffset: 28
; Occupancy: 8
; WaveLimiterHint : 1
; COMPUTE_PGM_RSRC2:SCRATCH_EN: 0
; COMPUTE_PGM_RSRC2:USER_SGPR: 6
; COMPUTE_PGM_RSRC2:TRAP_HANDLER: 0
; COMPUTE_PGM_RSRC2:TGID_X_EN: 1
; COMPUTE_PGM_RSRC2:TGID_Y_EN: 0
; COMPUTE_PGM_RSRC2:TGID_Z_EN: 0
; COMPUTE_PGM_RSRC2:TIDIG_COMP_CNT: 0
; COMPUTE_PGM_RSRC3_GFX90A:ACCUM_OFFSET: 6
; COMPUTE_PGM_RSRC3_GFX90A:TG_SPLIT: 0
	.section	.text._ZN9rocsparseL27csrmvn_symm_adaptive_kernelIliffffEEvbT_S1_PKS1_NS_24const_host_device_scalarIT4_EES3_PKT0_PKT1_PKT2_S6_PT3_21rocsparse_index_base_b,"axG",@progbits,_ZN9rocsparseL27csrmvn_symm_adaptive_kernelIliffffEEvbT_S1_PKS1_NS_24const_host_device_scalarIT4_EES3_PKT0_PKT1_PKT2_S6_PT3_21rocsparse_index_base_b,comdat
	.globl	_ZN9rocsparseL27csrmvn_symm_adaptive_kernelIliffffEEvbT_S1_PKS1_NS_24const_host_device_scalarIT4_EES3_PKT0_PKT1_PKT2_S6_PT3_21rocsparse_index_base_b ; -- Begin function _ZN9rocsparseL27csrmvn_symm_adaptive_kernelIliffffEEvbT_S1_PKS1_NS_24const_host_device_scalarIT4_EES3_PKT0_PKT1_PKT2_S6_PT3_21rocsparse_index_base_b
	.p2align	8
	.type	_ZN9rocsparseL27csrmvn_symm_adaptive_kernelIliffffEEvbT_S1_PKS1_NS_24const_host_device_scalarIT4_EES3_PKT0_PKT1_PKT2_S6_PT3_21rocsparse_index_base_b,@function
_ZN9rocsparseL27csrmvn_symm_adaptive_kernelIliffffEEvbT_S1_PKS1_NS_24const_host_device_scalarIT4_EES3_PKT0_PKT1_PKT2_S6_PT3_21rocsparse_index_base_b: ; @_ZN9rocsparseL27csrmvn_symm_adaptive_kernelIliffffEEvbT_S1_PKS1_NS_24const_host_device_scalarIT4_EES3_PKT0_PKT1_PKT2_S6_PT3_21rocsparse_index_base_b
; %bb.0:
	s_load_dwordx2 s[30:31], s[4:5], 0x58
	s_load_dwordx2 s[36:37], s[4:5], 0x20
	;; [unrolled: 1-line block ×3, first 2 shown]
	s_waitcnt lgkmcnt(0)
	s_bitcmp1_b32 s31, 0
	s_cselect_b64 s[8:9], -1, 0
	s_xor_b64 s[2:3], s[8:9], -1
	s_and_b64 vcc, exec, s[8:9]
	s_cbranch_vccnz .LBB5_2
; %bb.1:
	s_load_dword s36, s[36:37], 0x0
.LBB5_2:
	s_andn2_b64 vcc, exec, s[2:3]
	s_cbranch_vccnz .LBB5_4
; %bb.3:
	s_load_dword s0, s[0:1], 0x0
.LBB5_4:
	s_waitcnt lgkmcnt(0)
	v_cmp_neq_f32_e64 s[2:3], s36, 0
	v_cmp_neq_f32_e64 s[0:1], s0, 1.0
	s_or_b64 s[0:1], s[2:3], s[0:1]
	s_andn2_b64 vcc, exec, s[0:1]
	s_cbranch_vccnz .LBB5_179
; %bb.5:
	s_load_dwordx2 s[0:1], s[4:5], 0x18
	s_ashr_i32 s7, s6, 31
	s_lshl_b64 s[2:3], s[6:7], 3
	v_lshlrev_b32_e32 v18, 2, v0
	v_mov_b32_e32 v1, 0
	s_waitcnt lgkmcnt(0)
	s_add_u32 s0, s0, s2
	s_addc_u32 s1, s1, s3
	ds_write2st64_b32 v18, v1, v1 offset1:4
	ds_write2st64_b32 v18, v1, v1 offset0:8 offset1:12
	s_waitcnt lgkmcnt(0)
	s_barrier
	s_load_dwordx4 s[24:27], s[0:1], 0x0
	s_load_dwordx8 s[16:23], s[4:5], 0x28
	s_load_dwordx2 s[14:15], s[4:5], 0x50
	s_mov_b64 s[0:1], -1
	s_waitcnt lgkmcnt(0)
	s_sub_u32 s28, s26, s24
	s_subb_u32 s29, s27, s25
	v_cmp_gt_i64_e64 s[2:3], s[28:29], 2
	s_and_b64 vcc, exec, s[2:3]
	s_cbranch_vccnz .LBB5_40
; %bb.6:
	v_pk_mov_b32 v[2:3], s[24:25], s[24:25] op_sel:[0,1]
	v_cmp_gt_i64_e32 vcc, s[26:27], v[2:3]
	v_subrev_co_u32_e64 v1, s[0:1], s30, v0
	s_mov_b32 s31, 0
	v_subb_co_u32_e64 v10, s[0:1], 0, 0, s[0:1]
	s_cbranch_vccnz .LBB5_8
; %bb.7:
	s_lshl_b64 s[0:1], s[24:25], 3
	s_add_u32 s0, s16, s0
	s_addc_u32 s1, s17, s1
	s_load_dwordx2 s[34:35], s[0:1], 0x0
	s_cbranch_execz .LBB5_9
	s_branch .LBB5_29
.LBB5_8:
                                        ; implicit-def: $sgpr34_sgpr35
.LBB5_9:
	s_lshl_b64 s[12:13], s[24:25], 3
	s_add_u32 s12, s16, s12
	s_addc_u32 s13, s17, s13
	s_waitcnt lgkmcnt(0)
	s_load_dwordx2 s[34:35], s[12:13], 0x0
	s_movk_i32 s33, 0x100
	s_add_u32 s37, s16, 8
	v_cmp_gt_u32_e64 s[0:1], s33, v0
	v_cmp_gt_u32_e64 s[2:3], 64, v0
	;; [unrolled: 1-line block ×4, first 2 shown]
	v_cmp_eq_u32_e64 s[10:11], 0, v0
	s_addc_u32 s48, s17, 0
	v_mov_b32_e32 v11, s23
	v_mov_b32_e32 v12, 0
	v_pk_mov_b32 v[2:3], s[26:27], s[26:27] op_sel:[0,1]
	s_waitcnt lgkmcnt(0)
	s_mov_b64 s[40:41], s[34:35]
	s_mov_b64 s[38:39], s[24:25]
	s_branch .LBB5_11
.LBB5_10:                               ;   in Loop: Header=BB5_11 Depth=1
	s_or_b64 exec, exec, s[12:13]
	s_add_u32 s38, s38, 1
	s_addc_u32 s39, s39, 0
	v_cmp_ge_i64_e32 vcc, s[38:39], v[2:3]
	s_cbranch_vccnz .LBB5_29
.LBB5_11:                               ; =>This Loop Header: Depth=1
                                        ;     Child Loop BB5_13 Depth 2
                                        ;     Child Loop BB5_28 Depth 2
	s_mov_b64 s[12:13], s[40:41]
	s_lshl_b64 s[40:41], s[38:39], 3
	s_add_u32 s40, s37, s40
	s_addc_u32 s41, s48, s41
	s_load_dwordx2 s[40:41], s[40:41], 0x0
	v_mov_b32_e32 v5, s13
	v_add_co_u32_e32 v4, vcc, s12, v1
	v_addc_co_u32_e32 v5, vcc, v5, v10, vcc
	s_waitcnt lgkmcnt(0)
	s_sub_u32 s42, s40, s30
	s_subb_u32 s43, s41, 0
	v_cmp_gt_i64_e32 vcc, s[42:43], v[4:5]
	v_mov_b32_e32 v13, 0
	s_and_saveexec_b64 s[44:45], vcc
	s_cbranch_execz .LBB5_15
; %bb.12:                               ;   in Loop: Header=BB5_11 Depth=1
	v_lshlrev_b64 v[8:9], 2, v[4:5]
	v_mov_b32_e32 v7, s19
	v_add_co_u32_e32 v6, vcc, s18, v8
	v_addc_co_u32_e32 v7, vcc, v7, v9, vcc
	v_mov_b32_e32 v13, s21
	v_add_co_u32_e32 v8, vcc, s20, v8
	v_addc_co_u32_e32 v9, vcc, v13, v9, vcc
	s_mov_b64 s[46:47], 0
	v_mov_b32_e32 v13, 0
.LBB5_13:                               ;   Parent Loop BB5_11 Depth=1
                                        ; =>  This Inner Loop Header: Depth=2
	global_load_dword v14, v[6:7], off
	global_load_dword v16, v[8:9], off
	s_waitcnt vmcnt(1)
	v_subrev_u32_e32 v14, s30, v14
	v_ashrrev_i32_e32 v15, 31, v14
	v_lshlrev_b64 v[14:15], 2, v[14:15]
	v_add_co_u32_e32 v14, vcc, s22, v14
	v_addc_co_u32_e32 v15, vcc, v11, v15, vcc
	global_load_dword v14, v[14:15], off
	v_add_co_u32_e32 v4, vcc, s33, v4
	v_addc_co_u32_e32 v5, vcc, 0, v5, vcc
	v_add_co_u32_e32 v6, vcc, 0x400, v6
	v_addc_co_u32_e32 v7, vcc, 0, v7, vcc
	v_add_co_u32_e32 v8, vcc, 0x400, v8
	v_cmp_le_i64_e64 s[12:13], s[42:43], v[4:5]
	v_addc_co_u32_e32 v9, vcc, 0, v9, vcc
	s_or_b64 s[46:47], s[12:13], s[46:47]
	s_waitcnt vmcnt(0)
	v_fmac_f32_e32 v13, v16, v14
	s_andn2_b64 exec, exec, s[46:47]
	s_cbranch_execnz .LBB5_13
; %bb.14:                               ;   in Loop: Header=BB5_11 Depth=1
	s_or_b64 exec, exec, s[46:47]
.LBB5_15:                               ;   in Loop: Header=BB5_11 Depth=1
	s_or_b64 exec, exec, s[44:45]
	ds_write_b32 v18, v13
	s_waitcnt lgkmcnt(0)
	s_barrier
	s_and_saveexec_b64 s[12:13], s[0:1]
	s_cbranch_execz .LBB5_17
; %bb.16:                               ;   in Loop: Header=BB5_11 Depth=1
	ds_read2st64_b32 v[4:5], v18 offset1:4
	ds_read2st64_b32 v[6:7], v18 offset0:8 offset1:12
	s_waitcnt lgkmcnt(0)
	v_add_f32_e32 v5, v5, v6
	v_add_f32_e32 v5, v5, v7
	v_add_f32_e32 v4, v4, v5
	ds_write_b32 v18, v4
.LBB5_17:                               ;   in Loop: Header=BB5_11 Depth=1
	s_or_b64 exec, exec, s[12:13]
	s_waitcnt lgkmcnt(0)
	s_barrier
	s_and_saveexec_b64 s[12:13], s[2:3]
	s_cbranch_execz .LBB5_19
; %bb.18:                               ;   in Loop: Header=BB5_11 Depth=1
	ds_read2st64_b32 v[4:5], v18 offset1:1
	ds_read2st64_b32 v[6:7], v18 offset0:2 offset1:3
	s_waitcnt lgkmcnt(0)
	v_add_f32_e32 v5, v5, v6
	v_add_f32_e32 v5, v5, v7
	;; [unrolled: 1-line block ×3, first 2 shown]
	ds_write_b32 v18, v4
.LBB5_19:                               ;   in Loop: Header=BB5_11 Depth=1
	s_or_b64 exec, exec, s[12:13]
	s_waitcnt lgkmcnt(0)
	s_barrier
	s_and_saveexec_b64 s[12:13], s[6:7]
	s_cbranch_execz .LBB5_21
; %bb.20:                               ;   in Loop: Header=BB5_11 Depth=1
	ds_read2_b32 v[4:5], v18 offset1:16
	ds_read2_b32 v[6:7], v18 offset0:32 offset1:48
	s_waitcnt lgkmcnt(0)
	v_add_f32_e32 v5, v5, v6
	v_add_f32_e32 v5, v5, v7
	;; [unrolled: 1-line block ×3, first 2 shown]
	ds_write_b32 v18, v4
.LBB5_21:                               ;   in Loop: Header=BB5_11 Depth=1
	s_or_b64 exec, exec, s[12:13]
	s_waitcnt lgkmcnt(0)
	s_barrier
	s_and_saveexec_b64 s[12:13], s[8:9]
	s_cbranch_execz .LBB5_23
; %bb.22:                               ;   in Loop: Header=BB5_11 Depth=1
	ds_read2_b32 v[4:5], v18 offset1:4
	ds_read2_b32 v[6:7], v18 offset0:8 offset1:12
	s_waitcnt lgkmcnt(0)
	v_add_f32_e32 v5, v5, v6
	v_add_f32_e32 v5, v5, v7
	;; [unrolled: 1-line block ×3, first 2 shown]
	ds_write_b32 v18, v4
.LBB5_23:                               ;   in Loop: Header=BB5_11 Depth=1
	s_or_b64 exec, exec, s[12:13]
	s_waitcnt lgkmcnt(0)
	s_barrier
	s_and_saveexec_b64 s[12:13], s[10:11]
	s_cbranch_execz .LBB5_25
; %bb.24:                               ;   in Loop: Header=BB5_11 Depth=1
	ds_read2_b32 v[4:5], v12 offset0:1 offset1:2
	ds_read_b32 v6, v12 offset:12
	ds_read_b32 v7, v18
	s_waitcnt lgkmcnt(2)
	v_add_f32_e32 v4, v4, v5
	s_waitcnt lgkmcnt(1)
	v_add_f32_e32 v4, v4, v6
	s_waitcnt lgkmcnt(0)
	v_add_f32_e32 v4, v7, v4
	ds_write_b32 v18, v4
.LBB5_25:                               ;   in Loop: Header=BB5_11 Depth=1
	s_or_b64 exec, exec, s[12:13]
	s_waitcnt lgkmcnt(0)
	s_barrier
	s_and_saveexec_b64 s[12:13], s[10:11]
	s_cbranch_execz .LBB5_10
; %bb.26:                               ;   in Loop: Header=BB5_11 Depth=1
	s_mov_b64 s[44:45], exec
	v_mbcnt_lo_u32_b32 v4, s44, 0
	v_mbcnt_hi_u32_b32 v4, s45, v4
	v_cmp_eq_u32_e32 vcc, 0, v4
	s_and_b64 s[42:43], exec, vcc
	s_mov_b64 exec, s[42:43]
	s_cbranch_execz .LBB5_10
; %bb.27:                               ;   in Loop: Header=BB5_11 Depth=1
	s_lshl_b64 s[42:43], s[38:39], 2
	s_add_u32 s42, s14, s42
	s_addc_u32 s43, s15, s43
	global_load_dword v5, v12, s[42:43]
	ds_read_b32 v4, v12
	s_bcnt1_i32_b64 s44, s[44:45]
	v_cvt_f32_ubyte0_e32 v6, s44
	s_mov_b64 s[44:45], 0
	s_waitcnt lgkmcnt(0)
	v_mul_f32_e32 v4, s36, v4
	v_mul_f32_e32 v6, v4, v6
.LBB5_28:                               ;   Parent Loop BB5_11 Depth=1
                                        ; =>  This Inner Loop Header: Depth=2
	s_waitcnt vmcnt(0)
	v_add_f32_e32 v4, v5, v6
	global_atomic_cmpswap v4, v12, v[4:5], s[42:43] glc
	s_waitcnt vmcnt(0)
	v_cmp_eq_u32_e32 vcc, v4, v5
	s_or_b64 s[44:45], vcc, s[44:45]
	v_mov_b32_e32 v5, v4
	s_andn2_b64 exec, exec, s[44:45]
	s_cbranch_execnz .LBB5_28
	s_branch .LBB5_10
.LBB5_29:
	s_lshl_b64 s[0:1], s[26:27], 3
	s_add_u32 s0, s16, s0
	s_addc_u32 s1, s17, s1
	s_load_dwordx2 s[0:1], s[0:1], 0x0
	s_waitcnt lgkmcnt(0)
	v_mov_b32_e32 v3, s35
	v_add_co_u32_e32 v2, vcc, s34, v1
	v_addc_co_u32_e32 v3, vcc, v3, v10, vcc
	s_sub_u32 s6, s0, s30
	s_subb_u32 s7, s1, 0
	v_cmp_gt_i64_e32 vcc, s[6:7], v[2:3]
	s_and_saveexec_b64 s[8:9], vcc
	s_cbranch_execz .LBB5_39
; %bb.30:
	s_add_u32 s10, s26, -1
	s_addc_u32 s11, s27, -1
	s_add_u32 s0, s26, -2
	s_addc_u32 s1, s27, -1
	v_pk_mov_b32 v[4:5], s[24:25], s[24:25] op_sel:[0,1]
	s_cmp_lg_u64 s[0:1], s[24:25]
	v_cmp_gt_i64_e32 vcc, s[10:11], v[4:5]
	s_cselect_b64 s[0:1], -1, 0
	s_and_b64 s[0:1], vcc, s[0:1]
	v_cndmask_b32_e64 v1, 0, 1, s[0:1]
	s_mov_b64 s[12:13], 0
	v_cmp_ne_u32_e64 s[0:1], 1, v1
	v_mov_b32_e32 v1, s17
	v_mov_b32_e32 v12, s31
	;; [unrolled: 1-line block ×3, first 2 shown]
	s_branch .LBB5_32
.LBB5_31:                               ;   in Loop: Header=BB5_32 Depth=1
	s_or_b64 exec, exec, s[2:3]
	v_add_co_u32_e32 v2, vcc, 0x100, v2
	v_addc_co_u32_e32 v3, vcc, 0, v3, vcc
	v_cmp_le_i64_e32 vcc, s[6:7], v[2:3]
	s_or_b64 s[12:13], vcc, s[12:13]
	s_andn2_b64 exec, exec, s[12:13]
	s_cbranch_execz .LBB5_39
.LBB5_32:                               ; =>This Loop Header: Depth=1
                                        ;     Child Loop BB5_34 Depth 2
                                        ;     Child Loop BB5_38 Depth 2
	s_and_b64 vcc, exec, s[0:1]
	v_pk_mov_b32 v[4:5], s[24:25], s[24:25] op_sel:[0,1]
	v_pk_mov_b32 v[6:7], s[10:11], s[10:11] op_sel:[0,1]
	s_cbranch_vccnz .LBB5_36
; %bb.33:                               ;   in Loop: Header=BB5_32 Depth=1
	s_mov_b64 s[34:35], 0
	v_pk_mov_b32 v[4:5], s[24:25], s[24:25] op_sel:[0,1]
	v_pk_mov_b32 v[6:7], s[10:11], s[10:11] op_sel:[0,1]
.LBB5_34:                               ;   Parent Loop BB5_32 Depth=1
                                        ; =>  This Inner Loop Header: Depth=2
	v_add_co_u32_e32 v8, vcc, v6, v4
	v_addc_co_u32_e32 v9, vcc, v7, v5, vcc
	v_lshrrev_b32_e32 v10, 31, v9
	v_add_co_u32_e32 v8, vcc, v8, v10
	v_addc_co_u32_e32 v9, vcc, 0, v9, vcc
	v_ashrrev_i64 v[8:9], 1, v[8:9]
	v_lshlrev_b64 v[10:11], 3, v[8:9]
	v_mov_b32_e32 v14, s17
	v_add_co_u32_e32 v10, vcc, s16, v10
	v_addc_co_u32_e32 v11, vcc, v14, v11, vcc
	global_load_dwordx2 v[10:11], v[10:11], off
	v_mov_b32_e32 v14, s31
	s_waitcnt vmcnt(0)
	v_subrev_co_u32_e32 v10, vcc, s30, v10
	v_subb_co_u32_e32 v11, vcc, v11, v14, vcc
	v_cmp_gt_i64_e32 vcc, v[10:11], v[2:3]
	v_cndmask_b32_e32 v6, v6, v8, vcc
	v_cndmask_b32_e32 v7, v7, v9, vcc
	;; [unrolled: 1-line block ×3, first 2 shown]
	v_add_co_u32_e64 v8, s[2:3], -1, v6
	v_cndmask_b32_e32 v5, v9, v5, vcc
	v_addc_co_u32_e64 v9, s[2:3], -1, v7, s[2:3]
	v_cmp_ge_i64_e32 vcc, v[4:5], v[6:7]
	v_cmp_eq_u64_e64 s[2:3], v[4:5], v[8:9]
	s_or_b64 s[2:3], vcc, s[2:3]
	s_and_b64 s[2:3], exec, s[2:3]
	s_or_b64 s[34:35], s[2:3], s[34:35]
	s_andn2_b64 exec, exec, s[34:35]
	s_cbranch_execnz .LBB5_34
; %bb.35:                               ;   in Loop: Header=BB5_32 Depth=1
	s_or_b64 exec, exec, s[34:35]
.LBB5_36:                               ;   in Loop: Header=BB5_32 Depth=1
	v_lshlrev_b64 v[8:9], 3, v[6:7]
	v_add_co_u32_e32 v8, vcc, s16, v8
	v_addc_co_u32_e32 v9, vcc, v1, v9, vcc
	global_load_dwordx2 v[10:11], v[8:9], off
	v_lshlrev_b64 v[8:9], 2, v[2:3]
	v_add_co_u32_e32 v14, vcc, s18, v8
	v_addc_co_u32_e32 v15, vcc, v13, v9, vcc
	global_load_dword v16, v[14:15], off
	s_waitcnt vmcnt(1)
	v_subrev_co_u32_e32 v14, vcc, s30, v10
	v_subb_co_u32_e32 v15, vcc, v11, v12, vcc
	v_cmp_gt_i64_e32 vcc, v[14:15], v[2:3]
	v_cndmask_b32_e32 v5, v7, v5, vcc
	s_waitcnt vmcnt(0)
	v_subrev_u32_e32 v10, s30, v16
	v_cndmask_b32_e32 v4, v6, v4, vcc
	v_ashrrev_i32_e32 v11, 31, v10
	v_cmp_ne_u64_e32 vcc, v[4:5], v[10:11]
	s_and_saveexec_b64 s[2:3], vcc
	s_cbranch_execz .LBB5_31
; %bb.37:                               ;   in Loop: Header=BB5_32 Depth=1
	v_lshlrev_b64 v[6:7], 2, v[10:11]
	v_mov_b32_e32 v11, s21
	v_add_co_u32_e32 v8, vcc, s20, v8
	v_addc_co_u32_e32 v9, vcc, v11, v9, vcc
	v_lshlrev_b64 v[4:5], 2, v[4:5]
	global_load_dword v8, v[8:9], off
	v_mov_b32_e32 v9, s23
	v_add_co_u32_e32 v4, vcc, s22, v4
	v_addc_co_u32_e32 v5, vcc, v9, v5, vcc
	v_mov_b32_e32 v10, s15
	global_load_dword v9, v[4:5], off
	v_add_co_u32_e32 v4, vcc, s14, v6
	v_addc_co_u32_e32 v5, vcc, v10, v7, vcc
	global_load_dword v7, v[4:5], off
	s_mov_b64 s[34:35], 0
	s_waitcnt vmcnt(2)
	v_mul_f32_e32 v6, s36, v8
	s_waitcnt vmcnt(1)
	v_mul_f32_e32 v8, v6, v9
.LBB5_38:                               ;   Parent Loop BB5_32 Depth=1
                                        ; =>  This Inner Loop Header: Depth=2
	s_waitcnt vmcnt(0)
	v_add_f32_e32 v6, v7, v8
	global_atomic_cmpswap v6, v[4:5], v[6:7], off glc
	s_waitcnt vmcnt(0)
	v_cmp_eq_u32_e32 vcc, v6, v7
	s_or_b64 s[34:35], vcc, s[34:35]
	v_mov_b32_e32 v7, v6
	s_andn2_b64 exec, exec, s[34:35]
	s_cbranch_execnz .LBB5_38
	s_branch .LBB5_31
.LBB5_39:
	s_or_b64 exec, exec, s[8:9]
	s_mov_b64 s[0:1], 0
.LBB5_40:
	s_and_b64 vcc, exec, s[0:1]
	s_cbranch_vccz .LBB5_179
; %bb.41:
	s_load_dword s0, s[4:5], 0x6c
	s_mov_b32 s31, 0
	v_pk_mov_b32 v[2:3], s[28:29], s[28:29] op_sel:[0,1]
	s_mov_b32 s13, s31
	s_mov_b64 s[34:35], 0
	s_waitcnt lgkmcnt(0)
	s_and_b32 s12, s0, 0xffff
	v_cmp_lt_u64_e32 vcc, s[12:13], v[2:3]
	s_cbranch_vccnz .LBB5_43
; %bb.42:
	v_cvt_f32_u32_e32 v1, s28
	s_sub_i32 s0, 0, s28
	v_rcp_iflag_f32_e32 v1, v1
	v_mul_f32_e32 v1, 0x4f7ffffe, v1
	v_cvt_u32_f32_e32 v1, v1
	v_readfirstlane_b32 s1, v1
	s_mul_i32 s0, s0, s1
	s_mul_hi_u32 s0, s1, s0
	s_add_i32 s1, s1, s0
	s_mul_hi_u32 s0, s12, s1
	s_mul_i32 s2, s0, s28
	s_sub_i32 s2, s12, s2
	s_add_i32 s1, s0, 1
	s_sub_i32 s3, s2, s28
	s_cmp_ge_u32 s2, s28
	s_cselect_b32 s0, s1, s0
	s_cselect_b32 s2, s3, s2
	s_add_i32 s1, s0, 1
	s_cmp_ge_u32 s2, s28
	s_cselect_b32 s34, s1, s0
.LBB5_43:
	s_lshl_b64 s[0:1], s[24:25], 3
	s_add_u32 s10, s16, s0
	s_addc_u32 s11, s17, s1
	s_load_dwordx2 s[8:9], s[10:11], 0x0
	v_subrev_co_u32_e32 v2, vcc, s30, v0
	s_load_dwordx4 s[4:7], s[4:5], 0x8
	v_subb_co_u32_e64 v3, s[0:1], 0, 0, vcc
	s_waitcnt lgkmcnt(0)
	v_mov_b32_e32 v4, s9
	v_add_co_u32_e32 v6, vcc, s8, v2
	v_addc_co_u32_e32 v7, vcc, v4, v3, vcc
	v_add_co_u32_e32 v8, vcc, 0x300, v6
	v_addc_co_u32_e32 v9, vcc, 0, v7, vcc
	v_mov_b32_e32 v1, 0
	v_cmp_le_i64_e64 s[0:1], s[4:5], v[8:9]
	s_and_saveexec_b64 s[2:3], s[0:1]
	s_xor_b64 s[4:5], exec, s[2:3]
	s_cbranch_execnz .LBB5_46
; %bb.44:
	s_or_saveexec_b64 s[2:3], s[4:5]
	v_lshlrev_b64 v[10:11], 2, v[6:7]
	s_xor_b64 exec, exec, s[2:3]
	s_cbranch_execnz .LBB5_57
.LBB5_45:
	s_or_b64 exec, exec, s[2:3]
	v_cmp_gt_i64_e32 vcc, s[6:7], v[0:1]
	s_and_saveexec_b64 s[4:5], vcc
	s_cbranch_execnz .LBB5_58
	s_branch .LBB5_65
.LBB5_46:
	s_lshl_b64 s[2:3], s[26:27], 3
	s_add_u32 s2, s16, s2
	s_addc_u32 s3, s17, s3
	s_load_dwordx2 s[2:3], s[2:3], 0x0
	s_waitcnt lgkmcnt(0)
	s_sub_u32 s38, s2, s8
	s_subb_u32 s39, s3, s9
	v_cmp_gt_i64_e32 vcc, s[38:39], v[0:1]
	s_and_saveexec_b64 s[40:41], vcc
	s_cbranch_execz .LBB5_56
; %bb.47:
	s_not_b64 s[42:43], s[8:9]
	s_add_u32 s2, s2, s42
	s_addc_u32 s3, s3, s43
	v_mov_b32_e32 v2, s3
	v_sub_co_u32_e32 v4, vcc, s2, v0
	v_subbrev_co_u32_e32 v5, vcc, 0, v2, vcc
	s_mov_b64 s[2:3], 0xff
	v_cmp_lt_u64_e32 vcc, s[2:3], v[4:5]
	s_mov_b64 s[2:3], 0
                                        ; implicit-def: $vgpr12_vgpr13
                                        ; implicit-def: $vgpr2_vgpr3
	s_and_saveexec_b64 s[42:43], vcc
	s_xor_b64 s[42:43], exec, s[42:43]
	s_cbranch_execnz .LBB5_50
; %bb.48:
	s_andn2_saveexec_b64 s[42:43], s[42:43]
	s_cbranch_execnz .LBB5_53
.LBB5_49:
	s_or_b64 exec, exec, s[42:43]
	s_and_b64 exec, exec, s[2:3]
	s_cbranch_execnz .LBB5_54
	s_branch .LBB5_56
.LBB5_50:
	v_lshrrev_b64 v[2:3], 8, v[4:5]
	v_add_co_u32_e32 v4, vcc, 1, v2
	v_addc_co_u32_e32 v5, vcc, 0, v3, vcc
	v_lshlrev_b64 v[2:3], 2, v[6:7]
	v_mov_b32_e32 v14, s21
	v_add_co_u32_e32 v15, vcc, s20, v2
	v_addc_co_u32_e32 v16, vcc, v3, v14, vcc
	s_movk_i32 s2, 0x400
	v_and_b32_e32 v10, -2, v4
	v_mov_b32_e32 v11, v5
	v_add_co_u32_e32 v14, vcc, s2, v15
	s_mov_b32 s37, s36
	v_mov_b32_e32 v12, v0
	v_mov_b32_e32 v13, v0
	v_addc_co_u32_e32 v15, vcc, 0, v16, vcc
	s_mov_b64 s[46:47], 0x100
	s_mov_b64 s[44:45], 0
	v_pk_mov_b32 v[16:17], v[10:11], v[10:11] op_sel:[0,1]
	s_mov_b64 s[48:49], 0
.LBB5_51:                               ; =>This Inner Loop Header: Depth=1
	global_load_dword v20, v[14:15], off offset:-1024
	global_load_dword v21, v[14:15], off
	v_add_lshl_u32 v19, v12, s48, 2
	s_add_u32 s48, s48, 0x200
	v_add_co_u32_e32 v14, vcc, 0x800, v14
	v_add_co_u32_e64 v16, s[2:3], -2, v16
	s_addc_u32 s49, s49, 0
	v_add_lshl_u32 v22, v13, s46, 2
	v_addc_co_u32_e64 v17, s[2:3], -1, v17, s[2:3]
	v_addc_co_u32_e32 v15, vcc, 0, v15, vcc
	s_add_u32 s46, s46, 0x200
	v_cmp_eq_u64_e32 vcc, 0, v[16:17]
	s_addc_u32 s47, s47, 0
	s_or_b64 s[44:45], vcc, s[44:45]
	s_waitcnt vmcnt(0)
	v_pk_mul_f32 v[20:21], s[36:37], v[20:21]
	ds_write_b32 v19, v20
	ds_write_b32 v22, v21
	s_andn2_b64 exec, exec, s[44:45]
	s_cbranch_execnz .LBB5_51
; %bb.52:
	s_or_b64 exec, exec, s[44:45]
	v_cmp_ne_u64_e32 vcc, v[4:5], v[10:11]
	v_lshlrev_b64 v[12:13], 8, v[10:11]
	s_and_b64 s[2:3], vcc, exec
	s_andn2_saveexec_b64 s[42:43], s[42:43]
	s_cbranch_execz .LBB5_49
.LBB5_53:
	v_lshlrev_b64 v[2:3], 2, v[6:7]
	v_pk_mov_b32 v[12:13], 0, 0
	s_or_b64 s[2:3], s[2:3], exec
	s_or_b64 exec, exec, s[42:43]
	s_and_b64 exec, exec, s[2:3]
	s_cbranch_execz .LBB5_56
.LBB5_54:
	v_lshlrev_b64 v[4:5], 2, v[12:13]
	v_add_co_u32_e32 v2, vcc, v4, v2
	v_addc_co_u32_e32 v3, vcc, v5, v3, vcc
	v_mov_b32_e32 v4, s21
	v_add_co_u32_e32 v2, vcc, s20, v2
	v_addc_co_u32_e32 v3, vcc, v4, v3, vcc
	v_add_co_u32_e32 v4, vcc, v12, v0
	v_lshlrev_b32_e32 v10, 2, v12
	v_addc_co_u32_e32 v5, vcc, 0, v13, vcc
	v_lshl_add_u32 v10, v0, 2, v10
	s_mov_b64 s[2:3], 0
.LBB5_55:                               ; =>This Inner Loop Header: Depth=1
	global_load_dword v11, v[2:3], off
	v_add_co_u32_e32 v2, vcc, 0x400, v2
	v_addc_co_u32_e32 v3, vcc, 0, v3, vcc
	v_add_co_u32_e32 v4, vcc, 0x100, v4
	v_addc_co_u32_e32 v5, vcc, 0, v5, vcc
	v_cmp_le_i64_e32 vcc, s[38:39], v[4:5]
	s_or_b64 s[2:3], vcc, s[2:3]
	s_waitcnt vmcnt(0)
	v_mul_f32_e32 v11, s36, v11
	ds_write_b32 v10, v11
	v_add_u32_e32 v10, 0x400, v10
	s_andn2_b64 exec, exec, s[2:3]
	s_cbranch_execnz .LBB5_55
.LBB5_56:
	s_or_b64 exec, exec, s[40:41]
	s_or_saveexec_b64 s[2:3], s[4:5]
	v_lshlrev_b64 v[10:11], 2, v[6:7]
	s_xor_b64 exec, exec, s[2:3]
	s_cbranch_execz .LBB5_45
.LBB5_57:
	v_mov_b32_e32 v3, s21
	v_add_co_u32_e32 v2, vcc, s20, v10
	v_addc_co_u32_e32 v3, vcc, v3, v11, vcc
	global_load_dword v4, v[2:3], off
	global_load_dword v5, v[2:3], off offset:1024
	global_load_dword v12, v[2:3], off offset:2048
	;; [unrolled: 1-line block ×3, first 2 shown]
	s_waitcnt vmcnt(3)
	v_mul_f32_e32 v2, s36, v4
	s_waitcnt vmcnt(2)
	v_mul_f32_e32 v3, s36, v5
	;; [unrolled: 2-line block ×4, first 2 shown]
	ds_write2st64_b32 v18, v2, v3 offset1:4
	ds_write2st64_b32 v18, v4, v5 offset0:8 offset1:12
	s_or_b64 exec, exec, s[2:3]
	v_cmp_gt_i64_e32 vcc, s[6:7], v[0:1]
	s_and_saveexec_b64 s[4:5], vcc
	s_cbranch_execz .LBB5_65
.LBB5_58:
	v_not_b32_e32 v3, v0
	v_not_b32_e32 v2, 0
	v_mov_b32_e32 v5, s7
	v_add_co_u32_e32 v4, vcc, s6, v3
	v_addc_co_u32_e32 v5, vcc, v2, v5, vcc
	s_mov_b64 s[2:3], 0x2ff
	v_cmp_lt_u64_e32 vcc, s[2:3], v[4:5]
	s_mov_b64 s[2:3], -1
	v_pk_mov_b32 v[2:3], v[0:1], v[0:1] op_sel:[0,1]
	s_and_saveexec_b64 s[20:21], vcc
	s_cbranch_execz .LBB5_62
; %bb.59:
	v_lshrrev_b64 v[2:3], 8, v[4:5]
	v_add_co_u32_e32 v12, vcc, 1, v2
	v_addc_co_u32_e32 v13, vcc, 0, v3, vcc
	v_or_b32_e32 v2, 0x100, v0
	v_mov_b32_e32 v3, v1
	v_and_b32_e32 v14, -4, v12
	v_mov_b32_e32 v15, v13
	v_pk_mov_b32 v[4:5], v[2:3], v[2:3] op_sel:[0,1]
	s_mov_b64 s[36:37], 0
	v_mov_b32_e32 v19, 0x1000
	v_mov_b32_e32 v20, 0
	v_pk_mov_b32 v[16:17], v[14:15], v[14:15] op_sel:[0,1]
	v_pk_mov_b32 v[2:3], v[0:1], v[0:1] op_sel:[0,1]
.LBB5_60:                               ; =>This Inner Loop Header: Depth=1
	v_lshl_add_u32 v22, v4, 2, v19
	v_add_co_u32_e32 v4, vcc, 0x400, v4
	v_add_co_u32_e64 v16, s[2:3], -4, v16
	v_addc_co_u32_e32 v5, vcc, 0, v5, vcc
	v_addc_co_u32_e64 v17, s[2:3], -1, v17, s[2:3]
	v_lshl_add_u32 v21, v2, 2, v19
	v_add_co_u32_e32 v2, vcc, 0x400, v2
	v_cmp_eq_u64_e64 s[2:3], 0, v[16:17]
	s_or_b64 s[36:37], s[2:3], s[36:37]
	v_addc_co_u32_e32 v3, vcc, 0, v3, vcc
	ds_write_b32 v21, v20
	ds_write_b32 v22, v20
	ds_write_b32 v21, v20 offset:2048
	ds_write_b32 v22, v20 offset:2048
	s_andn2_b64 exec, exec, s[36:37]
	s_cbranch_execnz .LBB5_60
; %bb.61:
	s_or_b64 exec, exec, s[36:37]
	v_lshlrev_b64 v[2:3], 8, v[14:15]
	v_cmp_ne_u64_e32 vcc, v[12:13], v[14:15]
	v_or_b32_e32 v3, 0, v3
	v_or_b32_e32 v2, v2, v0
	s_orn2_b64 s[2:3], vcc, exec
.LBB5_62:
	s_or_b64 exec, exec, s[20:21]
	s_and_b64 exec, exec, s[2:3]
	s_cbranch_execz .LBB5_65
; %bb.63:
	v_mov_b32_e32 v4, 0x1000
	v_lshl_add_u32 v4, v2, 2, v4
	s_mov_b64 s[2:3], 0
	v_mov_b32_e32 v5, 0
.LBB5_64:                               ; =>This Inner Loop Header: Depth=1
	v_add_co_u32_e32 v2, vcc, 0x100, v2
	v_addc_co_u32_e32 v3, vcc, 0, v3, vcc
	v_cmp_le_i64_e32 vcc, s[6:7], v[2:3]
	ds_write_b32 v4, v5
	s_or_b64 s[2:3], vcc, s[2:3]
	v_add_u32_e32 v4, 0x400, v4
	s_andn2_b64 exec, exec, s[2:3]
	s_cbranch_execnz .LBB5_64
.LBB5_65:
	s_or_b64 exec, exec, s[4:5]
	s_sub_u32 s4, s26, s6
	v_pk_mov_b32 v[2:3], s[6:7], s[6:7] op_sel:[0,1]
	s_subb_u32 s5, s27, s7
	v_cmp_ge_i64_e32 vcc, s[26:27], v[2:3]
	s_and_b64 s[2:3], vcc, exec
	s_cselect_b32 s5, s5, 0
	s_cselect_b32 s4, s4, 0
	s_waitcnt lgkmcnt(0)
	s_barrier
	s_and_saveexec_b64 s[2:3], s[0:1]
	s_xor_b64 s[20:21], exec, s[2:3]
	s_cbranch_execz .LBB5_84
; %bb.66:
	s_lshl_b64 s[0:1], s[26:27], 3
	s_add_u32 s0, s16, s0
	s_addc_u32 s1, s17, s1
	s_load_dwordx2 s[0:1], s[0:1], 0x0
	s_waitcnt lgkmcnt(0)
	s_sub_u32 s36, s0, s8
	s_subb_u32 s37, s1, s9
	v_cmp_gt_i64_e32 vcc, s[36:37], v[0:1]
	s_and_saveexec_b64 s[38:39], vcc
	s_cbranch_execz .LBB5_83
; %bb.67:
	s_add_u32 s40, s26, -1
	s_addc_u32 s41, s27, -1
	s_add_u32 s2, s26, -2
	s_addc_u32 s3, s27, -1
	v_pk_mov_b32 v[2:3], s[24:25], s[24:25] op_sel:[0,1]
	s_cmp_lg_u64 s[2:3], s[24:25]
	v_cmp_gt_i64_e32 vcc, s[40:41], v[2:3]
	s_cselect_b64 s[2:3], -1, 0
	s_and_b64 s[2:3], vcc, s[2:3]
	s_sub_u32 s42, s0, s30
	v_cndmask_b32_e64 v2, 0, 1, s[2:3]
	s_subb_u32 s43, s1, 0
	s_mov_b64 s[44:45], 0
	v_cmp_ne_u32_e64 s[0:1], 1, v2
	v_mov_b32_e32 v12, s17
	v_mov_b32_e32 v13, s31
	;; [unrolled: 1-line block ×4, first 2 shown]
	s_mov_b64 s[46:47], 0
	s_branch .LBB5_70
.LBB5_68:                               ;   in Loop: Header=BB5_70 Depth=1
	s_or_b64 exec, exec, s[2:3]
.LBB5_69:                               ;   in Loop: Header=BB5_70 Depth=1
	s_or_b64 exec, exec, s[48:49]
	v_lshlrev_b64 v[2:3], 2, v[2:3]
	v_mov_b32_e32 v4, s23
	v_add_co_u32_e32 v2, vcc, s22, v2
	v_addc_co_u32_e32 v3, vcc, v4, v3, vcc
	global_load_dword v4, v[2:3], off
	s_add_u32 s46, s46, 0x100
	s_addc_u32 s47, s47, 0
	v_mov_b32_e32 v3, s47
	v_add_co_u32_e32 v2, vcc, s46, v0
	v_addc_co_u32_e32 v3, vcc, 0, v3, vcc
	v_cmp_le_i64_e32 vcc, s[36:37], v[2:3]
	v_lshlrev_b32_e32 v5, 2, v16
	s_or_b64 s[44:45], vcc, s[44:45]
	s_waitcnt vmcnt(0) lgkmcnt(0)
	v_mul_f32_e32 v2, v4, v10
	ds_write_b32 v5, v2
	s_andn2_b64 exec, exec, s[44:45]
	s_cbranch_execz .LBB5_83
.LBB5_70:                               ; =>This Loop Header: Depth=1
                                        ;     Child Loop BB5_72 Depth 2
                                        ;     Child Loop BB5_79 Depth 2
	v_mov_b32_e32 v2, s47
	v_add_co_u32_e32 v4, vcc, s46, v6
	v_addc_co_u32_e32 v5, vcc, v2, v7, vcc
	s_and_b64 vcc, exec, s[0:1]
	v_pk_mov_b32 v[8:9], s[24:25], s[24:25] op_sel:[0,1]
	v_pk_mov_b32 v[10:11], s[40:41], s[40:41] op_sel:[0,1]
	s_cbranch_vccnz .LBB5_74
; %bb.71:                               ;   in Loop: Header=BB5_70 Depth=1
	s_mov_b64 s[48:49], 0
	v_pk_mov_b32 v[8:9], s[24:25], s[24:25] op_sel:[0,1]
	v_pk_mov_b32 v[10:11], s[40:41], s[40:41] op_sel:[0,1]
.LBB5_72:                               ;   Parent Loop BB5_70 Depth=1
                                        ; =>  This Inner Loop Header: Depth=2
	v_add_co_u32_e32 v2, vcc, v10, v8
	v_addc_co_u32_e32 v3, vcc, v11, v9, vcc
	v_lshrrev_b32_e32 v16, 31, v3
	v_add_co_u32_e32 v2, vcc, v2, v16
	v_addc_co_u32_e32 v3, vcc, 0, v3, vcc
	v_ashrrev_i64 v[2:3], 1, v[2:3]
	v_lshlrev_b64 v[16:17], 3, v[2:3]
	v_mov_b32_e32 v19, s17
	v_add_co_u32_e32 v16, vcc, s16, v16
	v_addc_co_u32_e32 v17, vcc, v19, v17, vcc
	global_load_dwordx2 v[16:17], v[16:17], off
	v_mov_b32_e32 v19, s31
	s_waitcnt vmcnt(0)
	v_subrev_co_u32_e32 v16, vcc, s30, v16
	v_subb_co_u32_e32 v17, vcc, v17, v19, vcc
	v_cmp_gt_i64_e32 vcc, v[16:17], v[4:5]
	v_cndmask_b32_e32 v10, v10, v2, vcc
	v_cndmask_b32_e32 v11, v11, v3, vcc
	;; [unrolled: 1-line block ×3, first 2 shown]
	v_add_co_u32_e64 v2, s[2:3], -1, v10
	v_cndmask_b32_e32 v9, v3, v9, vcc
	v_addc_co_u32_e64 v3, s[2:3], -1, v11, s[2:3]
	v_cmp_ge_i64_e32 vcc, v[8:9], v[10:11]
	v_cmp_eq_u64_e64 s[2:3], v[8:9], v[2:3]
	s_or_b64 s[2:3], vcc, s[2:3]
	s_and_b64 s[2:3], exec, s[2:3]
	s_or_b64 s[48:49], s[2:3], s[48:49]
	s_andn2_b64 exec, exec, s[48:49]
	s_cbranch_execnz .LBB5_72
; %bb.73:                               ;   in Loop: Header=BB5_70 Depth=1
	s_or_b64 exec, exec, s[48:49]
.LBB5_74:                               ;   in Loop: Header=BB5_70 Depth=1
	v_lshlrev_b64 v[2:3], 3, v[10:11]
	v_add_co_u32_e32 v2, vcc, s16, v2
	v_addc_co_u32_e32 v3, vcc, v12, v3, vcc
	v_lshlrev_b64 v[16:17], 2, v[4:5]
	global_load_dwordx2 v[2:3], v[2:3], off
	v_add_co_u32_e32 v16, vcc, s18, v16
	v_addc_co_u32_e32 v17, vcc, v14, v17, vcc
	global_load_dword v17, v[16:17], off
	v_add_co_u32_e32 v16, vcc, s46, v0
	v_cmp_le_i64_e32 vcc, s[42:43], v[4:5]
	s_waitcnt vmcnt(1)
	v_subrev_co_u32_e64 v20, s[2:3], s30, v2
	v_subb_co_u32_e64 v21, s[2:3], v3, v13, s[2:3]
	v_cmp_gt_i64_e64 s[2:3], v[20:21], v[4:5]
	s_waitcnt vmcnt(0)
	v_subrev_u32_e32 v2, s30, v17
	v_cndmask_b32_e64 v5, v11, v9, s[2:3]
	v_ashrrev_i32_e32 v3, 31, v2
	v_cndmask_b32_e64 v4, v10, v8, s[2:3]
	v_cmp_eq_u64_e64 s[2:3], v[4:5], v[2:3]
	s_or_b64 s[2:3], s[2:3], vcc
	v_lshlrev_b32_e32 v8, 2, v16
                                        ; implicit-def: $vgpr10
	s_and_saveexec_b64 s[48:49], s[2:3]
	s_xor_b64 s[2:3], exec, s[48:49]
	s_cbranch_execz .LBB5_76
; %bb.75:                               ;   in Loop: Header=BB5_70 Depth=1
	ds_read_b32 v10, v8
                                        ; implicit-def: $vgpr8
                                        ; implicit-def: $vgpr4_vgpr5
.LBB5_76:                               ;   in Loop: Header=BB5_70 Depth=1
	s_andn2_saveexec_b64 s[48:49], s[2:3]
	s_cbranch_execz .LBB5_69
; %bb.77:                               ;   in Loop: Header=BB5_70 Depth=1
	v_cmp_gt_i64_e32 vcc, s[4:5], v[2:3]
	v_cmp_le_i64_e64 s[2:3], s[26:27], v[2:3]
	s_or_b64 s[2:3], vcc, s[2:3]
	v_lshlrev_b64 v[4:5], 2, v[4:5]
                                        ; implicit-def: $vgpr10
	s_and_saveexec_b64 s[50:51], s[2:3]
	s_xor_b64 s[2:3], exec, s[50:51]
	s_cbranch_execz .LBB5_81
; %bb.78:                               ;   in Loop: Header=BB5_70 Depth=1
	v_mov_b32_e32 v17, s23
	v_add_co_u32_e32 v4, vcc, s22, v4
	s_waitcnt lgkmcnt(0)
	v_lshlrev_b64 v[10:11], 2, v[2:3]
	v_addc_co_u32_e32 v5, vcc, v17, v5, vcc
	v_mov_b32_e32 v9, s15
	global_load_dword v17, v[4:5], off
	v_add_co_u32_e32 v4, vcc, s14, v10
	v_addc_co_u32_e32 v5, vcc, v9, v11, vcc
	global_load_dword v9, v[4:5], off
	ds_read_b32 v10, v8
	s_mov_b64 s[50:51], 0
	s_waitcnt vmcnt(1) lgkmcnt(0)
	v_mul_f32_e32 v11, v10, v17
.LBB5_79:                               ;   Parent Loop BB5_70 Depth=1
                                        ; =>  This Inner Loop Header: Depth=2
	s_waitcnt vmcnt(0)
	v_add_f32_e32 v8, v9, v11
	global_atomic_cmpswap v8, v[4:5], v[8:9], off glc
	s_waitcnt vmcnt(0)
	v_cmp_eq_u32_e32 vcc, v8, v9
	s_or_b64 s[50:51], vcc, s[50:51]
	v_mov_b32_e32 v9, v8
	s_andn2_b64 exec, exec, s[50:51]
	s_cbranch_execnz .LBB5_79
; %bb.80:                               ;   in Loop: Header=BB5_70 Depth=1
	s_or_b64 exec, exec, s[50:51]
                                        ; implicit-def: $vgpr8
                                        ; implicit-def: $vgpr4_vgpr5
.LBB5_81:                               ;   in Loop: Header=BB5_70 Depth=1
	s_andn2_saveexec_b64 s[2:3], s[2:3]
	s_cbranch_execz .LBB5_68
; %bb.82:                               ;   in Loop: Header=BB5_70 Depth=1
	v_mov_b32_e32 v9, s23
	v_add_co_u32_e32 v4, vcc, s22, v4
	v_addc_co_u32_e32 v5, vcc, v9, v5, vcc
	global_load_dword v4, v[4:5], off
	s_waitcnt lgkmcnt(0)
	ds_read_b32 v10, v8
	v_subrev_u32_e32 v5, s4, v2
	v_lshl_add_u32 v5, v5, 2, v15
	s_waitcnt vmcnt(0) lgkmcnt(0)
	v_mul_f32_e32 v4, v10, v4
	ds_add_f32 v5, v4
	s_branch .LBB5_68
.LBB5_83:
	s_or_b64 exec, exec, s[38:39]
                                        ; implicit-def: $vgpr8_vgpr9
                                        ; implicit-def: $vgpr6
                                        ; implicit-def: $vgpr10_vgpr11
.LBB5_84:
	s_andn2_saveexec_b64 s[20:21], s[20:21]
	s_cbranch_execz .LBB5_134
; %bb.85:
	s_add_u32 s36, s26, -1
	s_addc_u32 s37, s27, -1
	s_add_u32 s0, s26, -2
	s_addc_u32 s1, s27, -1
	v_pk_mov_b32 v[4:5], s[24:25], s[24:25] op_sel:[0,1]
	s_cmp_eq_u64 s[0:1], s[24:25]
	v_cmp_le_i64_e32 vcc, s[36:37], v[4:5]
	s_cselect_b64 s[0:1], -1, 0
	s_or_b64 s[2:3], vcc, s[0:1]
	s_and_b64 vcc, exec, s[2:3]
	v_pk_mov_b32 v[12:13], s[36:37], s[36:37] op_sel:[0,1]
	s_cbranch_vccnz .LBB5_89
; %bb.86:
	s_mov_b64 s[38:39], 0
	v_pk_mov_b32 v[4:5], s[24:25], s[24:25] op_sel:[0,1]
	v_pk_mov_b32 v[12:13], s[36:37], s[36:37] op_sel:[0,1]
	v_mov_b32_e32 v2, s17
	v_mov_b32_e32 v3, s31
.LBB5_87:                               ; =>This Inner Loop Header: Depth=1
	v_add_co_u32_e32 v14, vcc, v12, v4
	v_addc_co_u32_e32 v15, vcc, v13, v5, vcc
	v_lshrrev_b32_e32 v16, 31, v15
	v_add_co_u32_e32 v14, vcc, v14, v16
	v_addc_co_u32_e32 v15, vcc, 0, v15, vcc
	v_ashrrev_i64 v[14:15], 1, v[14:15]
	v_lshlrev_b64 v[16:17], 3, v[14:15]
	v_add_co_u32_e32 v16, vcc, s16, v16
	v_addc_co_u32_e32 v17, vcc, v2, v17, vcc
	global_load_dwordx2 v[16:17], v[16:17], off
	s_waitcnt vmcnt(0)
	v_subrev_co_u32_e32 v16, vcc, s30, v16
	v_subb_co_u32_e32 v17, vcc, v17, v3, vcc
	v_cmp_gt_i64_e32 vcc, v[16:17], v[6:7]
	v_cndmask_b32_e32 v12, v12, v14, vcc
	v_cndmask_b32_e32 v13, v13, v15, vcc
	;; [unrolled: 1-line block ×3, first 2 shown]
	v_add_co_u32_e64 v14, s[0:1], -1, v12
	v_cndmask_b32_e32 v5, v15, v5, vcc
	v_addc_co_u32_e64 v15, s[0:1], -1, v13, s[0:1]
	v_cmp_ge_i64_e32 vcc, v[4:5], v[12:13]
	v_cmp_eq_u64_e64 s[0:1], v[4:5], v[14:15]
	s_or_b64 s[0:1], vcc, s[0:1]
	s_and_b64 s[0:1], exec, s[0:1]
	s_or_b64 s[38:39], s[0:1], s[38:39]
	s_andn2_b64 exec, exec, s[38:39]
	s_cbranch_execnz .LBB5_87
; %bb.88:
	s_or_b64 exec, exec, s[38:39]
.LBB5_89:
	v_lshlrev_b64 v[2:3], 3, v[12:13]
	v_mov_b32_e32 v14, s17
	v_add_co_u32_e32 v2, vcc, s16, v2
	v_addc_co_u32_e32 v3, vcc, v14, v3, vcc
	global_load_dwordx2 v[14:15], v[2:3], off
	v_mov_b32_e32 v3, s19
	v_add_co_u32_e32 v2, vcc, s18, v10
	v_addc_co_u32_e32 v3, vcc, v3, v11, vcc
	global_load_dword v10, v[2:3], off
	v_mov_b32_e32 v11, s31
	s_xor_b64 s[2:3], s[2:3], -1
	s_lshl_b64 s[0:1], s[26:27], 3
	s_add_u32 s18, s16, s0
	s_addc_u32 s19, s17, s1
	s_waitcnt vmcnt(1)
	v_subrev_co_u32_e32 v14, vcc, s30, v14
	v_subb_co_u32_e32 v15, vcc, v15, v11, vcc
	v_cmp_gt_i64_e32 vcc, v[14:15], v[6:7]
	v_cndmask_b32_e32 v5, v13, v5, vcc
	s_waitcnt vmcnt(0)
	v_subrev_u32_e32 v10, s30, v10
	v_cndmask_b32_e32 v4, v12, v4, vcc
	v_ashrrev_i32_e32 v11, 31, v10
	v_cmp_ne_u64_e32 vcc, v[4:5], v[10:11]
	s_and_saveexec_b64 s[38:39], vcc
	s_cbranch_execz .LBB5_97
; %bb.90:
	s_load_dwordx2 s[0:1], s[18:19], 0x0
	s_waitcnt lgkmcnt(0)
	s_sub_u32 s0, s0, s30
	s_subb_u32 s1, s1, 0
	v_cmp_gt_i64_e32 vcc, s[0:1], v[6:7]
	s_and_b64 exec, exec, vcc
	s_cbranch_execz .LBB5_97
; %bb.91:
	v_cmp_gt_i64_e32 vcc, s[4:5], v[10:11]
	v_cmp_le_i64_e64 s[0:1], s[26:27], v[10:11]
	s_or_b64 s[0:1], vcc, s[0:1]
	v_lshlrev_b64 v[4:5], 2, v[4:5]
	s_and_saveexec_b64 s[40:41], s[0:1]
	s_xor_b64 s[0:1], exec, s[40:41]
	s_cbranch_execz .LBB5_95
; %bb.92:
	v_mov_b32_e32 v15, s23
	v_add_co_u32_e32 v4, vcc, s22, v4
	v_lshlrev_b64 v[12:13], 2, v[10:11]
	v_addc_co_u32_e32 v5, vcc, v15, v5, vcc
	v_mov_b32_e32 v14, s15
	global_load_dword v15, v[4:5], off
	v_add_co_u32_e32 v4, vcc, s14, v12
	v_addc_co_u32_e32 v5, vcc, v14, v13, vcc
	global_load_dword v13, v[4:5], off
	ds_read_b32 v12, v18
	s_mov_b64 s[40:41], 0
	s_waitcnt vmcnt(1) lgkmcnt(0)
	v_mul_f32_e32 v14, v12, v15
.LBB5_93:                               ; =>This Inner Loop Header: Depth=1
	s_waitcnt vmcnt(0)
	v_add_f32_e32 v12, v13, v14
	global_atomic_cmpswap v12, v[4:5], v[12:13], off glc
	s_waitcnt vmcnt(0)
	v_cmp_eq_u32_e32 vcc, v12, v13
	s_or_b64 s[40:41], vcc, s[40:41]
	v_mov_b32_e32 v13, v12
	s_andn2_b64 exec, exec, s[40:41]
	s_cbranch_execnz .LBB5_93
; %bb.94:
	s_or_b64 exec, exec, s[40:41]
                                        ; implicit-def: $vgpr4_vgpr5
.LBB5_95:
	s_andn2_saveexec_b64 s[0:1], s[0:1]
	s_cbranch_execz .LBB5_97
; %bb.96:
	v_mov_b32_e32 v12, s23
	v_add_co_u32_e32 v4, vcc, s22, v4
	v_addc_co_u32_e32 v5, vcc, v12, v5, vcc
	global_load_dword v4, v[4:5], off
	ds_read_b32 v5, v18
	v_subrev_u32_e32 v12, s4, v10
	v_mov_b32_e32 v13, 0x1000
	v_lshl_add_u32 v12, v12, 2, v13
	s_waitcnt vmcnt(0) lgkmcnt(0)
	v_mul_f32_e32 v4, v5, v4
	ds_add_f32 v12, v4
.LBB5_97:
	s_or_b64 exec, exec, s[38:39]
	v_lshlrev_b64 v[4:5], 2, v[10:11]
	v_mov_b32_e32 v10, s23
	v_add_co_u32_e32 v4, vcc, s22, v4
	v_addc_co_u32_e32 v5, vcc, v10, v5, vcc
	global_load_dword v10, v[4:5], off
	ds_read_b32 v11, v18
	v_add_co_u32_e32 v4, vcc, 0x100, v6
	v_cndmask_b32_e64 v14, 0, 1, s[2:3]
	v_addc_co_u32_e32 v5, vcc, 0, v7, vcc
	v_pk_mov_b32 v[12:13], s[24:25], s[24:25] op_sel:[0,1]
	v_cmp_ne_u32_e64 s[0:1], 1, v14
	s_andn2_b64 vcc, exec, s[2:3]
	v_pk_mov_b32 v[14:15], s[36:37], s[36:37] op_sel:[0,1]
	s_waitcnt vmcnt(0) lgkmcnt(0)
	v_mul_f32_e32 v10, v10, v11
	ds_write_b32 v18, v10
	s_cbranch_vccnz .LBB5_101
; %bb.98:
	s_mov_b64 s[38:39], 0
	v_pk_mov_b32 v[12:13], s[24:25], s[24:25] op_sel:[0,1]
	v_pk_mov_b32 v[14:15], s[36:37], s[36:37] op_sel:[0,1]
	v_mov_b32_e32 v10, s17
	v_mov_b32_e32 v11, s31
.LBB5_99:                               ; =>This Inner Loop Header: Depth=1
	v_add_co_u32_e32 v16, vcc, v14, v12
	v_addc_co_u32_e32 v17, vcc, v15, v13, vcc
	v_lshrrev_b32_e32 v19, 31, v17
	v_add_co_u32_e32 v16, vcc, v16, v19
	v_addc_co_u32_e32 v17, vcc, 0, v17, vcc
	v_ashrrev_i64 v[16:17], 1, v[16:17]
	v_lshlrev_b64 v[20:21], 3, v[16:17]
	v_add_co_u32_e32 v20, vcc, s16, v20
	v_addc_co_u32_e32 v21, vcc, v10, v21, vcc
	global_load_dwordx2 v[20:21], v[20:21], off
	s_waitcnt vmcnt(0)
	v_subrev_co_u32_e32 v20, vcc, s30, v20
	v_subb_co_u32_e32 v21, vcc, v21, v11, vcc
	v_cmp_gt_i64_e32 vcc, v[20:21], v[4:5]
	v_cndmask_b32_e32 v14, v14, v16, vcc
	v_cndmask_b32_e32 v15, v15, v17, vcc
	;; [unrolled: 1-line block ×3, first 2 shown]
	v_add_co_u32_e64 v16, s[2:3], -1, v14
	v_cndmask_b32_e32 v13, v17, v13, vcc
	v_addc_co_u32_e64 v17, s[2:3], -1, v15, s[2:3]
	v_cmp_ge_i64_e32 vcc, v[12:13], v[14:15]
	v_cmp_eq_u64_e64 s[2:3], v[12:13], v[16:17]
	s_or_b64 s[2:3], vcc, s[2:3]
	s_and_b64 s[2:3], exec, s[2:3]
	s_or_b64 s[38:39], s[2:3], s[38:39]
	s_andn2_b64 exec, exec, s[38:39]
	s_cbranch_execnz .LBB5_99
; %bb.100:
	s_or_b64 exec, exec, s[38:39]
.LBB5_101:
	v_lshlrev_b64 v[10:11], 3, v[14:15]
	v_mov_b32_e32 v16, s17
	v_add_co_u32_e32 v10, vcc, s16, v10
	v_addc_co_u32_e32 v11, vcc, v16, v11, vcc
	global_load_dwordx2 v[16:17], v[10:11], off
	global_load_dword v19, v[2:3], off offset:1024
	v_mov_b32_e32 v11, s31
	s_waitcnt vmcnt(1)
	v_subrev_co_u32_e32 v16, vcc, s30, v16
	v_subb_co_u32_e32 v17, vcc, v17, v11, vcc
	s_waitcnt vmcnt(0)
	v_subrev_u32_e32 v10, s30, v19
	v_cmp_gt_i64_e32 vcc, v[16:17], v[4:5]
	v_cndmask_b32_e32 v13, v15, v13, vcc
	v_cndmask_b32_e32 v12, v14, v12, vcc
	v_ashrrev_i32_e32 v11, 31, v10
	v_cmp_ne_u64_e32 vcc, v[12:13], v[10:11]
	s_and_saveexec_b64 s[38:39], vcc
	s_cbranch_execz .LBB5_109
; %bb.102:
	s_load_dwordx2 s[2:3], s[18:19], 0x0
	s_waitcnt lgkmcnt(0)
	s_sub_u32 s2, s2, s30
	s_subb_u32 s3, s3, 0
	v_cmp_gt_i64_e32 vcc, s[2:3], v[4:5]
	s_and_b64 exec, exec, vcc
	s_cbranch_execz .LBB5_109
; %bb.103:
	v_cmp_gt_i64_e32 vcc, s[4:5], v[10:11]
	v_cmp_le_i64_e64 s[2:3], s[26:27], v[10:11]
	s_or_b64 s[2:3], vcc, s[2:3]
	v_lshlrev_b64 v[4:5], 2, v[12:13]
	s_and_saveexec_b64 s[40:41], s[2:3]
	s_xor_b64 s[2:3], exec, s[40:41]
	s_cbranch_execz .LBB5_107
; %bb.104:
	v_mov_b32_e32 v15, s23
	v_add_co_u32_e32 v4, vcc, s22, v4
	v_lshlrev_b64 v[12:13], 2, v[10:11]
	v_addc_co_u32_e32 v5, vcc, v15, v5, vcc
	v_mov_b32_e32 v14, s15
	global_load_dword v15, v[4:5], off
	v_add_co_u32_e32 v4, vcc, s14, v12
	v_addc_co_u32_e32 v5, vcc, v14, v13, vcc
	global_load_dword v13, v[4:5], off
	ds_read_b32 v12, v18 offset:1024
	s_mov_b64 s[40:41], 0
	s_waitcnt vmcnt(1) lgkmcnt(0)
	v_mul_f32_e32 v14, v12, v15
.LBB5_105:                              ; =>This Inner Loop Header: Depth=1
	s_waitcnt vmcnt(0)
	v_add_f32_e32 v12, v13, v14
	global_atomic_cmpswap v12, v[4:5], v[12:13], off glc
	s_waitcnt vmcnt(0)
	v_cmp_eq_u32_e32 vcc, v12, v13
	s_or_b64 s[40:41], vcc, s[40:41]
	v_mov_b32_e32 v13, v12
	s_andn2_b64 exec, exec, s[40:41]
	s_cbranch_execnz .LBB5_105
; %bb.106:
	s_or_b64 exec, exec, s[40:41]
                                        ; implicit-def: $vgpr4_vgpr5
.LBB5_107:
	s_andn2_saveexec_b64 s[2:3], s[2:3]
	s_cbranch_execz .LBB5_109
; %bb.108:
	v_mov_b32_e32 v12, s23
	v_add_co_u32_e32 v4, vcc, s22, v4
	v_addc_co_u32_e32 v5, vcc, v12, v5, vcc
	global_load_dword v4, v[4:5], off
	ds_read_b32 v5, v18 offset:1024
	v_subrev_u32_e32 v12, s4, v10
	v_mov_b32_e32 v13, 0x1000
	v_lshl_add_u32 v12, v12, 2, v13
	s_waitcnt vmcnt(0) lgkmcnt(0)
	v_mul_f32_e32 v4, v5, v4
	ds_add_f32 v12, v4
.LBB5_109:
	s_or_b64 exec, exec, s[38:39]
	v_lshlrev_b64 v[4:5], 2, v[10:11]
	v_mov_b32_e32 v10, s23
	v_add_co_u32_e32 v4, vcc, s22, v4
	v_addc_co_u32_e32 v5, vcc, v10, v5, vcc
	global_load_dword v12, v[4:5], off
	ds_read_b32 v13, v18 offset:1024
	v_add_co_u32_e32 v4, vcc, 0x200, v6
	v_addc_co_u32_e32 v5, vcc, 0, v7, vcc
	v_pk_mov_b32 v[10:11], s[24:25], s[24:25] op_sel:[0,1]
	s_and_b64 vcc, exec, s[0:1]
	s_waitcnt vmcnt(0) lgkmcnt(0)
	v_mul_f32_e32 v6, v12, v13
	v_pk_mov_b32 v[12:13], s[36:37], s[36:37] op_sel:[0,1]
	ds_write_b32 v18, v6 offset:1024
	s_cbranch_vccnz .LBB5_113
; %bb.110:
	s_mov_b64 s[38:39], 0
	v_pk_mov_b32 v[10:11], s[24:25], s[24:25] op_sel:[0,1]
	v_pk_mov_b32 v[12:13], s[36:37], s[36:37] op_sel:[0,1]
	v_mov_b32_e32 v6, s17
	v_mov_b32_e32 v7, s31
.LBB5_111:                              ; =>This Inner Loop Header: Depth=1
	v_add_co_u32_e32 v14, vcc, v12, v10
	v_addc_co_u32_e32 v15, vcc, v13, v11, vcc
	v_lshrrev_b32_e32 v16, 31, v15
	v_add_co_u32_e32 v14, vcc, v14, v16
	v_addc_co_u32_e32 v15, vcc, 0, v15, vcc
	v_ashrrev_i64 v[14:15], 1, v[14:15]
	v_lshlrev_b64 v[16:17], 3, v[14:15]
	v_add_co_u32_e32 v16, vcc, s16, v16
	v_addc_co_u32_e32 v17, vcc, v6, v17, vcc
	global_load_dwordx2 v[16:17], v[16:17], off
	s_waitcnt vmcnt(0)
	v_subrev_co_u32_e32 v16, vcc, s30, v16
	v_subb_co_u32_e32 v17, vcc, v17, v7, vcc
	v_cmp_gt_i64_e32 vcc, v[16:17], v[4:5]
	v_cndmask_b32_e32 v12, v12, v14, vcc
	v_cndmask_b32_e32 v13, v13, v15, vcc
	;; [unrolled: 1-line block ×3, first 2 shown]
	v_add_co_u32_e64 v14, s[2:3], -1, v12
	v_cndmask_b32_e32 v11, v15, v11, vcc
	v_addc_co_u32_e64 v15, s[2:3], -1, v13, s[2:3]
	v_cmp_ge_i64_e32 vcc, v[10:11], v[12:13]
	v_cmp_eq_u64_e64 s[2:3], v[10:11], v[14:15]
	s_or_b64 s[2:3], vcc, s[2:3]
	s_and_b64 s[2:3], exec, s[2:3]
	s_or_b64 s[38:39], s[2:3], s[38:39]
	s_andn2_b64 exec, exec, s[38:39]
	s_cbranch_execnz .LBB5_111
; %bb.112:
	s_or_b64 exec, exec, s[38:39]
.LBB5_113:
	v_lshlrev_b64 v[6:7], 3, v[12:13]
	v_mov_b32_e32 v14, s17
	v_add_co_u32_e32 v6, vcc, s16, v6
	v_addc_co_u32_e32 v7, vcc, v14, v7, vcc
	global_load_dwordx2 v[14:15], v[6:7], off
	global_load_dword v16, v[2:3], off offset:2048
	v_mov_b32_e32 v7, s31
	s_waitcnt vmcnt(1)
	v_subrev_co_u32_e32 v14, vcc, s30, v14
	v_subb_co_u32_e32 v15, vcc, v15, v7, vcc
	s_waitcnt vmcnt(0)
	v_subrev_u32_e32 v6, s30, v16
	v_cmp_gt_i64_e32 vcc, v[14:15], v[4:5]
	v_cndmask_b32_e32 v11, v13, v11, vcc
	v_cndmask_b32_e32 v10, v12, v10, vcc
	v_ashrrev_i32_e32 v7, 31, v6
	v_cmp_ne_u64_e32 vcc, v[10:11], v[6:7]
	s_and_saveexec_b64 s[38:39], vcc
	s_cbranch_execz .LBB5_121
; %bb.114:
	s_load_dwordx2 s[2:3], s[18:19], 0x0
	s_waitcnt lgkmcnt(0)
	s_sub_u32 s2, s2, s30
	s_subb_u32 s3, s3, 0
	v_cmp_gt_i64_e32 vcc, s[2:3], v[4:5]
	s_and_b64 exec, exec, vcc
	s_cbranch_execz .LBB5_121
; %bb.115:
	v_cmp_gt_i64_e32 vcc, s[4:5], v[6:7]
	v_cmp_le_i64_e64 s[2:3], s[26:27], v[6:7]
	s_or_b64 s[2:3], vcc, s[2:3]
	v_lshlrev_b64 v[4:5], 2, v[10:11]
	s_and_saveexec_b64 s[40:41], s[2:3]
	s_xor_b64 s[2:3], exec, s[40:41]
	s_cbranch_execz .LBB5_119
; %bb.116:
	v_mov_b32_e32 v13, s23
	v_add_co_u32_e32 v4, vcc, s22, v4
	v_lshlrev_b64 v[10:11], 2, v[6:7]
	v_addc_co_u32_e32 v5, vcc, v13, v5, vcc
	v_mov_b32_e32 v12, s15
	global_load_dword v13, v[4:5], off
	v_add_co_u32_e32 v4, vcc, s14, v10
	v_addc_co_u32_e32 v5, vcc, v12, v11, vcc
	global_load_dword v11, v[4:5], off
	ds_read_b32 v10, v18 offset:2048
	s_mov_b64 s[40:41], 0
	s_waitcnt vmcnt(1) lgkmcnt(0)
	v_mul_f32_e32 v12, v10, v13
.LBB5_117:                              ; =>This Inner Loop Header: Depth=1
	s_waitcnt vmcnt(0)
	v_add_f32_e32 v10, v11, v12
	global_atomic_cmpswap v10, v[4:5], v[10:11], off glc
	s_waitcnt vmcnt(0)
	v_cmp_eq_u32_e32 vcc, v10, v11
	s_or_b64 s[40:41], vcc, s[40:41]
	v_mov_b32_e32 v11, v10
	s_andn2_b64 exec, exec, s[40:41]
	s_cbranch_execnz .LBB5_117
; %bb.118:
	s_or_b64 exec, exec, s[40:41]
                                        ; implicit-def: $vgpr4_vgpr5
.LBB5_119:
	s_andn2_saveexec_b64 s[2:3], s[2:3]
	s_cbranch_execz .LBB5_121
; %bb.120:
	v_mov_b32_e32 v10, s23
	v_add_co_u32_e32 v4, vcc, s22, v4
	v_addc_co_u32_e32 v5, vcc, v10, v5, vcc
	global_load_dword v4, v[4:5], off
	ds_read_b32 v5, v18 offset:2048
	v_subrev_u32_e32 v10, s4, v6
	v_mov_b32_e32 v11, 0x1000
	v_lshl_add_u32 v10, v10, 2, v11
	s_waitcnt vmcnt(0) lgkmcnt(0)
	v_mul_f32_e32 v4, v5, v4
	ds_add_f32 v10, v4
.LBB5_121:
	s_or_b64 exec, exec, s[38:39]
	v_lshlrev_b64 v[4:5], 2, v[6:7]
	v_mov_b32_e32 v6, s23
	v_add_co_u32_e32 v4, vcc, s22, v4
	v_addc_co_u32_e32 v5, vcc, v6, v5, vcc
	global_load_dword v6, v[4:5], off
	ds_read_b32 v7, v18 offset:2048
	s_and_b64 vcc, exec, s[0:1]
	v_pk_mov_b32 v[4:5], s[24:25], s[24:25] op_sel:[0,1]
	s_waitcnt vmcnt(0) lgkmcnt(0)
	v_mul_f32_e32 v6, v6, v7
	ds_write_b32 v18, v6 offset:2048
	v_pk_mov_b32 v[6:7], s[36:37], s[36:37] op_sel:[0,1]
	s_cbranch_vccnz .LBB5_125
; %bb.122:
	s_mov_b64 s[2:3], 0
	v_pk_mov_b32 v[4:5], s[24:25], s[24:25] op_sel:[0,1]
	v_pk_mov_b32 v[6:7], s[36:37], s[36:37] op_sel:[0,1]
	v_mov_b32_e32 v10, s17
	v_mov_b32_e32 v11, s31
.LBB5_123:                              ; =>This Inner Loop Header: Depth=1
	v_add_co_u32_e32 v12, vcc, v6, v4
	v_addc_co_u32_e32 v13, vcc, v7, v5, vcc
	v_lshrrev_b32_e32 v14, 31, v13
	v_add_co_u32_e32 v12, vcc, v12, v14
	v_addc_co_u32_e32 v13, vcc, 0, v13, vcc
	v_ashrrev_i64 v[12:13], 1, v[12:13]
	v_lshlrev_b64 v[14:15], 3, v[12:13]
	v_add_co_u32_e32 v14, vcc, s16, v14
	v_addc_co_u32_e32 v15, vcc, v10, v15, vcc
	global_load_dwordx2 v[14:15], v[14:15], off
	s_waitcnt vmcnt(0)
	v_subrev_co_u32_e32 v14, vcc, s30, v14
	v_subb_co_u32_e32 v15, vcc, v15, v11, vcc
	v_cmp_gt_i64_e32 vcc, v[14:15], v[8:9]
	v_cndmask_b32_e32 v6, v6, v12, vcc
	v_cndmask_b32_e32 v7, v7, v13, vcc
	;; [unrolled: 1-line block ×3, first 2 shown]
	v_add_co_u32_e64 v12, s[0:1], -1, v6
	v_cndmask_b32_e32 v5, v13, v5, vcc
	v_addc_co_u32_e64 v13, s[0:1], -1, v7, s[0:1]
	v_cmp_ge_i64_e32 vcc, v[4:5], v[6:7]
	v_cmp_eq_u64_e64 s[0:1], v[4:5], v[12:13]
	s_or_b64 s[0:1], vcc, s[0:1]
	s_and_b64 s[0:1], exec, s[0:1]
	s_or_b64 s[2:3], s[0:1], s[2:3]
	s_andn2_b64 exec, exec, s[2:3]
	s_cbranch_execnz .LBB5_123
; %bb.124:
	s_or_b64 exec, exec, s[2:3]
.LBB5_125:
	v_lshlrev_b64 v[10:11], 3, v[6:7]
	v_mov_b32_e32 v12, s17
	global_load_dword v13, v[2:3], off offset:3072
	v_add_co_u32_e32 v2, vcc, s16, v10
	v_addc_co_u32_e32 v3, vcc, v12, v11, vcc
	global_load_dwordx2 v[10:11], v[2:3], off
	v_mov_b32_e32 v3, s31
	s_waitcnt vmcnt(1)
	v_subrev_u32_e32 v2, s30, v13
	s_waitcnt vmcnt(0)
	v_subrev_co_u32_e32 v10, vcc, s30, v10
	v_subb_co_u32_e32 v11, vcc, v11, v3, vcc
	v_cmp_gt_i64_e32 vcc, v[10:11], v[8:9]
	v_cndmask_b32_e32 v5, v7, v5, vcc
	v_cndmask_b32_e32 v4, v6, v4, vcc
	v_ashrrev_i32_e32 v3, 31, v2
	v_cmp_ne_u64_e32 vcc, v[4:5], v[2:3]
	s_and_saveexec_b64 s[2:3], vcc
	s_cbranch_execz .LBB5_133
; %bb.126:
	s_load_dwordx2 s[0:1], s[18:19], 0x0
	s_waitcnt lgkmcnt(0)
	s_sub_u32 s0, s0, s30
	s_subb_u32 s1, s1, 0
	v_cmp_gt_i64_e32 vcc, s[0:1], v[8:9]
	s_and_b64 exec, exec, vcc
	s_cbranch_execz .LBB5_133
; %bb.127:
	v_cmp_gt_i64_e32 vcc, s[4:5], v[2:3]
	v_cmp_le_i64_e64 s[0:1], s[26:27], v[2:3]
	s_or_b64 s[0:1], vcc, s[0:1]
	v_lshlrev_b64 v[4:5], 2, v[4:5]
	s_and_saveexec_b64 s[18:19], s[0:1]
	s_xor_b64 s[0:1], exec, s[18:19]
	s_cbranch_execz .LBB5_131
; %bb.128:
	v_mov_b32_e32 v9, s23
	v_add_co_u32_e32 v4, vcc, s22, v4
	v_lshlrev_b64 v[6:7], 2, v[2:3]
	v_addc_co_u32_e32 v5, vcc, v9, v5, vcc
	v_mov_b32_e32 v8, s15
	global_load_dword v9, v[4:5], off
	v_add_co_u32_e32 v4, vcc, s14, v6
	v_addc_co_u32_e32 v5, vcc, v8, v7, vcc
	global_load_dword v7, v[4:5], off
	ds_read_b32 v6, v18 offset:3072
	s_mov_b64 s[18:19], 0
	s_waitcnt vmcnt(1) lgkmcnt(0)
	v_mul_f32_e32 v8, v6, v9
.LBB5_129:                              ; =>This Inner Loop Header: Depth=1
	s_waitcnt vmcnt(0)
	v_add_f32_e32 v6, v7, v8
	global_atomic_cmpswap v6, v[4:5], v[6:7], off glc
	s_waitcnt vmcnt(0)
	v_cmp_eq_u32_e32 vcc, v6, v7
	s_or_b64 s[18:19], vcc, s[18:19]
	v_mov_b32_e32 v7, v6
	s_andn2_b64 exec, exec, s[18:19]
	s_cbranch_execnz .LBB5_129
; %bb.130:
	s_or_b64 exec, exec, s[18:19]
                                        ; implicit-def: $vgpr4_vgpr5
.LBB5_131:
	s_andn2_saveexec_b64 s[0:1], s[0:1]
	s_cbranch_execz .LBB5_133
; %bb.132:
	v_mov_b32_e32 v6, s23
	v_add_co_u32_e32 v4, vcc, s22, v4
	v_addc_co_u32_e32 v5, vcc, v6, v5, vcc
	global_load_dword v4, v[4:5], off
	ds_read_b32 v5, v18 offset:3072
	v_subrev_u32_e32 v6, s4, v2
	v_mov_b32_e32 v7, 0x1000
	v_lshl_add_u32 v6, v6, 2, v7
	s_waitcnt vmcnt(0) lgkmcnt(0)
	v_mul_f32_e32 v4, v5, v4
	ds_add_f32 v6, v4
.LBB5_133:
	s_or_b64 exec, exec, s[2:3]
	v_lshlrev_b64 v[2:3], 2, v[2:3]
	v_mov_b32_e32 v4, s23
	v_add_co_u32_e32 v2, vcc, s22, v2
	v_addc_co_u32_e32 v3, vcc, v4, v3, vcc
	global_load_dword v2, v[2:3], off
	ds_read_b32 v3, v18 offset:3072
	s_waitcnt vmcnt(0) lgkmcnt(0)
	v_mul_f32_e32 v2, v2, v3
	ds_write_b32 v18, v2 offset:3072
.LBB5_134:
	s_or_b64 exec, exec, s[20:21]
	v_pk_mov_b32 v[2:3], s[6:7], s[6:7] op_sel:[0,1]
	v_cmp_lt_i64_e32 vcc, s[26:27], v[2:3]
	s_and_b64 s[0:1], vcc, exec
	s_cselect_b32 s18, s26, s6
	s_cselect_b32 s0, s27, s7
	s_sub_u32 s2, s18, s28
	s_subb_u32 s3, s0, s29
	v_cmp_gt_i64_e32 vcc, s[2:3], v[0:1]
	s_waitcnt lgkmcnt(0)
	s_barrier
	s_and_saveexec_b64 s[0:1], vcc
	s_cbranch_execz .LBB5_139
; %bb.135:
	s_lshl_b64 s[4:5], s[4:5], 2
	s_add_u32 s19, s14, s4
	s_addc_u32 s6, s15, s5
	s_mov_b64 s[4:5], 0
	v_mov_b32_e32 v8, s6
	v_mov_b32_e32 v9, 0x1000
	v_pk_mov_b32 v[2:3], v[0:1], v[0:1] op_sel:[0,1]
.LBB5_136:                              ; =>This Loop Header: Depth=1
                                        ;     Child Loop BB5_137 Depth 2
	v_lshlrev_b64 v[4:5], 2, v[2:3]
	v_add_co_u32_e32 v4, vcc, s19, v4
	v_addc_co_u32_e32 v5, vcc, v8, v5, vcc
	global_load_dword v7, v[4:5], off
	v_lshl_add_u32 v6, v2, 2, v9
	ds_read_b32 v10, v6
	s_mov_b64 s[6:7], 0
.LBB5_137:                              ;   Parent Loop BB5_136 Depth=1
                                        ; =>  This Inner Loop Header: Depth=2
	s_waitcnt vmcnt(0) lgkmcnt(0)
	v_add_f32_e32 v6, v7, v10
	global_atomic_cmpswap v6, v[4:5], v[6:7], off glc
	s_waitcnt vmcnt(0)
	v_cmp_eq_u32_e32 vcc, v6, v7
	s_or_b64 s[6:7], vcc, s[6:7]
	v_mov_b32_e32 v7, v6
	s_andn2_b64 exec, exec, s[6:7]
	s_cbranch_execnz .LBB5_137
; %bb.138:                              ;   in Loop: Header=BB5_136 Depth=1
	s_or_b64 exec, exec, s[6:7]
	v_add_co_u32_e32 v2, vcc, 0x100, v2
	v_addc_co_u32_e32 v3, vcc, 0, v3, vcc
	v_cmp_le_i64_e32 vcc, s[2:3], v[2:3]
	s_or_b64 s[4:5], vcc, s[4:5]
	s_andn2_b64 exec, exec, s[4:5]
	s_cbranch_execnz .LBB5_136
.LBB5_139:
	s_or_b64 exec, exec, s[0:1]
	s_add_i32 s0, s34, -1
	s_ashr_i32 s1, s0, 1
	s_or_b32 s0, s1, s0
	s_ashr_i32 s1, s0, 2
	s_or_b32 s0, s1, s0
	;; [unrolled: 2-line block ×5, first 2 shown]
	s_add_i32 s3, s3, 1
	s_ashr_i32 s20, s3, 1
	v_mov_b32_e32 v2, s25
	v_add_co_u32_e32 v6, vcc, s24, v0
	v_addc_co_u32_e32 v7, vcc, 0, v2, vcc
	s_cmp_gt_i32 s20, 1
	s_mov_b64 s[0:1], -1
	s_barrier
	s_cbranch_scc1 .LBB5_150
; %bb.140:
	v_cmp_gt_i64_e32 vcc, s[26:27], v[6:7]
	s_and_saveexec_b64 s[0:1], vcc
	s_cbranch_execz .LBB5_149
; %bb.141:
	s_sub_i32 s4, s18, s26
	s_lshl_b32 s4, s4, 2
	s_add_i32 s21, s4, 0x1000
	s_lshl_b32 s4, s8, 2
	s_sub_i32 s22, 0, s4
	s_mov_b64 s[4:5], 0
	v_mov_b32_e32 v12, s17
	v_mov_b32_e32 v13, s15
	;; [unrolled: 1-line block ×3, first 2 shown]
	v_pk_mov_b32 v[8:9], v[6:7], v[6:7] op_sel:[0,1]
.LBB5_142:                              ; =>This Loop Header: Depth=1
                                        ;     Child Loop BB5_144 Depth 2
                                        ;     Child Loop BB5_147 Depth 2
	v_lshlrev_b64 v[2:3], 3, v[8:9]
	v_add_co_u32_e32 v2, vcc, s16, v2
	v_addc_co_u32_e32 v3, vcc, v12, v3, vcc
	global_load_dwordx4 v[2:5], v[2:3], off
	v_mov_b32_e32 v15, 0
	s_waitcnt vmcnt(0)
	v_cmp_lt_i64_e32 vcc, v[2:3], v[4:5]
	s_and_saveexec_b64 s[6:7], vcc
	s_cbranch_execz .LBB5_146
; %bb.143:                              ;   in Loop: Header=BB5_142 Depth=1
	v_mov_b32_e32 v11, s9
	v_subrev_co_u32_e32 v4, vcc, s8, v4
	v_subb_co_u32_e32 v5, vcc, v5, v11, vcc
	v_subrev_co_u32_e32 v10, vcc, s8, v2
	v_subb_co_u32_e32 v11, vcc, v3, v11, vcc
	v_lshl_add_u32 v2, v2, 2, s22
	s_mov_b64 s[18:19], 0
	v_mov_b32_e32 v15, 0
.LBB5_144:                              ;   Parent Loop BB5_142 Depth=1
                                        ; =>  This Inner Loop Header: Depth=2
	ds_read_b32 v3, v2
	v_add_co_u32_e32 v10, vcc, 1, v10
	v_addc_co_u32_e32 v11, vcc, 0, v11, vcc
	v_cmp_ge_i64_e32 vcc, v[10:11], v[4:5]
	v_add_u32_e32 v2, 4, v2
	s_or_b64 s[18:19], vcc, s[18:19]
	s_waitcnt lgkmcnt(0)
	v_add_f32_e32 v15, v15, v3
	s_andn2_b64 exec, exec, s[18:19]
	s_cbranch_execnz .LBB5_144
; %bb.145:                              ;   in Loop: Header=BB5_142 Depth=1
	s_or_b64 exec, exec, s[18:19]
.LBB5_146:                              ;   in Loop: Header=BB5_142 Depth=1
	s_or_b64 exec, exec, s[6:7]
	v_lshlrev_b64 v[2:3], 2, v[8:9]
	v_add_co_u32_e32 v2, vcc, s14, v2
	v_addc_co_u32_e32 v3, vcc, v13, v3, vcc
	global_load_dword v5, v[2:3], off
	v_lshl_add_u32 v4, v8, 2, s21
	ds_read_b32 v4, v4
	s_mov_b64 s[6:7], 0
	s_waitcnt lgkmcnt(0)
	v_add_f32_e32 v10, v15, v4
.LBB5_147:                              ;   Parent Loop BB5_142 Depth=1
                                        ; =>  This Inner Loop Header: Depth=2
	s_waitcnt vmcnt(0)
	v_add_f32_e32 v4, v5, v10
	global_atomic_cmpswap v4, v[2:3], v[4:5], off glc
	s_waitcnt vmcnt(0)
	v_cmp_eq_u32_e32 vcc, v4, v5
	s_or_b64 s[6:7], vcc, s[6:7]
	v_mov_b32_e32 v5, v4
	s_andn2_b64 exec, exec, s[6:7]
	s_cbranch_execnz .LBB5_147
; %bb.148:                              ;   in Loop: Header=BB5_142 Depth=1
	s_or_b64 exec, exec, s[6:7]
	v_add_co_u32_e32 v8, vcc, s12, v8
	v_addc_co_u32_e32 v9, vcc, v9, v14, vcc
	v_cmp_le_i64_e32 vcc, s[26:27], v[8:9]
	s_or_b64 s[4:5], vcc, s[4:5]
	s_andn2_b64 exec, exec, s[4:5]
	s_cbranch_execnz .LBB5_142
.LBB5_149:
	s_or_b64 exec, exec, s[0:1]
	s_mov_b64 s[0:1], 0
.LBB5_150:
	s_andn2_b64 vcc, exec, s[0:1]
	s_cbranch_vccnz .LBB5_179
; %bb.151:
	v_cvt_f32_u32_e32 v14, s20
	s_sub_i32 s6, 0, s20
	v_mov_b32_e32 v11, 0
	v_mov_b32_e32 v4, s11
	v_rcp_iflag_f32_e32 v2, v14
	v_mov_b32_e32 v12, s9
	v_mul_f32_e32 v2, 0x4f7ffffe, v2
	v_cvt_u32_f32_e32 v2, v2
	v_mul_lo_u32 v3, s6, v2
	v_mul_hi_u32 v3, v2, v3
	v_add_u32_e32 v2, v2, v3
	v_mul_hi_u32 v2, v0, v2
	v_mul_lo_u32 v3, v2, s20
	v_sub_u32_e32 v3, v0, v3
	v_add_u32_e32 v5, 1, v2
	v_cmp_le_u32_e32 vcc, s20, v3
	v_cndmask_b32_e32 v2, v2, v5, vcc
	v_subrev_u32_e32 v5, s20, v3
	v_cndmask_b32_e32 v3, v3, v5, vcc
	v_add_u32_e32 v5, 1, v2
	v_cmp_le_u32_e32 vcc, s20, v3
	v_cndmask_b32_e32 v10, v2, v5, vcc
	v_lshlrev_b64 v[2:3], 3, v[10:11]
	v_add_co_u32_e32 v2, vcc, s10, v2
	v_addc_co_u32_e32 v3, vcc, v4, v3, vcc
	global_load_dwordx4 v[2:5], v[2:3], off
	s_waitcnt vmcnt(0)
	v_subrev_co_u32_e32 v8, vcc, s8, v2
	v_subb_co_u32_e32 v9, vcc, v3, v12, vcc
	v_subrev_co_u32_e32 v16, vcc, s8, v4
	v_subb_co_u32_e32 v17, vcc, v5, v12, vcc
	v_sub_co_u32_e32 v3, vcc, v16, v8
	v_subb_co_u32_e32 v13, vcc, v17, v9, vcc
	v_mov_b32_e32 v12, v11
	v_cmp_ne_u64_e32 vcc, 0, v[12:13]
                                        ; implicit-def: $vgpr4_vgpr5
	s_and_saveexec_b64 s[0:1], vcc
	s_xor_b64 s[4:5], exec, s[0:1]
	s_cbranch_execz .LBB5_153
; %bb.152:
	v_cvt_f32_ubyte0_e32 v4, 0
	v_madmk_f32 v4, v4, 0x4f800000, v14
	v_rcp_f32_e32 v4, v4
	s_sub_u32 s0, 0, s20
	s_subb_u32 s1, 0, 0
	v_mul_f32_e32 v4, 0x5f7ffffc, v4
	v_mul_f32_e32 v5, 0x2f800000, v4
	v_trunc_f32_e32 v5, v5
	v_madmk_f32 v4, v5, 0xcf800000, v4
	v_cvt_u32_f32_e32 v5, v5
	v_cvt_u32_f32_e32 v4, v4
	v_mul_lo_u32 v12, s0, v5
	v_mul_hi_u32 v15, s0, v4
	v_mul_lo_u32 v14, s1, v4
	v_add_u32_e32 v12, v15, v12
	v_add_u32_e32 v12, v12, v14
	v_mul_lo_u32 v19, s0, v4
	v_mul_lo_u32 v15, v4, v12
	v_mul_hi_u32 v20, v4, v19
	v_mul_hi_u32 v14, v4, v12
	v_add_co_u32_e32 v15, vcc, v20, v15
	v_addc_co_u32_e32 v14, vcc, 0, v14, vcc
	v_mul_hi_u32 v21, v5, v19
	v_mul_lo_u32 v19, v5, v19
	v_add_co_u32_e32 v15, vcc, v15, v19
	v_mul_hi_u32 v20, v5, v12
	v_addc_co_u32_e32 v14, vcc, v14, v21, vcc
	v_addc_co_u32_e32 v15, vcc, 0, v20, vcc
	v_mul_lo_u32 v12, v5, v12
	v_add_co_u32_e32 v12, vcc, v14, v12
	v_addc_co_u32_e32 v14, vcc, 0, v15, vcc
	v_add_co_u32_e32 v4, vcc, v4, v12
	v_addc_co_u32_e32 v5, vcc, v5, v14, vcc
	v_mul_lo_u32 v12, s0, v5
	v_mul_hi_u32 v14, s0, v4
	v_add_u32_e32 v12, v14, v12
	v_mul_lo_u32 v14, s1, v4
	v_add_u32_e32 v12, v12, v14
	v_mul_lo_u32 v15, s0, v4
	v_mul_hi_u32 v19, v5, v15
	v_mul_lo_u32 v20, v5, v15
	v_mul_lo_u32 v22, v4, v12
	v_mul_hi_u32 v15, v4, v15
	v_mul_hi_u32 v21, v4, v12
	v_add_co_u32_e32 v15, vcc, v15, v22
	v_addc_co_u32_e32 v21, vcc, 0, v21, vcc
	v_add_co_u32_e32 v15, vcc, v15, v20
	v_mul_hi_u32 v14, v5, v12
	v_addc_co_u32_e32 v15, vcc, v21, v19, vcc
	v_addc_co_u32_e32 v14, vcc, 0, v14, vcc
	v_mul_lo_u32 v12, v5, v12
	v_add_co_u32_e32 v12, vcc, v15, v12
	v_addc_co_u32_e32 v14, vcc, 0, v14, vcc
	v_add_co_u32_e32 v12, vcc, v4, v12
	v_addc_co_u32_e32 v14, vcc, v5, v14, vcc
	v_ashrrev_i32_e32 v15, 31, v13
	v_add_co_u32_e32 v3, vcc, v3, v15
	v_addc_co_u32_e32 v4, vcc, v13, v15, vcc
	v_xor_b32_e32 v3, v3, v15
	v_xor_b32_e32 v19, v4, v15
	v_mad_u64_u32 v[4:5], s[0:1], v3, v14, 0
	v_mul_hi_u32 v13, v3, v12
	v_add_co_u32_e32 v20, vcc, v13, v4
	v_addc_co_u32_e32 v21, vcc, 0, v5, vcc
	v_mad_u64_u32 v[12:13], s[0:1], v19, v12, 0
	v_add_co_u32_e32 v12, vcc, v20, v12
	v_mad_u64_u32 v[4:5], s[0:1], v19, v14, 0
	v_addc_co_u32_e32 v12, vcc, v21, v13, vcc
	v_addc_co_u32_e32 v5, vcc, 0, v5, vcc
	v_add_co_u32_e32 v14, vcc, v12, v4
	v_addc_co_u32_e32 v20, vcc, 0, v5, vcc
	v_mad_u64_u32 v[4:5], s[0:1], s20, v14, 0
	v_mov_b32_e32 v12, v5
	v_mad_u64_u32 v[12:13], s[0:1], s20, v20, v[12:13]
	v_sub_co_u32_e32 v3, vcc, v3, v4
	v_subb_co_u32_e32 v4, vcc, v19, v12, vcc
	v_subrev_co_u32_e32 v5, vcc, s20, v3
	v_subbrev_co_u32_e32 v12, vcc, 0, v4, vcc
	v_cmp_le_u32_e32 vcc, s20, v5
	v_cndmask_b32_e64 v5, 0, -1, vcc
	v_cmp_eq_u32_e32 vcc, 0, v12
	v_cndmask_b32_e32 v5, -1, v5, vcc
	v_add_co_u32_e32 v12, vcc, 2, v14
	v_addc_co_u32_e32 v13, vcc, 0, v20, vcc
	v_add_co_u32_e32 v19, vcc, 1, v14
	v_cmp_le_u32_e64 s[0:1], s20, v3
	v_addc_co_u32_e32 v21, vcc, 0, v20, vcc
	v_cndmask_b32_e64 v3, 0, -1, s[0:1]
	v_cmp_eq_u32_e64 s[0:1], 0, v4
	v_cmp_ne_u32_e32 vcc, 0, v5
	v_cndmask_b32_e64 v3, -1, v3, s[0:1]
	v_cmp_ne_u32_e64 s[0:1], 0, v3
	v_cndmask_b32_e32 v4, v19, v12, vcc
	v_cndmask_b32_e32 v5, v21, v13, vcc
	v_cndmask_b32_e64 v4, v14, v4, s[0:1]
	v_cndmask_b32_e64 v3, v20, v5, s[0:1]
	v_xor_b32_e32 v4, v4, v15
	v_xor_b32_e32 v3, v3, v15
	v_sub_co_u32_e32 v4, vcc, v4, v15
	v_subb_co_u32_e32 v5, vcc, v3, v15, vcc
                                        ; implicit-def: $vgpr3
.LBB5_153:
	s_andn2_saveexec_b64 s[0:1], s[4:5]
	s_cbranch_execz .LBB5_155
; %bb.154:
	v_cvt_f32_u32_e32 v4, s20
	v_rcp_iflag_f32_e32 v4, v4
	v_mul_f32_e32 v4, 0x4f7ffffe, v4
	v_cvt_u32_f32_e32 v4, v4
	v_mul_lo_u32 v5, s6, v4
	v_mul_hi_u32 v5, v4, v5
	v_add_u32_e32 v4, v4, v5
	v_mul_hi_u32 v4, v3, v4
	v_mul_lo_u32 v5, v4, s20
	v_sub_u32_e32 v3, v3, v5
	v_add_u32_e32 v12, 1, v4
	v_subrev_u32_e32 v5, s20, v3
	v_cmp_le_u32_e32 vcc, s20, v3
	v_cndmask_b32_e32 v3, v3, v5, vcc
	v_cndmask_b32_e32 v4, v4, v12, vcc
	v_add_u32_e32 v5, 1, v4
	v_cmp_le_u32_e32 vcc, s20, v3
	v_cndmask_b32_e32 v4, v4, v5, vcc
	v_mov_b32_e32 v5, 0
.LBB5_155:
	s_or_b64 exec, exec, s[0:1]
	v_cmp_gt_i64_e32 vcc, s[28:29], v[10:11]
	v_mov_b32_e32 v19, 0
	s_and_saveexec_b64 s[0:1], vcc
	s_cbranch_execz .LBB5_169
; %bb.156:
	s_add_i32 s4, s20, -1
	v_and_b32_e32 v10, s4, v0
	v_cmp_lt_i64_e32 vcc, 0, v[4:5]
	v_mov_b32_e32 v19, 0
	s_and_saveexec_b64 s[4:5], vcc
	s_cbranch_execz .LBB5_166
; %bb.157:
	v_cmp_lt_u64_e32 vcc, 3, v[4:5]
	v_pk_mov_b32 v[12:13], 0, 0
	v_mov_b32_e32 v19, 0
	s_and_saveexec_b64 s[6:7], vcc
	s_cbranch_execz .LBB5_161
; %bb.158:
	s_lshl_b32 s10, s8, 2
	s_lshl_b32 s11, s20, 3
	;; [unrolled: 1-line block ×3, first 2 shown]
	v_lshlrev_b32_e32 v3, 2, v2
	s_sub_i32 s17, s11, s10
	s_mul_i32 s11, s20, 12
	v_and_b32_e32 v13, 0x7fffffff, v5
	v_and_b32_e32 v12, -4, v4
	s_sub_i32 s9, s9, s10
	v_lshl_add_u32 v3, v10, 2, v3
	s_lshl_b32 s16, s20, 4
	s_sub_i32 s18, s11, s10
	s_sub_i32 s19, 0, s10
	s_mov_b64 s[10:11], 0
	v_mov_b32_e32 v19, 0
	s_mov_b64 s[12:13], 0
.LBB5_159:                              ; =>This Inner Loop Header: Depth=1
	v_add_u32_e32 v11, s19, v3
	v_add_u32_e32 v14, s9, v3
	v_add_u32_e32 v15, s17, v3
	v_add_u32_e32 v20, s18, v3
	ds_read_b32 v11, v11
	ds_read_b32 v14, v14
	;; [unrolled: 1-line block ×4, first 2 shown]
	s_add_u32 s12, s12, 4
	s_waitcnt lgkmcnt(3)
	v_add_f32_e32 v11, v19, v11
	s_addc_u32 s13, s13, 0
	s_waitcnt lgkmcnt(2)
	v_add_f32_e32 v11, v11, v14
	v_cmp_eq_u64_e32 vcc, s[12:13], v[12:13]
	s_waitcnt lgkmcnt(1)
	v_add_f32_e32 v11, v11, v15
	v_add_u32_e32 v3, s16, v3
	s_or_b64 s[10:11], vcc, s[10:11]
	s_waitcnt lgkmcnt(0)
	v_add_f32_e32 v19, v11, v20
	s_andn2_b64 exec, exec, s[10:11]
	s_cbranch_execnz .LBB5_159
; %bb.160:
	s_or_b64 exec, exec, s[10:11]
.LBB5_161:
	s_or_b64 exec, exec, s[6:7]
	v_and_b32_e32 v14, 3, v4
	v_mov_b32_e32 v15, 0
	s_mov_b64 s[10:11], 0
	v_cmp_ne_u64_e32 vcc, 0, v[14:15]
	s_and_saveexec_b64 s[6:7], vcc
	s_cbranch_execz .LBB5_165
; %bb.162:
	v_mul_lo_u32 v3, s20, v12
	v_add3_u32 v2, v10, v3, v2
	v_subrev_u32_e32 v2, s8, v2
	v_lshlrev_b32_e32 v2, 2, v2
	s_lshl_b32 s8, s20, 2
.LBB5_163:                              ; =>This Inner Loop Header: Depth=1
	ds_read_b32 v3, v2
	v_add_co_u32_e32 v14, vcc, -1, v14
	v_addc_co_u32_e32 v15, vcc, -1, v15, vcc
	v_cmp_eq_u64_e32 vcc, 0, v[14:15]
	v_add_u32_e32 v2, s8, v2
	s_or_b64 s[10:11], vcc, s[10:11]
	s_waitcnt lgkmcnt(0)
	v_add_f32_e32 v19, v19, v3
	s_andn2_b64 exec, exec, s[10:11]
	s_cbranch_execnz .LBB5_163
; %bb.164:
	s_or_b64 exec, exec, s[10:11]
.LBB5_165:
	s_or_b64 exec, exec, s[6:7]
.LBB5_166:
	s_or_b64 exec, exec, s[4:5]
	v_mad_u64_u32 v[2:3], s[4:5], v4, s20, v[8:9]
	v_mov_b32_e32 v4, v3
	v_mad_u64_u32 v[4:5], s[4:5], v5, s20, v[4:5]
	v_mov_b32_e32 v3, v4
	v_sub_co_u32_e32 v4, vcc, v16, v2
	v_mov_b32_e32 v11, 0
	v_subb_co_u32_e32 v5, vcc, v17, v3, vcc
	v_cmp_gt_i64_e32 vcc, v[4:5], v[10:11]
	s_and_saveexec_b64 s[4:5], vcc
	s_cbranch_execz .LBB5_168
; %bb.167:
	v_add_lshl_u32 v2, v10, v2, 2
	ds_read_b32 v2, v2
	s_waitcnt lgkmcnt(0)
	v_add_f32_e32 v19, v19, v2
.LBB5_168:
	s_or_b64 exec, exec, s[4:5]
.LBB5_169:
	s_or_b64 exec, exec, s[0:1]
	v_cmp_gt_i64_e32 vcc, s[28:29], v[0:1]
	s_barrier
	ds_write_b32 v18, v19
	s_waitcnt lgkmcnt(0)
	s_barrier
	s_and_saveexec_b64 s[0:1], vcc
	s_cbranch_execz .LBB5_179
; %bb.170:
	s_cmp_lt_u32 s20, 8
	v_mul_lo_u32 v1, s20, v0
	s_cbranch_scc1 .LBB5_173
; %bb.171:
	s_and_b32 s0, s20, 0x7ffffff8
	v_lshlrev_b32_e32 v2, 2, v1
	s_mov_b32 s1, 0
	v_mov_b32_e32 v4, 0
.LBB5_172:                              ; =>This Inner Loop Header: Depth=1
	ds_read2_b32 v[8:9], v2 offset1:1
	ds_read2_b32 v[10:11], v2 offset0:2 offset1:3
	ds_read2_b32 v[12:13], v2 offset0:4 offset1:5
	;; [unrolled: 1-line block ×3, first 2 shown]
	s_add_i32 s1, s1, 8
	s_waitcnt lgkmcnt(3)
	v_add_f32_e32 v3, v4, v8
	v_add_f32_e32 v3, v3, v9
	s_waitcnt lgkmcnt(2)
	v_add_f32_e32 v3, v3, v10
	v_add_f32_e32 v3, v3, v11
	;; [unrolled: 3-line block ×3, first 2 shown]
	s_waitcnt lgkmcnt(0)
	v_add_f32_e32 v3, v3, v14
	v_add_u32_e32 v2, 32, v2
	s_cmp_eq_u32 s0, s1
	v_add_f32_e32 v4, v3, v15
	s_cbranch_scc0 .LBB5_172
	s_branch .LBB5_174
.LBB5_173:
	s_mov_b32 s0, 0
	v_mov_b32_e32 v4, 0
.LBB5_174:
	s_bfe_u32 s1, s3, 0x30001
	s_cmp_eq_u32 s1, 0
	s_cbranch_scc1 .LBB5_177
; %bb.175:
	v_add_lshl_u32 v1, s0, v1, 2
.LBB5_176:                              ; =>This Inner Loop Header: Depth=1
	ds_read_b32 v2, v1
	s_add_i32 s1, s1, -1
	v_add_u32_e32 v1, 4, v1
	s_cmp_lg_u32 s1, 0
	s_waitcnt lgkmcnt(0)
	v_add_f32_e32 v4, v4, v2
	s_cbranch_scc1 .LBB5_176
.LBB5_177:
	v_lshlrev_b64 v[2:3], 2, v[6:7]
	v_mov_b32_e32 v1, s15
	v_add_co_u32_e32 v2, vcc, s14, v2
	v_addc_co_u32_e32 v3, vcc, v1, v3, vcc
	global_load_dword v1, v[2:3], off
	s_lshl_b32 s0, s2, 2
	s_addk_i32 s0, 0x1000
	v_lshl_add_u32 v0, v0, 2, s0
	ds_read_b32 v0, v0
	s_mov_b64 s[0:1], 0
	s_waitcnt lgkmcnt(0)
	v_add_f32_e32 v4, v4, v0
.LBB5_178:                              ; =>This Inner Loop Header: Depth=1
	s_waitcnt vmcnt(0)
	v_add_f32_e32 v0, v1, v4
	global_atomic_cmpswap v0, v[2:3], v[0:1], off glc
	s_waitcnt vmcnt(0)
	v_cmp_eq_u32_e32 vcc, v0, v1
	s_or_b64 s[0:1], vcc, s[0:1]
	v_mov_b32_e32 v1, v0
	s_andn2_b64 exec, exec, s[0:1]
	s_cbranch_execnz .LBB5_178
.LBB5_179:
	s_endpgm
	.section	.rodata,"a",@progbits
	.p2align	6, 0x0
	.amdhsa_kernel _ZN9rocsparseL27csrmvn_symm_adaptive_kernelIliffffEEvbT_S1_PKS1_NS_24const_host_device_scalarIT4_EES3_PKT0_PKT1_PKT2_S6_PT3_21rocsparse_index_base_b
		.amdhsa_group_segment_fixed_size 4096
		.amdhsa_private_segment_fixed_size 0
		.amdhsa_kernarg_size 352
		.amdhsa_user_sgpr_count 6
		.amdhsa_user_sgpr_private_segment_buffer 1
		.amdhsa_user_sgpr_dispatch_ptr 0
		.amdhsa_user_sgpr_queue_ptr 0
		.amdhsa_user_sgpr_kernarg_segment_ptr 1
		.amdhsa_user_sgpr_dispatch_id 0
		.amdhsa_user_sgpr_flat_scratch_init 0
		.amdhsa_user_sgpr_kernarg_preload_length 0
		.amdhsa_user_sgpr_kernarg_preload_offset 0
		.amdhsa_user_sgpr_private_segment_size 0
		.amdhsa_uses_dynamic_stack 0
		.amdhsa_system_sgpr_private_segment_wavefront_offset 0
		.amdhsa_system_sgpr_workgroup_id_x 1
		.amdhsa_system_sgpr_workgroup_id_y 0
		.amdhsa_system_sgpr_workgroup_id_z 0
		.amdhsa_system_sgpr_workgroup_info 0
		.amdhsa_system_vgpr_workitem_id 0
		.amdhsa_next_free_vgpr 23
		.amdhsa_next_free_sgpr 52
		.amdhsa_accum_offset 24
		.amdhsa_reserve_vcc 1
		.amdhsa_reserve_flat_scratch 0
		.amdhsa_float_round_mode_32 0
		.amdhsa_float_round_mode_16_64 0
		.amdhsa_float_denorm_mode_32 3
		.amdhsa_float_denorm_mode_16_64 3
		.amdhsa_dx10_clamp 1
		.amdhsa_ieee_mode 1
		.amdhsa_fp16_overflow 0
		.amdhsa_tg_split 0
		.amdhsa_exception_fp_ieee_invalid_op 0
		.amdhsa_exception_fp_denorm_src 0
		.amdhsa_exception_fp_ieee_div_zero 0
		.amdhsa_exception_fp_ieee_overflow 0
		.amdhsa_exception_fp_ieee_underflow 0
		.amdhsa_exception_fp_ieee_inexact 0
		.amdhsa_exception_int_div_zero 0
	.end_amdhsa_kernel
	.section	.text._ZN9rocsparseL27csrmvn_symm_adaptive_kernelIliffffEEvbT_S1_PKS1_NS_24const_host_device_scalarIT4_EES3_PKT0_PKT1_PKT2_S6_PT3_21rocsparse_index_base_b,"axG",@progbits,_ZN9rocsparseL27csrmvn_symm_adaptive_kernelIliffffEEvbT_S1_PKS1_NS_24const_host_device_scalarIT4_EES3_PKT0_PKT1_PKT2_S6_PT3_21rocsparse_index_base_b,comdat
.Lfunc_end5:
	.size	_ZN9rocsparseL27csrmvn_symm_adaptive_kernelIliffffEEvbT_S1_PKS1_NS_24const_host_device_scalarIT4_EES3_PKT0_PKT1_PKT2_S6_PT3_21rocsparse_index_base_b, .Lfunc_end5-_ZN9rocsparseL27csrmvn_symm_adaptive_kernelIliffffEEvbT_S1_PKS1_NS_24const_host_device_scalarIT4_EES3_PKT0_PKT1_PKT2_S6_PT3_21rocsparse_index_base_b
                                        ; -- End function
	.section	.AMDGPU.csdata,"",@progbits
; Kernel info:
; codeLenInByte = 8552
; NumSgprs: 56
; NumVgprs: 23
; NumAgprs: 0
; TotalNumVgprs: 23
; ScratchSize: 0
; MemoryBound: 0
; FloatMode: 240
; IeeeMode: 1
; LDSByteSize: 4096 bytes/workgroup (compile time only)
; SGPRBlocks: 6
; VGPRBlocks: 2
; NumSGPRsForWavesPerEU: 56
; NumVGPRsForWavesPerEU: 23
; AccumOffset: 24
; Occupancy: 8
; WaveLimiterHint : 1
; COMPUTE_PGM_RSRC2:SCRATCH_EN: 0
; COMPUTE_PGM_RSRC2:USER_SGPR: 6
; COMPUTE_PGM_RSRC2:TRAP_HANDLER: 0
; COMPUTE_PGM_RSRC2:TGID_X_EN: 1
; COMPUTE_PGM_RSRC2:TGID_Y_EN: 0
; COMPUTE_PGM_RSRC2:TGID_Z_EN: 0
; COMPUTE_PGM_RSRC2:TIDIG_COMP_CNT: 0
; COMPUTE_PGM_RSRC3_GFX90A:ACCUM_OFFSET: 5
; COMPUTE_PGM_RSRC3_GFX90A:TG_SPLIT: 0
	.section	.text._ZL33csrmvn_symm_large_adaptive_kernelIliffffEvbT_PKS0_N9rocsparse24const_host_device_scalarIT4_EES2_PKT0_PKT1_PKT2_S6_PT3_21rocsparse_index_base_b,"axG",@progbits,_ZL33csrmvn_symm_large_adaptive_kernelIliffffEvbT_PKS0_N9rocsparse24const_host_device_scalarIT4_EES2_PKT0_PKT1_PKT2_S6_PT3_21rocsparse_index_base_b,comdat
	.globl	_ZL33csrmvn_symm_large_adaptive_kernelIliffffEvbT_PKS0_N9rocsparse24const_host_device_scalarIT4_EES2_PKT0_PKT1_PKT2_S6_PT3_21rocsparse_index_base_b ; -- Begin function _ZL33csrmvn_symm_large_adaptive_kernelIliffffEvbT_PKS0_N9rocsparse24const_host_device_scalarIT4_EES2_PKT0_PKT1_PKT2_S6_PT3_21rocsparse_index_base_b
	.p2align	8
	.type	_ZL33csrmvn_symm_large_adaptive_kernelIliffffEvbT_PKS0_N9rocsparse24const_host_device_scalarIT4_EES2_PKT0_PKT1_PKT2_S6_PT3_21rocsparse_index_base_b,@function
_ZL33csrmvn_symm_large_adaptive_kernelIliffffEvbT_PKS0_N9rocsparse24const_host_device_scalarIT4_EES2_PKT0_PKT1_PKT2_S6_PT3_21rocsparse_index_base_b: ; @_ZL33csrmvn_symm_large_adaptive_kernelIliffffEvbT_PKS0_N9rocsparse24const_host_device_scalarIT4_EES2_PKT0_PKT1_PKT2_S6_PT3_21rocsparse_index_base_b
; %bb.0:
	s_load_dwordx2 s[24:25], s[4:5], 0x50
	s_load_dwordx2 s[26:27], s[4:5], 0x18
	;; [unrolled: 1-line block ×3, first 2 shown]
	s_waitcnt lgkmcnt(0)
	s_bitcmp1_b32 s25, 0
	s_cselect_b64 s[8:9], -1, 0
	s_xor_b64 s[2:3], s[8:9], -1
	s_and_b64 vcc, exec, s[8:9]
	s_cbranch_vccnz .LBB6_2
; %bb.1:
	s_load_dword s26, s[26:27], 0x0
.LBB6_2:
	s_andn2_b64 vcc, exec, s[2:3]
	s_cbranch_vccnz .LBB6_4
; %bb.3:
	s_load_dword s0, s[0:1], 0x0
.LBB6_4:
	s_waitcnt lgkmcnt(0)
	v_cmp_neq_f32_e64 s[2:3], s26, 0
	v_cmp_neq_f32_e64 s[0:1], s0, 1.0
	s_or_b64 s[0:1], s[2:3], s[0:1]
	s_andn2_b64 vcc, exec, s[0:1]
	s_mov_b32 s25, 0
	s_cbranch_vccnz .LBB6_38
; %bb.5:
	s_load_dwordx2 s[0:1], s[4:5], 0x10
	s_ashr_i32 s7, s6, 31
	s_lshl_b64 s[2:3], s[6:7], 3
	v_lshlrev_b32_e32 v8, 2, v0
	v_mov_b32_e32 v1, 0
	s_waitcnt lgkmcnt(0)
	s_add_u32 s0, s0, s2
	s_addc_u32 s1, s1, s3
	ds_write2st64_b32 v8, v1, v1 offset1:4
	ds_write2st64_b32 v8, v1, v1 offset0:8 offset1:12
	s_waitcnt lgkmcnt(0)
	s_barrier
	s_load_dwordx4 s[20:23], s[0:1], 0x0
	s_load_dwordx8 s[12:19], s[4:5], 0x20
	s_load_dwordx2 s[28:29], s[4:5], 0x48
	v_subrev_co_u32_e64 v9, s[0:1], s24, v0
	s_waitcnt lgkmcnt(0)
	v_pk_mov_b32 v[2:3], s[22:23], s[22:23] op_sel:[0,1]
	v_cmp_lt_i64_e32 vcc, s[20:21], v[2:3]
	v_subb_co_u32_e64 v10, s[0:1], 0, 0, s[0:1]
	s_cbranch_vccnz .LBB6_7
; %bb.6:
	s_lshl_b64 s[0:1], s[20:21], 3
	s_add_u32 s0, s12, s0
	s_addc_u32 s1, s13, s1
	s_load_dwordx2 s[30:31], s[0:1], 0x0
	s_cbranch_execz .LBB6_8
	s_branch .LBB6_28
.LBB6_7:
                                        ; implicit-def: $sgpr30_sgpr31
.LBB6_8:
	s_lshl_b64 s[10:11], s[20:21], 3
	s_add_u32 s10, s12, s10
	s_addc_u32 s11, s13, s11
	s_waitcnt lgkmcnt(0)
	s_load_dwordx2 s[30:31], s[10:11], 0x0
	s_movk_i32 s27, 0x100
	s_add_u32 s33, s12, 8
	v_cmp_gt_u32_e64 s[0:1], s27, v0
	v_cmp_gt_u32_e64 s[2:3], 64, v0
	;; [unrolled: 1-line block ×4, first 2 shown]
	v_cmp_eq_u32_e64 s[8:9], 0, v0
	s_addc_u32 s44, s13, 0
	v_mov_b32_e32 v11, s19
	v_mov_b32_e32 v12, 0
	v_pk_mov_b32 v[0:1], s[22:23], s[22:23] op_sel:[0,1]
	s_waitcnt lgkmcnt(0)
	s_mov_b64 s[36:37], s[30:31]
	s_mov_b64 s[34:35], s[20:21]
	s_branch .LBB6_10
.LBB6_9:                                ;   in Loop: Header=BB6_10 Depth=1
	s_or_b64 exec, exec, s[10:11]
	s_add_u32 s34, s34, 1
	s_addc_u32 s35, s35, 0
	v_cmp_ge_i64_e32 vcc, s[34:35], v[0:1]
	s_cbranch_vccnz .LBB6_28
.LBB6_10:                               ; =>This Loop Header: Depth=1
                                        ;     Child Loop BB6_12 Depth 2
                                        ;     Child Loop BB6_27 Depth 2
	s_mov_b64 s[10:11], s[36:37]
	s_lshl_b64 s[36:37], s[34:35], 3
	s_add_u32 s36, s33, s36
	s_addc_u32 s37, s44, s37
	s_load_dwordx2 s[36:37], s[36:37], 0x0
	v_mov_b32_e32 v3, s11
	v_add_co_u32_e32 v2, vcc, s10, v9
	v_addc_co_u32_e32 v3, vcc, v3, v10, vcc
	s_waitcnt lgkmcnt(0)
	s_sub_u32 s38, s36, s24
	s_subb_u32 s39, s37, 0
	v_cmp_gt_i64_e32 vcc, s[38:39], v[2:3]
	v_mov_b32_e32 v13, 0
	s_and_saveexec_b64 s[40:41], vcc
	s_cbranch_execz .LBB6_14
; %bb.11:                               ;   in Loop: Header=BB6_10 Depth=1
	v_lshlrev_b64 v[6:7], 2, v[2:3]
	v_mov_b32_e32 v5, s15
	v_add_co_u32_e32 v4, vcc, s14, v6
	v_addc_co_u32_e32 v5, vcc, v5, v7, vcc
	v_mov_b32_e32 v13, s17
	v_add_co_u32_e32 v6, vcc, s16, v6
	v_addc_co_u32_e32 v7, vcc, v13, v7, vcc
	s_mov_b64 s[42:43], 0
	v_mov_b32_e32 v13, 0
.LBB6_12:                               ;   Parent Loop BB6_10 Depth=1
                                        ; =>  This Inner Loop Header: Depth=2
	global_load_dword v14, v[4:5], off
	global_load_dword v16, v[6:7], off
	s_waitcnt vmcnt(1)
	v_subrev_u32_e32 v14, s24, v14
	v_ashrrev_i32_e32 v15, 31, v14
	v_lshlrev_b64 v[14:15], 2, v[14:15]
	v_add_co_u32_e32 v14, vcc, s18, v14
	v_addc_co_u32_e32 v15, vcc, v11, v15, vcc
	global_load_dword v14, v[14:15], off
	v_add_co_u32_e32 v2, vcc, s27, v2
	v_addc_co_u32_e32 v3, vcc, 0, v3, vcc
	v_add_co_u32_e32 v4, vcc, 0x400, v4
	v_addc_co_u32_e32 v5, vcc, 0, v5, vcc
	v_add_co_u32_e32 v6, vcc, 0x400, v6
	v_cmp_le_i64_e64 s[10:11], s[38:39], v[2:3]
	v_addc_co_u32_e32 v7, vcc, 0, v7, vcc
	s_or_b64 s[42:43], s[10:11], s[42:43]
	s_waitcnt vmcnt(0)
	v_fmac_f32_e32 v13, v16, v14
	s_andn2_b64 exec, exec, s[42:43]
	s_cbranch_execnz .LBB6_12
; %bb.13:                               ;   in Loop: Header=BB6_10 Depth=1
	s_or_b64 exec, exec, s[42:43]
.LBB6_14:                               ;   in Loop: Header=BB6_10 Depth=1
	s_or_b64 exec, exec, s[40:41]
	ds_write_b32 v8, v13
	s_waitcnt lgkmcnt(0)
	s_barrier
	s_and_saveexec_b64 s[10:11], s[0:1]
	s_cbranch_execz .LBB6_16
; %bb.15:                               ;   in Loop: Header=BB6_10 Depth=1
	ds_read2st64_b32 v[2:3], v8 offset1:4
	ds_read2st64_b32 v[4:5], v8 offset0:8 offset1:12
	s_waitcnt lgkmcnt(0)
	v_add_f32_e32 v3, v3, v4
	v_add_f32_e32 v3, v3, v5
	;; [unrolled: 1-line block ×3, first 2 shown]
	ds_write_b32 v8, v2
.LBB6_16:                               ;   in Loop: Header=BB6_10 Depth=1
	s_or_b64 exec, exec, s[10:11]
	s_waitcnt lgkmcnt(0)
	s_barrier
	s_and_saveexec_b64 s[10:11], s[2:3]
	s_cbranch_execz .LBB6_18
; %bb.17:                               ;   in Loop: Header=BB6_10 Depth=1
	ds_read2st64_b32 v[2:3], v8 offset1:1
	ds_read2st64_b32 v[4:5], v8 offset0:2 offset1:3
	s_waitcnt lgkmcnt(0)
	v_add_f32_e32 v3, v3, v4
	v_add_f32_e32 v3, v3, v5
	;; [unrolled: 1-line block ×3, first 2 shown]
	ds_write_b32 v8, v2
.LBB6_18:                               ;   in Loop: Header=BB6_10 Depth=1
	s_or_b64 exec, exec, s[10:11]
	s_waitcnt lgkmcnt(0)
	s_barrier
	s_and_saveexec_b64 s[10:11], s[4:5]
	s_cbranch_execz .LBB6_20
; %bb.19:                               ;   in Loop: Header=BB6_10 Depth=1
	ds_read2_b32 v[2:3], v8 offset1:16
	ds_read2_b32 v[4:5], v8 offset0:32 offset1:48
	s_waitcnt lgkmcnt(0)
	v_add_f32_e32 v3, v3, v4
	v_add_f32_e32 v3, v3, v5
	;; [unrolled: 1-line block ×3, first 2 shown]
	ds_write_b32 v8, v2
.LBB6_20:                               ;   in Loop: Header=BB6_10 Depth=1
	s_or_b64 exec, exec, s[10:11]
	s_waitcnt lgkmcnt(0)
	s_barrier
	s_and_saveexec_b64 s[10:11], s[6:7]
	s_cbranch_execz .LBB6_22
; %bb.21:                               ;   in Loop: Header=BB6_10 Depth=1
	ds_read2_b32 v[2:3], v8 offset1:4
	ds_read2_b32 v[4:5], v8 offset0:8 offset1:12
	s_waitcnt lgkmcnt(0)
	v_add_f32_e32 v3, v3, v4
	v_add_f32_e32 v3, v3, v5
	;; [unrolled: 1-line block ×3, first 2 shown]
	ds_write_b32 v8, v2
.LBB6_22:                               ;   in Loop: Header=BB6_10 Depth=1
	s_or_b64 exec, exec, s[10:11]
	s_waitcnt lgkmcnt(0)
	s_barrier
	s_and_saveexec_b64 s[10:11], s[8:9]
	s_cbranch_execz .LBB6_24
; %bb.23:                               ;   in Loop: Header=BB6_10 Depth=1
	ds_read2_b32 v[2:3], v12 offset0:1 offset1:2
	ds_read_b32 v4, v12 offset:12
	ds_read_b32 v5, v8
	s_waitcnt lgkmcnt(2)
	v_add_f32_e32 v2, v2, v3
	s_waitcnt lgkmcnt(1)
	v_add_f32_e32 v2, v2, v4
	;; [unrolled: 2-line block ×3, first 2 shown]
	ds_write_b32 v8, v2
.LBB6_24:                               ;   in Loop: Header=BB6_10 Depth=1
	s_or_b64 exec, exec, s[10:11]
	s_waitcnt lgkmcnt(0)
	s_barrier
	s_and_saveexec_b64 s[10:11], s[8:9]
	s_cbranch_execz .LBB6_9
; %bb.25:                               ;   in Loop: Header=BB6_10 Depth=1
	s_mov_b64 s[40:41], exec
	v_mbcnt_lo_u32_b32 v2, s40, 0
	v_mbcnt_hi_u32_b32 v2, s41, v2
	v_cmp_eq_u32_e32 vcc, 0, v2
	s_and_b64 s[38:39], exec, vcc
	s_mov_b64 exec, s[38:39]
	s_cbranch_execz .LBB6_9
; %bb.26:                               ;   in Loop: Header=BB6_10 Depth=1
	s_lshl_b64 s[38:39], s[34:35], 2
	s_add_u32 s38, s28, s38
	s_addc_u32 s39, s29, s39
	global_load_dword v3, v12, s[38:39]
	ds_read_b32 v2, v12
	s_bcnt1_i32_b64 s40, s[40:41]
	v_cvt_f32_ubyte0_e32 v4, s40
	s_mov_b64 s[40:41], 0
	s_waitcnt lgkmcnt(0)
	v_mul_f32_e32 v2, s26, v2
	v_mul_f32_e32 v4, v2, v4
.LBB6_27:                               ;   Parent Loop BB6_10 Depth=1
                                        ; =>  This Inner Loop Header: Depth=2
	s_waitcnt vmcnt(0)
	v_add_f32_e32 v2, v3, v4
	global_atomic_cmpswap v2, v12, v[2:3], s[38:39] glc
	s_waitcnt vmcnt(0)
	v_cmp_eq_u32_e32 vcc, v2, v3
	s_or_b64 s[40:41], vcc, s[40:41]
	v_mov_b32_e32 v3, v2
	s_andn2_b64 exec, exec, s[40:41]
	s_cbranch_execnz .LBB6_27
	s_branch .LBB6_9
.LBB6_28:
	s_lshl_b64 s[0:1], s[22:23], 3
	s_add_u32 s0, s12, s0
	s_addc_u32 s1, s13, s1
	s_load_dwordx2 s[0:1], s[0:1], 0x0
	s_waitcnt lgkmcnt(0)
	v_mov_b32_e32 v1, s31
	v_add_co_u32_e32 v0, vcc, s30, v9
	v_addc_co_u32_e32 v1, vcc, v1, v10, vcc
	s_sub_u32 s4, s0, s24
	s_subb_u32 s5, s1, 0
	v_cmp_gt_i64_e32 vcc, s[4:5], v[0:1]
	s_and_saveexec_b64 s[0:1], vcc
	s_cbranch_execz .LBB6_38
; %bb.29:
	s_add_u32 s6, s22, -1
	s_addc_u32 s7, s23, -1
	s_add_u32 s0, s22, -2
	s_addc_u32 s1, s23, -1
	v_pk_mov_b32 v[2:3], s[20:21], s[20:21] op_sel:[0,1]
	s_cmp_lg_u64 s[0:1], s[20:21]
	v_cmp_gt_i64_e32 vcc, s[6:7], v[2:3]
	s_cselect_b64 s[0:1], -1, 0
	s_and_b64 s[0:1], vcc, s[0:1]
	v_cndmask_b32_e64 v2, 0, 1, s[0:1]
	s_mov_b64 s[8:9], 0
	v_cmp_ne_u32_e64 s[0:1], 1, v2
	v_mov_b32_e32 v10, s13
	v_mov_b32_e32 v11, s25
	;; [unrolled: 1-line block ×3, first 2 shown]
	s_branch .LBB6_31
.LBB6_30:                               ;   in Loop: Header=BB6_31 Depth=1
	s_or_b64 exec, exec, s[2:3]
	v_add_co_u32_e32 v0, vcc, 0x100, v0
	v_addc_co_u32_e32 v1, vcc, 0, v1, vcc
	v_cmp_le_i64_e32 vcc, s[4:5], v[0:1]
	s_or_b64 s[8:9], vcc, s[8:9]
	s_andn2_b64 exec, exec, s[8:9]
	s_cbranch_execz .LBB6_38
.LBB6_31:                               ; =>This Loop Header: Depth=1
                                        ;     Child Loop BB6_33 Depth 2
                                        ;     Child Loop BB6_37 Depth 2
	s_and_b64 vcc, exec, s[0:1]
	v_pk_mov_b32 v[2:3], s[20:21], s[20:21] op_sel:[0,1]
	v_pk_mov_b32 v[4:5], s[6:7], s[6:7] op_sel:[0,1]
	s_cbranch_vccnz .LBB6_35
; %bb.32:                               ;   in Loop: Header=BB6_31 Depth=1
	s_mov_b64 s[10:11], 0
	v_pk_mov_b32 v[2:3], s[20:21], s[20:21] op_sel:[0,1]
	v_pk_mov_b32 v[4:5], s[6:7], s[6:7] op_sel:[0,1]
.LBB6_33:                               ;   Parent Loop BB6_31 Depth=1
                                        ; =>  This Inner Loop Header: Depth=2
	v_add_co_u32_e32 v6, vcc, v4, v2
	v_addc_co_u32_e32 v7, vcc, v5, v3, vcc
	v_lshrrev_b32_e32 v8, 31, v7
	v_add_co_u32_e32 v6, vcc, v6, v8
	v_addc_co_u32_e32 v7, vcc, 0, v7, vcc
	v_ashrrev_i64 v[6:7], 1, v[6:7]
	v_lshlrev_b64 v[8:9], 3, v[6:7]
	v_mov_b32_e32 v13, s13
	v_add_co_u32_e32 v8, vcc, s12, v8
	v_addc_co_u32_e32 v9, vcc, v13, v9, vcc
	global_load_dwordx2 v[8:9], v[8:9], off
	v_mov_b32_e32 v13, s25
	s_waitcnt vmcnt(0)
	v_subrev_co_u32_e32 v8, vcc, s24, v8
	v_subb_co_u32_e32 v9, vcc, v9, v13, vcc
	v_cmp_gt_i64_e32 vcc, v[8:9], v[0:1]
	v_cndmask_b32_e32 v4, v4, v6, vcc
	v_cndmask_b32_e32 v5, v5, v7, vcc
	;; [unrolled: 1-line block ×3, first 2 shown]
	v_add_co_u32_e64 v6, s[2:3], -1, v4
	v_cndmask_b32_e32 v3, v7, v3, vcc
	v_addc_co_u32_e64 v7, s[2:3], -1, v5, s[2:3]
	v_cmp_ge_i64_e32 vcc, v[2:3], v[4:5]
	v_cmp_eq_u64_e64 s[2:3], v[2:3], v[6:7]
	s_or_b64 s[2:3], vcc, s[2:3]
	s_and_b64 s[2:3], exec, s[2:3]
	s_or_b64 s[10:11], s[2:3], s[10:11]
	s_andn2_b64 exec, exec, s[10:11]
	s_cbranch_execnz .LBB6_33
; %bb.34:                               ;   in Loop: Header=BB6_31 Depth=1
	s_or_b64 exec, exec, s[10:11]
.LBB6_35:                               ;   in Loop: Header=BB6_31 Depth=1
	v_lshlrev_b64 v[6:7], 3, v[4:5]
	v_add_co_u32_e32 v6, vcc, s12, v6
	v_addc_co_u32_e32 v7, vcc, v10, v7, vcc
	global_load_dwordx2 v[8:9], v[6:7], off
	v_lshlrev_b64 v[6:7], 2, v[0:1]
	v_add_co_u32_e32 v14, vcc, s14, v6
	v_addc_co_u32_e32 v15, vcc, v12, v7, vcc
	global_load_dword v13, v[14:15], off
	s_waitcnt vmcnt(1)
	v_subrev_co_u32_e32 v14, vcc, s24, v8
	v_subb_co_u32_e32 v15, vcc, v9, v11, vcc
	v_cmp_gt_i64_e32 vcc, v[14:15], v[0:1]
	v_cndmask_b32_e32 v3, v5, v3, vcc
	s_waitcnt vmcnt(0)
	v_subrev_u32_e32 v8, s24, v13
	v_cndmask_b32_e32 v2, v4, v2, vcc
	v_ashrrev_i32_e32 v9, 31, v8
	v_cmp_ne_u64_e32 vcc, v[2:3], v[8:9]
	s_and_saveexec_b64 s[2:3], vcc
	s_cbranch_execz .LBB6_30
; %bb.36:                               ;   in Loop: Header=BB6_31 Depth=1
	v_lshlrev_b64 v[4:5], 2, v[8:9]
	v_mov_b32_e32 v9, s17
	v_add_co_u32_e32 v6, vcc, s16, v6
	v_addc_co_u32_e32 v7, vcc, v9, v7, vcc
	v_lshlrev_b64 v[2:3], 2, v[2:3]
	global_load_dword v6, v[6:7], off
	v_mov_b32_e32 v7, s19
	v_add_co_u32_e32 v2, vcc, s18, v2
	v_addc_co_u32_e32 v3, vcc, v7, v3, vcc
	v_mov_b32_e32 v8, s29
	global_load_dword v7, v[2:3], off
	v_add_co_u32_e32 v2, vcc, s28, v4
	v_addc_co_u32_e32 v3, vcc, v8, v5, vcc
	global_load_dword v5, v[2:3], off
	s_mov_b64 s[10:11], 0
	s_waitcnt vmcnt(2)
	v_mul_f32_e32 v4, s26, v6
	s_waitcnt vmcnt(1)
	v_mul_f32_e32 v6, v4, v7
.LBB6_37:                               ;   Parent Loop BB6_31 Depth=1
                                        ; =>  This Inner Loop Header: Depth=2
	s_waitcnt vmcnt(0)
	v_add_f32_e32 v4, v5, v6
	global_atomic_cmpswap v4, v[2:3], v[4:5], off glc
	s_waitcnt vmcnt(0)
	v_cmp_eq_u32_e32 vcc, v4, v5
	s_or_b64 s[10:11], vcc, s[10:11]
	v_mov_b32_e32 v5, v4
	s_andn2_b64 exec, exec, s[10:11]
	s_cbranch_execnz .LBB6_37
	s_branch .LBB6_30
.LBB6_38:
	s_endpgm
	.section	.rodata,"a",@progbits
	.p2align	6, 0x0
	.amdhsa_kernel _ZL33csrmvn_symm_large_adaptive_kernelIliffffEvbT_PKS0_N9rocsparse24const_host_device_scalarIT4_EES2_PKT0_PKT1_PKT2_S6_PT3_21rocsparse_index_base_b
		.amdhsa_group_segment_fixed_size 4096
		.amdhsa_private_segment_fixed_size 0
		.amdhsa_kernarg_size 88
		.amdhsa_user_sgpr_count 6
		.amdhsa_user_sgpr_private_segment_buffer 1
		.amdhsa_user_sgpr_dispatch_ptr 0
		.amdhsa_user_sgpr_queue_ptr 0
		.amdhsa_user_sgpr_kernarg_segment_ptr 1
		.amdhsa_user_sgpr_dispatch_id 0
		.amdhsa_user_sgpr_flat_scratch_init 0
		.amdhsa_user_sgpr_kernarg_preload_length 0
		.amdhsa_user_sgpr_kernarg_preload_offset 0
		.amdhsa_user_sgpr_private_segment_size 0
		.amdhsa_uses_dynamic_stack 0
		.amdhsa_system_sgpr_private_segment_wavefront_offset 0
		.amdhsa_system_sgpr_workgroup_id_x 1
		.amdhsa_system_sgpr_workgroup_id_y 0
		.amdhsa_system_sgpr_workgroup_id_z 0
		.amdhsa_system_sgpr_workgroup_info 0
		.amdhsa_system_vgpr_workitem_id 0
		.amdhsa_next_free_vgpr 17
		.amdhsa_next_free_sgpr 45
		.amdhsa_accum_offset 20
		.amdhsa_reserve_vcc 1
		.amdhsa_reserve_flat_scratch 0
		.amdhsa_float_round_mode_32 0
		.amdhsa_float_round_mode_16_64 0
		.amdhsa_float_denorm_mode_32 3
		.amdhsa_float_denorm_mode_16_64 3
		.amdhsa_dx10_clamp 1
		.amdhsa_ieee_mode 1
		.amdhsa_fp16_overflow 0
		.amdhsa_tg_split 0
		.amdhsa_exception_fp_ieee_invalid_op 0
		.amdhsa_exception_fp_denorm_src 0
		.amdhsa_exception_fp_ieee_div_zero 0
		.amdhsa_exception_fp_ieee_overflow 0
		.amdhsa_exception_fp_ieee_underflow 0
		.amdhsa_exception_fp_ieee_inexact 0
		.amdhsa_exception_int_div_zero 0
	.end_amdhsa_kernel
	.section	.text._ZL33csrmvn_symm_large_adaptive_kernelIliffffEvbT_PKS0_N9rocsparse24const_host_device_scalarIT4_EES2_PKT0_PKT1_PKT2_S6_PT3_21rocsparse_index_base_b,"axG",@progbits,_ZL33csrmvn_symm_large_adaptive_kernelIliffffEvbT_PKS0_N9rocsparse24const_host_device_scalarIT4_EES2_PKT0_PKT1_PKT2_S6_PT3_21rocsparse_index_base_b,comdat
.Lfunc_end6:
	.size	_ZL33csrmvn_symm_large_adaptive_kernelIliffffEvbT_PKS0_N9rocsparse24const_host_device_scalarIT4_EES2_PKT0_PKT1_PKT2_S6_PT3_21rocsparse_index_base_b, .Lfunc_end6-_ZL33csrmvn_symm_large_adaptive_kernelIliffffEvbT_PKS0_N9rocsparse24const_host_device_scalarIT4_EES2_PKT0_PKT1_PKT2_S6_PT3_21rocsparse_index_base_b
                                        ; -- End function
	.section	.AMDGPU.csdata,"",@progbits
; Kernel info:
; codeLenInByte = 1672
; NumSgprs: 49
; NumVgprs: 17
; NumAgprs: 0
; TotalNumVgprs: 17
; ScratchSize: 0
; MemoryBound: 0
; FloatMode: 240
; IeeeMode: 1
; LDSByteSize: 4096 bytes/workgroup (compile time only)
; SGPRBlocks: 6
; VGPRBlocks: 2
; NumSGPRsForWavesPerEU: 49
; NumVGPRsForWavesPerEU: 17
; AccumOffset: 20
; Occupancy: 8
; WaveLimiterHint : 1
; COMPUTE_PGM_RSRC2:SCRATCH_EN: 0
; COMPUTE_PGM_RSRC2:USER_SGPR: 6
; COMPUTE_PGM_RSRC2:TRAP_HANDLER: 0
; COMPUTE_PGM_RSRC2:TGID_X_EN: 1
; COMPUTE_PGM_RSRC2:TGID_Y_EN: 0
; COMPUTE_PGM_RSRC2:TGID_Z_EN: 0
; COMPUTE_PGM_RSRC2:TIDIG_COMP_CNT: 0
; COMPUTE_PGM_RSRC3_GFX90A:ACCUM_OFFSET: 4
; COMPUTE_PGM_RSRC3_GFX90A:TG_SPLIT: 0
	.section	.text._ZN9rocsparseL22csrmvn_adaptive_kernelIllffffEEvbT_PKS1_PjPKT0_NS_24const_host_device_scalarIT4_EES3_S7_PKT1_PKT2_SA_PT3_21rocsparse_index_base_b,"axG",@progbits,_ZN9rocsparseL22csrmvn_adaptive_kernelIllffffEEvbT_PKS1_PjPKT0_NS_24const_host_device_scalarIT4_EES3_S7_PKT1_PKT2_SA_PT3_21rocsparse_index_base_b,comdat
	.globl	_ZN9rocsparseL22csrmvn_adaptive_kernelIllffffEEvbT_PKS1_PjPKT0_NS_24const_host_device_scalarIT4_EES3_S7_PKT1_PKT2_SA_PT3_21rocsparse_index_base_b ; -- Begin function _ZN9rocsparseL22csrmvn_adaptive_kernelIllffffEEvbT_PKS1_PjPKT0_NS_24const_host_device_scalarIT4_EES3_S7_PKT1_PKT2_SA_PT3_21rocsparse_index_base_b
	.p2align	8
	.type	_ZN9rocsparseL22csrmvn_adaptive_kernelIllffffEEvbT_PKS1_PjPKT0_NS_24const_host_device_scalarIT4_EES3_S7_PKT1_PKT2_SA_PT3_21rocsparse_index_base_b,@function
_ZN9rocsparseL22csrmvn_adaptive_kernelIllffffEEvbT_PKS1_PjPKT0_NS_24const_host_device_scalarIT4_EES3_S7_PKT1_PKT2_SA_PT3_21rocsparse_index_base_b: ; @_ZN9rocsparseL22csrmvn_adaptive_kernelIllffffEEvbT_PKS1_PjPKT0_NS_24const_host_device_scalarIT4_EES3_S7_PKT1_PKT2_SA_PT3_21rocsparse_index_base_b
; %bb.0:
	s_load_dwordx2 s[50:51], s[4:5], 0x60
	s_load_dwordx2 s[48:49], s[4:5], 0x28
	;; [unrolled: 1-line block ×3, first 2 shown]
	s_waitcnt lgkmcnt(0)
	s_bitcmp1_b32 s51, 0
	s_cselect_b64 s[2:3], -1, 0
	s_xor_b64 s[0:1], s[2:3], -1
	s_and_b64 vcc, exec, s[2:3]
	s_cbranch_vccnz .LBB7_2
; %bb.1:
	s_load_dword s48, s[48:49], 0x0
.LBB7_2:
	s_andn2_b64 vcc, exec, s[0:1]
	s_cbranch_vccnz .LBB7_4
; %bb.3:
	s_load_dword s34, s[34:35], 0x0
.LBB7_4:
	s_waitcnt lgkmcnt(0)
	v_cmp_neq_f32_e64 s[0:1], s48, 0
	v_cmp_neq_f32_e64 s[2:3], s34, 1.0
	s_or_b64 s[0:1], s[0:1], s[2:3]
	s_andn2_b64 vcc, exec, s[0:1]
	s_cbranch_vccnz .LBB7_116
; %bb.5:
	s_load_dwordx2 s[0:1], s[4:5], 0x10
	s_load_dwordx2 s[2:3], s[4:5], 0x20
	s_ashr_i32 s7, s6, 31
	s_lshl_b64 s[8:9], s[6:7], 3
	s_waitcnt lgkmcnt(0)
	s_add_u32 s0, s0, s8
	s_addc_u32 s1, s1, s9
	s_load_dwordx4 s[36:39], s[0:1], 0x0
	s_load_dwordx2 s[40:41], s[4:5], 0x58
	s_load_dwordx8 s[24:31], s[4:5], 0x30
	s_waitcnt lgkmcnt(0)
	s_sub_u32 s0, s38, s36
	s_subb_u32 s1, s39, s37
	s_add_u32 s2, s2, s8
	s_addc_u32 s3, s3, s9
	s_lshl_b64 s[8:9], s[36:37], 3
	s_add_u32 s46, s24, s8
	s_addc_u32 s47, s25, s9
	s_load_dwordx2 s[42:43], s[2:3], 0x0
	s_load_dwordx2 s[44:45], s[46:47], 0x0
	v_cmp_lt_i64_e64 s[8:9], s[0:1], 2
	s_mov_b64 s[2:3], -1
	s_and_b64 vcc, exec, s[8:9]
	s_cbranch_vccz .LBB7_72
; %bb.6:
	s_cmp_lg_u64 s[0:1], 1
	s_cselect_b64 s[0:1], -1, 0
	s_waitcnt lgkmcnt(0)
	s_cmp_lg_u64 s[42:43], 0
	s_cselect_b64 s[2:3], -1, 0
	s_or_b64 s[2:3], s[0:1], s[2:3]
	s_mov_b64 s[0:1], -1
	s_and_b64 vcc, exec, s[2:3]
	s_cbranch_vccnz .LBB7_35
; %bb.7:
	v_pk_mov_b32 v[2:3], s[36:37], s[36:37] op_sel:[0,1]
	v_cmp_le_i64_e32 vcc, s[38:39], v[2:3]
	s_cbranch_vccnz .LBB7_34
; %bb.8:
	s_mov_b32 s20, 0
	v_subrev_co_u32_e32 v1, vcc, s50, v0
	v_subb_co_u32_e64 v10, s[0:1], 0, 0, vcc
	v_mov_b32_e32 v12, s20
	v_cmp_neq_f32_e64 s[20:21], s34, 0
	s_movk_i32 s0, 0x80
	s_add_u32 s33, s24, 8
	v_cndmask_b32_e64 v4, 0, 1, s[20:21]
	v_lshlrev_b32_e32 v11, 2, v0
	v_cmp_gt_u32_e64 s[0:1], s0, v0
	v_cmp_gt_u32_e64 s[2:3], 64, v0
	;; [unrolled: 1-line block ×7, first 2 shown]
	v_cmp_eq_u32_e64 s[18:19], 0, v0
	s_addc_u32 s35, s25, 0
	v_mov_b32_e32 v13, s31
	s_movk_i32 s49, 0x100
	v_mov_b32_e32 v14, 0
	v_pk_mov_b32 v[2:3], s[38:39], s[38:39] op_sel:[0,1]
	v_cmp_ne_u32_e64 s[20:21], 1, v4
	s_mov_b64 s[54:55], s[44:45]
	s_mov_b64 s[52:53], s[36:37]
	s_branch .LBB7_11
.LBB7_9:                                ;   in Loop: Header=BB7_11 Depth=1
	s_lshl_b64 s[56:57], s[52:53], 2
	s_add_u32 s56, s40, s56
	s_addc_u32 s57, s41, s57
	s_waitcnt lgkmcnt(0)
	global_store_dword v14, v4, s[56:57]
.LBB7_10:                               ;   in Loop: Header=BB7_11 Depth=1
	s_or_b64 exec, exec, s[22:23]
	s_add_u32 s52, s52, 1
	s_addc_u32 s53, s53, 0
	v_cmp_ge_i64_e32 vcc, s[52:53], v[2:3]
	s_cbranch_vccnz .LBB7_34
.LBB7_11:                               ; =>This Loop Header: Depth=1
                                        ;     Child Loop BB7_13 Depth 2
	s_mov_b64 s[22:23], s[54:55]
	s_lshl_b64 s[54:55], s[52:53], 3
	s_add_u32 s54, s33, s54
	s_addc_u32 s55, s35, s55
	s_load_dwordx2 s[54:55], s[54:55], 0x0
	v_mov_b32_e32 v5, s23
	v_add_co_u32_e32 v4, vcc, s22, v1
	v_addc_co_u32_e32 v5, vcc, v5, v10, vcc
	s_waitcnt lgkmcnt(0)
	s_sub_u32 s56, s54, s50
	s_subb_u32 s57, s55, 0
	v_cmp_gt_i64_e32 vcc, s[56:57], v[4:5]
	v_mov_b32_e32 v15, 0
	s_and_saveexec_b64 s[58:59], vcc
	s_cbranch_execz .LBB7_15
; %bb.12:                               ;   in Loop: Header=BB7_11 Depth=1
	v_lshlrev_b64 v[6:7], 2, v[4:5]
	v_mov_b32_e32 v8, s29
	v_add_co_u32_e32 v6, vcc, s28, v6
	v_addc_co_u32_e32 v7, vcc, v8, v7, vcc
	v_lshlrev_b64 v[8:9], 3, v[4:5]
	v_mov_b32_e32 v15, s27
	v_add_co_u32_e32 v8, vcc, s26, v8
	v_addc_co_u32_e32 v9, vcc, v15, v9, vcc
	s_mov_b64 s[60:61], 0
	v_mov_b32_e32 v15, 0
.LBB7_13:                               ;   Parent Loop BB7_11 Depth=1
                                        ; =>  This Inner Loop Header: Depth=2
	global_load_dwordx2 v[16:17], v[8:9], off
	global_load_dword v18, v[6:7], off
	s_waitcnt vmcnt(1)
	v_subrev_co_u32_e32 v16, vcc, s50, v16
	v_subb_co_u32_e32 v17, vcc, v17, v12, vcc
	v_lshlrev_b64 v[16:17], 2, v[16:17]
	v_add_co_u32_e32 v16, vcc, s30, v16
	v_addc_co_u32_e32 v17, vcc, v13, v17, vcc
	global_load_dword v16, v[16:17], off
	v_add_co_u32_e32 v4, vcc, s49, v4
	v_addc_co_u32_e32 v5, vcc, 0, v5, vcc
	v_add_co_u32_e32 v6, vcc, 0x400, v6
	v_addc_co_u32_e32 v7, vcc, 0, v7, vcc
	v_add_co_u32_e32 v8, vcc, 0x800, v8
	v_cmp_le_i64_e64 s[22:23], s[56:57], v[4:5]
	s_waitcnt vmcnt(1)
	v_mul_f32_e32 v17, s48, v18
	v_addc_co_u32_e32 v9, vcc, 0, v9, vcc
	s_or_b64 s[60:61], s[22:23], s[60:61]
	s_waitcnt vmcnt(0)
	v_fmac_f32_e32 v15, v17, v16
	s_andn2_b64 exec, exec, s[60:61]
	s_cbranch_execnz .LBB7_13
; %bb.14:                               ;   in Loop: Header=BB7_11 Depth=1
	s_or_b64 exec, exec, s[60:61]
.LBB7_15:                               ;   in Loop: Header=BB7_11 Depth=1
	s_or_b64 exec, exec, s[58:59]
	ds_write_b32 v11, v15
	s_waitcnt lgkmcnt(0)
	s_barrier
	s_and_saveexec_b64 s[22:23], s[0:1]
	s_cbranch_execz .LBB7_17
; %bb.16:                               ;   in Loop: Header=BB7_11 Depth=1
	ds_read2st64_b32 v[4:5], v11 offset1:2
	s_waitcnt lgkmcnt(0)
	v_add_f32_e32 v4, v4, v5
	ds_write_b32 v11, v4
.LBB7_17:                               ;   in Loop: Header=BB7_11 Depth=1
	s_or_b64 exec, exec, s[22:23]
	s_waitcnt lgkmcnt(0)
	s_barrier
	s_and_saveexec_b64 s[22:23], s[2:3]
	s_cbranch_execz .LBB7_19
; %bb.18:                               ;   in Loop: Header=BB7_11 Depth=1
	ds_read2st64_b32 v[4:5], v11 offset1:1
	s_waitcnt lgkmcnt(0)
	v_add_f32_e32 v4, v4, v5
	ds_write_b32 v11, v4
.LBB7_19:                               ;   in Loop: Header=BB7_11 Depth=1
	s_or_b64 exec, exec, s[22:23]
	s_waitcnt lgkmcnt(0)
	s_barrier
	s_and_saveexec_b64 s[22:23], s[8:9]
	s_cbranch_execz .LBB7_21
; %bb.20:                               ;   in Loop: Header=BB7_11 Depth=1
	ds_read2_b32 v[4:5], v11 offset1:32
	s_waitcnt lgkmcnt(0)
	v_add_f32_e32 v4, v4, v5
	ds_write_b32 v11, v4
.LBB7_21:                               ;   in Loop: Header=BB7_11 Depth=1
	s_or_b64 exec, exec, s[22:23]
	s_waitcnt lgkmcnt(0)
	s_barrier
	s_and_saveexec_b64 s[22:23], s[10:11]
	s_cbranch_execz .LBB7_23
; %bb.22:                               ;   in Loop: Header=BB7_11 Depth=1
	ds_read2_b32 v[4:5], v11 offset1:16
	s_waitcnt lgkmcnt(0)
	v_add_f32_e32 v4, v4, v5
	ds_write_b32 v11, v4
.LBB7_23:                               ;   in Loop: Header=BB7_11 Depth=1
	s_or_b64 exec, exec, s[22:23]
	s_waitcnt lgkmcnt(0)
	s_barrier
	s_and_saveexec_b64 s[22:23], s[12:13]
	s_cbranch_execz .LBB7_25
; %bb.24:                               ;   in Loop: Header=BB7_11 Depth=1
	ds_read2_b32 v[4:5], v11 offset1:8
	s_waitcnt lgkmcnt(0)
	v_add_f32_e32 v4, v4, v5
	ds_write_b32 v11, v4
.LBB7_25:                               ;   in Loop: Header=BB7_11 Depth=1
	s_or_b64 exec, exec, s[22:23]
	s_waitcnt lgkmcnt(0)
	s_barrier
	s_and_saveexec_b64 s[22:23], s[14:15]
	s_cbranch_execz .LBB7_27
; %bb.26:                               ;   in Loop: Header=BB7_11 Depth=1
	ds_read2_b32 v[4:5], v11 offset1:4
	s_waitcnt lgkmcnt(0)
	v_add_f32_e32 v4, v4, v5
	ds_write_b32 v11, v4
.LBB7_27:                               ;   in Loop: Header=BB7_11 Depth=1
	s_or_b64 exec, exec, s[22:23]
	s_waitcnt lgkmcnt(0)
	s_barrier
	s_and_saveexec_b64 s[22:23], s[16:17]
	s_cbranch_execz .LBB7_29
; %bb.28:                               ;   in Loop: Header=BB7_11 Depth=1
	ds_read2_b32 v[4:5], v11 offset1:2
	s_waitcnt lgkmcnt(0)
	v_add_f32_e32 v4, v4, v5
	ds_write_b32 v11, v4
.LBB7_29:                               ;   in Loop: Header=BB7_11 Depth=1
	s_or_b64 exec, exec, s[22:23]
	s_waitcnt lgkmcnt(0)
	s_barrier
	s_and_saveexec_b64 s[22:23], s[18:19]
	s_cbranch_execz .LBB7_31
; %bb.30:                               ;   in Loop: Header=BB7_11 Depth=1
	ds_read_b64 v[4:5], v14
	s_waitcnt lgkmcnt(0)
	v_add_f32_e32 v4, v4, v5
	ds_write_b32 v14, v4
.LBB7_31:                               ;   in Loop: Header=BB7_11 Depth=1
	s_or_b64 exec, exec, s[22:23]
	s_waitcnt lgkmcnt(0)
	s_barrier
	s_and_saveexec_b64 s[22:23], s[18:19]
	s_cbranch_execz .LBB7_10
; %bb.32:                               ;   in Loop: Header=BB7_11 Depth=1
	ds_read_b32 v4, v14
	s_and_b64 vcc, exec, s[20:21]
	s_cbranch_vccnz .LBB7_9
; %bb.33:                               ;   in Loop: Header=BB7_11 Depth=1
	s_lshl_b64 s[56:57], s[52:53], 2
	s_add_u32 s56, s40, s56
	s_addc_u32 s57, s41, s57
	global_load_dword v5, v14, s[56:57]
	s_waitcnt vmcnt(0) lgkmcnt(0)
	v_fmac_f32_e32 v4, s34, v5
	s_branch .LBB7_9
.LBB7_34:
	s_mov_b64 s[0:1], 0
.LBB7_35:
	s_andn2_b64 vcc, exec, s[0:1]
	s_cbranch_vccnz .LBB7_71
; %bb.36:
	s_load_dwordx2 s[8:9], s[4:5], 0x18
	s_sub_u32 s10, s6, s42
	s_subb_u32 s11, s7, s43
	s_lshl_b64 s[0:1], s[6:7], 2
	s_mov_b32 s21, 0
	s_waitcnt lgkmcnt(0)
	s_add_u32 s6, s8, s0
	s_addc_u32 s7, s9, s1
	s_load_dword s20, s[6:7], 0x0
	s_cmp_eq_u64 s[42:43], 0
	s_cselect_b64 s[2:3], -1, 0
	s_cmp_lg_u64 s[42:43], 0
	v_cmp_eq_u32_e64 s[0:1], 0, v0
	s_cselect_b64 s[12:13], -1, 0
	s_and_b64 s[14:15], s[0:1], s[2:3]
	v_mov_b32_e32 v1, 0
	s_and_saveexec_b64 s[2:3], s[14:15]
	s_cbranch_execz .LBB7_40
; %bb.37:
	s_lshl_b64 s[16:17], s[36:37], 2
	s_add_u32 s16, s40, s16
	s_addc_u32 s17, s41, s17
	s_load_dword s18, s[16:17], 0x0
	s_mov_b64 s[14:15], exec
	v_mbcnt_lo_u32_b32 v2, s14, 0
	v_mbcnt_hi_u32_b32 v2, s15, v2
	v_add_f32_e64 v1, s34, -1.0
	v_cmp_eq_u32_e32 vcc, 0, v2
	s_waitcnt vmcnt(0) expcnt(0) lgkmcnt(0)
	s_and_saveexec_b64 s[16:17], vcc
	s_cbranch_execz .LBB7_39
; %bb.38:
	s_lshl_b64 s[22:23], s[10:11], 2
	s_add_u32 s22, s8, s22
	s_addc_u32 s23, s9, s23
	s_bcnt1_i32_b64 s14, s[14:15]
	s_and_b32 s14, s14, 1
	v_mov_b32_e32 v2, 0
	v_mov_b32_e32 v3, s14
	global_atomic_xor v2, v3, s[22:23]
.LBB7_39:
	s_or_b64 exec, exec, s[16:17]
	v_mul_f32_e32 v1, s18, v1
.LBB7_40:
	s_or_b64 exec, exec, s[2:3]
	s_mul_i32 s2, s43, 0xc00
	s_mul_hi_u32 s3, s42, 0xc00
	s_add_i32 s14, s3, s2
	s_load_dwordx2 s[2:3], s[46:47], 0x8
	s_sub_u32 s16, s44, s50
	s_mul_i32 s15, s42, 0xc00
	s_subb_u32 s17, s45, 0
	s_add_u32 s16, s16, s15
	s_addc_u32 s17, s17, s14
	s_waitcnt lgkmcnt(0)
	s_sub_u32 s2, s2, s50
	v_mov_b32_e32 v3, s17
	v_add_co_u32_e32 v2, vcc, s16, v0
	s_subb_u32 s3, s3, 0
	v_addc_co_u32_e32 v3, vcc, 0, v3, vcc
	v_cmp_gt_i64_e32 vcc, s[2:3], v[2:3]
	s_and_saveexec_b64 s[14:15], vcc
	s_cbranch_execz .LBB7_44
; %bb.41:
	s_add_u32 s16, s16, 0xc00
	s_addc_u32 s17, s17, 0
	v_pk_mov_b32 v[4:5], s[2:3], s[2:3] op_sel:[0,1]
	v_cmp_lt_i64_e32 vcc, s[16:17], v[4:5]
	v_lshlrev_b64 v[4:5], 2, v[2:3]
	s_and_b64 s[18:19], vcc, exec
	v_mov_b32_e32 v6, s29
	v_add_co_u32_e32 v4, vcc, s28, v4
	v_addc_co_u32_e32 v5, vcc, v6, v5, vcc
	v_lshlrev_b64 v[6:7], 3, v[2:3]
	v_mov_b32_e32 v8, s27
	v_add_co_u32_e32 v6, vcc, s26, v6
	s_cselect_b32 s17, s17, s3
	s_cselect_b32 s16, s16, s2
	v_addc_co_u32_e32 v7, vcc, v8, v7, vcc
	s_mov_b64 s[18:19], 0
	v_mov_b32_e32 v8, s21
	v_mov_b32_e32 v9, s31
	s_movk_i32 s21, 0x100
.LBB7_42:                               ; =>This Inner Loop Header: Depth=1
	global_load_dwordx2 v[10:11], v[6:7], off
	global_load_dword v12, v[4:5], off
	s_waitcnt vmcnt(1)
	v_subrev_co_u32_e32 v10, vcc, s50, v10
	v_subb_co_u32_e32 v11, vcc, v11, v8, vcc
	v_lshlrev_b64 v[10:11], 2, v[10:11]
	v_add_co_u32_e32 v10, vcc, s30, v10
	v_addc_co_u32_e32 v11, vcc, v9, v11, vcc
	global_load_dword v10, v[10:11], off
	v_add_co_u32_e32 v2, vcc, s21, v2
	v_addc_co_u32_e32 v3, vcc, 0, v3, vcc
	v_add_co_u32_e32 v4, vcc, 0x400, v4
	v_addc_co_u32_e32 v5, vcc, 0, v5, vcc
	v_add_co_u32_e32 v6, vcc, 0x800, v6
	v_cmp_le_i64_e64 s[2:3], s[16:17], v[2:3]
	s_waitcnt vmcnt(1)
	v_mul_f32_e32 v11, s48, v12
	v_addc_co_u32_e32 v7, vcc, 0, v7, vcc
	s_or_b64 s[18:19], s[2:3], s[18:19]
	s_waitcnt vmcnt(0)
	v_fmac_f32_e32 v1, v11, v10
	s_andn2_b64 exec, exec, s[18:19]
	s_cbranch_execnz .LBB7_42
; %bb.43:
	s_or_b64 exec, exec, s[18:19]
.LBB7_44:
	s_or_b64 exec, exec, s[14:15]
	s_movk_i32 s2, 0x80
	v_lshlrev_b32_e32 v2, 2, v0
	v_cmp_gt_u32_e32 vcc, s2, v0
	ds_write_b32 v2, v1
	s_waitcnt lgkmcnt(0)
	s_barrier
	s_and_saveexec_b64 s[2:3], vcc
	s_cbranch_execz .LBB7_46
; %bb.45:
	ds_read2st64_b32 v[4:5], v2 offset1:2
	s_waitcnt lgkmcnt(0)
	v_add_f32_e32 v1, v4, v5
	ds_write_b32 v2, v1
.LBB7_46:
	s_or_b64 exec, exec, s[2:3]
	v_cmp_gt_u32_e32 vcc, 64, v0
	s_waitcnt lgkmcnt(0)
	s_barrier
	s_and_saveexec_b64 s[2:3], vcc
	s_cbranch_execz .LBB7_48
; %bb.47:
	ds_read2st64_b32 v[4:5], v2 offset1:1
	s_waitcnt lgkmcnt(0)
	v_add_f32_e32 v1, v4, v5
	ds_write_b32 v2, v1
.LBB7_48:
	s_or_b64 exec, exec, s[2:3]
	v_cmp_gt_u32_e32 vcc, 32, v0
	s_waitcnt lgkmcnt(0)
	s_barrier
	s_and_saveexec_b64 s[2:3], vcc
	s_cbranch_execz .LBB7_50
; %bb.49:
	ds_read2_b32 v[4:5], v2 offset1:32
	s_waitcnt lgkmcnt(0)
	v_add_f32_e32 v1, v4, v5
	ds_write_b32 v2, v1
.LBB7_50:
	s_or_b64 exec, exec, s[2:3]
	v_cmp_gt_u32_e32 vcc, 16, v0
	s_waitcnt lgkmcnt(0)
	s_barrier
	s_and_saveexec_b64 s[2:3], vcc
	s_cbranch_execz .LBB7_52
; %bb.51:
	ds_read2_b32 v[4:5], v2 offset1:16
	s_waitcnt lgkmcnt(0)
	v_add_f32_e32 v1, v4, v5
	ds_write_b32 v2, v1
.LBB7_52:
	;; [unrolled: 12-line block ×5, first 2 shown]
	s_or_b64 exec, exec, s[2:3]
	s_waitcnt lgkmcnt(0)
	s_barrier
	s_and_saveexec_b64 s[2:3], s[0:1]
	s_cbranch_execz .LBB7_60
; %bb.59:
	v_mov_b32_e32 v1, 0
	ds_read_b64 v[2:3], v1
	s_waitcnt lgkmcnt(0)
	v_add_f32_e32 v2, v2, v3
	ds_write_b32 v1, v2
.LBB7_60:
	s_or_b64 exec, exec, s[2:3]
	s_waitcnt lgkmcnt(0)
	s_barrier
	s_and_saveexec_b64 s[2:3], s[0:1]
	s_cbranch_execz .LBB7_70
; %bb.61:
	s_andn2_b64 vcc, exec, s[12:13]
	s_cbranch_vccnz .LBB7_67
; %bb.62:
	s_lshl_b64 s[0:1], s[10:11], 2
	s_add_u32 s0, s8, s0
	s_addc_u32 s1, s9, s1
	v_mov_b32_e32 v1, 0
	s_branch .LBB7_64
.LBB7_63:                               ;   in Loop: Header=BB7_64 Depth=1
	s_or_b64 exec, exec, s[8:9]
	s_waitcnt vmcnt(0)
	v_readfirstlane_b32 s8, v2
	s_cmp_eq_u32 s8, s20
	s_cbranch_scc0 .LBB7_66
.LBB7_64:                               ; =>This Inner Loop Header: Depth=1
	v_mbcnt_lo_u32_b32 v2, exec_lo, 0
	v_mbcnt_hi_u32_b32 v2, exec_hi, v2
	v_cmp_eq_u32_e32 vcc, 0, v2
                                        ; implicit-def: $vgpr2
	s_and_saveexec_b64 s[8:9], vcc
	s_cbranch_execz .LBB7_63
; %bb.65:                               ;   in Loop: Header=BB7_64 Depth=1
	global_load_dword v2, v1, s[0:1] glc
	s_branch .LBB7_63
.LBB7_66:
	v_mov_b32_e32 v1, 0
	global_load_dword v2, v1, s[6:7]
	s_waitcnt vmcnt(0)
	v_xor_b32_e32 v2, 1, v2
	global_store_dword v1, v2, s[6:7]
.LBB7_67:
	s_mov_b64 s[6:7], exec
	v_mbcnt_lo_u32_b32 v1, s6, 0
	v_mbcnt_hi_u32_b32 v1, s7, v1
	v_cmp_eq_u32_e32 vcc, 0, v1
	s_and_b64 s[0:1], exec, vcc
	s_mov_b64 exec, s[0:1]
	s_cbranch_execz .LBB7_70
; %bb.68:
	s_lshl_b64 s[0:1], s[36:37], 2
	s_add_u32 s0, s40, s0
	s_addc_u32 s1, s41, s1
	v_mov_b32_e32 v1, 0
	global_load_dword v3, v1, s[0:1]
	ds_read_b32 v2, v1
	s_bcnt1_i32_b64 s6, s[6:7]
	v_cvt_f32_ubyte0_e32 v4, s6
	s_mov_b64 s[6:7], 0
	s_waitcnt lgkmcnt(0)
	v_mul_f32_e32 v4, v2, v4
.LBB7_69:                               ; =>This Inner Loop Header: Depth=1
	s_waitcnt vmcnt(0)
	v_add_f32_e32 v2, v3, v4
	global_atomic_cmpswap v2, v1, v[2:3], s[0:1] glc
	s_waitcnt vmcnt(0)
	v_cmp_eq_u32_e32 vcc, v2, v3
	s_or_b64 s[6:7], vcc, s[6:7]
	v_mov_b32_e32 v3, v2
	s_andn2_b64 exec, exec, s[6:7]
	s_cbranch_execnz .LBB7_69
.LBB7_70:
	s_or_b64 exec, exec, s[2:3]
.LBB7_71:
	s_mov_b64 s[2:3], 0
.LBB7_72:
	s_andn2_b64 vcc, exec, s[2:3]
	s_cbranch_vccnz .LBB7_116
; %bb.73:
	s_load_dwordx2 s[0:1], s[4:5], 0x8
	v_subrev_co_u32_e32 v1, vcc, s50, v0
	v_subb_co_u32_e64 v3, s[2:3], 0, 0, vcc
	s_waitcnt lgkmcnt(0)
	v_mov_b32_e32 v4, s45
	v_add_co_u32_e32 v2, vcc, s44, v1
	v_addc_co_u32_e32 v3, vcc, v4, v3, vcc
	v_add_co_u32_e32 v4, vcc, 0x300, v2
	v_addc_co_u32_e32 v5, vcc, 0, v3, vcc
	s_mov_b32 s10, 0
	v_cmp_le_i64_e32 vcc, s[0:1], v[4:5]
	s_and_saveexec_b64 s[0:1], vcc
	s_xor_b64 s[2:3], exec, s[0:1]
	s_cbranch_execz .LBB7_78
; %bb.74:
	s_lshl_b64 s[0:1], s[38:39], 3
	s_add_u32 s0, s24, s0
	s_addc_u32 s1, s25, s1
	s_load_dwordx2 s[0:1], s[0:1], 0x0
	s_waitcnt lgkmcnt(0)
	s_sub_u32 s4, s0, s50
	s_subb_u32 s5, s1, 0
	v_cmp_gt_i64_e32 vcc, s[4:5], v[2:3]
	s_and_saveexec_b64 s[6:7], vcc
	s_cbranch_execz .LBB7_77
; %bb.75:
	v_lshlrev_b64 v[4:5], 2, v[2:3]
	v_mov_b32_e32 v6, s29
	v_add_co_u32_e32 v4, vcc, s28, v4
	v_addc_co_u32_e32 v5, vcc, v6, v5, vcc
	v_lshlrev_b64 v[6:7], 3, v[2:3]
	v_mov_b32_e32 v8, s27
	v_add_co_u32_e32 v6, vcc, s26, v6
	v_lshlrev_b32_e32 v1, 2, v0
	v_addc_co_u32_e32 v7, vcc, v8, v7, vcc
	s_mov_b64 s[8:9], 0
	v_mov_b32_e32 v8, s10
	v_mov_b32_e32 v9, s31
	s_movk_i32 s11, 0x100
.LBB7_76:                               ; =>This Inner Loop Header: Depth=1
	global_load_dwordx2 v[10:11], v[6:7], off
	global_load_dword v12, v[4:5], off
	s_waitcnt vmcnt(1)
	v_subrev_co_u32_e32 v10, vcc, s50, v10
	v_subb_co_u32_e32 v11, vcc, v11, v8, vcc
	v_lshlrev_b64 v[10:11], 2, v[10:11]
	v_add_co_u32_e32 v10, vcc, s30, v10
	v_addc_co_u32_e32 v11, vcc, v9, v11, vcc
	global_load_dword v10, v[10:11], off
	v_add_co_u32_e32 v2, vcc, s11, v2
	v_addc_co_u32_e32 v3, vcc, 0, v3, vcc
	v_add_co_u32_e32 v4, vcc, 0x400, v4
	v_addc_co_u32_e32 v5, vcc, 0, v5, vcc
	s_waitcnt vmcnt(1)
	v_mul_f32_e32 v11, s48, v12
	v_add_co_u32_e32 v6, vcc, 0x800, v6
	v_cmp_le_i64_e64 s[0:1], s[4:5], v[2:3]
	v_addc_co_u32_e32 v7, vcc, 0, v7, vcc
	s_or_b64 s[8:9], s[0:1], s[8:9]
	s_waitcnt vmcnt(0)
	v_mul_f32_e32 v10, v11, v10
	ds_write_b32 v1, v10
	v_add_u32_e32 v1, 0x400, v1
	s_andn2_b64 exec, exec, s[8:9]
	s_cbranch_execnz .LBB7_76
.LBB7_77:
	s_or_b64 exec, exec, s[6:7]
                                        ; implicit-def: $vgpr2_vgpr3
.LBB7_78:
	s_or_saveexec_b64 s[0:1], s[2:3]
	v_lshlrev_b32_e32 v10, 2, v0
	s_xor_b64 exec, exec, s[0:1]
	s_cbranch_execz .LBB7_80
; %bb.79:
	v_lshlrev_b64 v[4:5], 3, v[2:3]
	v_mov_b32_e32 v1, s27
	v_add_co_u32_e32 v4, vcc, s26, v4
	v_addc_co_u32_e32 v5, vcc, v1, v5, vcc
	global_load_dwordx2 v[6:7], v[4:5], off
	global_load_dwordx2 v[8:9], v[4:5], off offset:2048
	s_movk_i32 s2, 0x1000
	v_add_co_u32_e32 v4, vcc, s2, v4
	v_addc_co_u32_e32 v5, vcc, 0, v5, vcc
	global_load_dwordx2 v[12:13], v[4:5], off
	global_load_dwordx2 v[14:15], v[4:5], off offset:2048
	v_lshlrev_b64 v[2:3], 2, v[2:3]
	v_mov_b32_e32 v1, s29
	v_add_co_u32_e32 v2, vcc, s28, v2
	v_addc_co_u32_e32 v3, vcc, v1, v3, vcc
	v_mov_b32_e32 v11, s10
	global_load_dword v1, v[2:3], off
	global_load_dword v17, v[2:3], off offset:1024
	global_load_dword v18, v[2:3], off offset:2048
	;; [unrolled: 1-line block ×3, first 2 shown]
	v_mov_b32_e32 v16, s31
	s_waitcnt vmcnt(7)
	v_subrev_co_u32_e32 v2, vcc, s50, v6
	v_subb_co_u32_e32 v3, vcc, v7, v11, vcc
	s_waitcnt vmcnt(6)
	v_subrev_co_u32_e32 v4, vcc, s50, v8
	v_subb_co_u32_e32 v5, vcc, v9, v11, vcc
	s_waitcnt vmcnt(5)
	v_subrev_co_u32_e32 v6, vcc, s50, v12
	v_subb_co_u32_e32 v7, vcc, v13, v11, vcc
	s_waitcnt vmcnt(4)
	v_subrev_co_u32_e32 v8, vcc, s50, v14
	v_lshlrev_b64 v[2:3], 2, v[2:3]
	v_subb_co_u32_e32 v9, vcc, v15, v11, vcc
	v_add_co_u32_e32 v2, vcc, s30, v2
	v_lshlrev_b64 v[4:5], 2, v[4:5]
	v_addc_co_u32_e32 v3, vcc, v16, v3, vcc
	v_add_co_u32_e32 v4, vcc, s30, v4
	v_addc_co_u32_e32 v5, vcc, v16, v5, vcc
	v_lshlrev_b64 v[6:7], 2, v[6:7]
	global_load_dword v11, v[2:3], off
	global_load_dword v12, v[4:5], off
	v_add_co_u32_e32 v2, vcc, s30, v6
	v_lshlrev_b64 v[8:9], 2, v[8:9]
	v_addc_co_u32_e32 v3, vcc, v16, v7, vcc
	v_add_co_u32_e32 v4, vcc, s30, v8
	v_addc_co_u32_e32 v5, vcc, v16, v9, vcc
	global_load_dword v6, v[2:3], off
	global_load_dword v7, v[4:5], off
	s_waitcnt vmcnt(7)
	v_mul_f32_e32 v1, s48, v1
	s_waitcnt vmcnt(6)
	v_mul_f32_e32 v2, s48, v17
	;; [unrolled: 2-line block ×6, first 2 shown]
	ds_write2st64_b32 v10, v1, v2 offset1:4
	s_waitcnt vmcnt(1)
	v_mul_f32_e32 v1, v3, v6
	s_waitcnt vmcnt(0)
	v_mul_f32_e32 v2, v4, v7
	ds_write2st64_b32 v10, v1, v2 offset0:8 offset1:12
.LBB7_80:
	s_or_b64 exec, exec, s[0:1]
	v_cmp_lt_i64_e64 s[2:3], s[42:43], 2
	s_mov_b64 s[0:1], -1
	s_and_b64 vcc, exec, s[2:3]
	s_waitcnt lgkmcnt(0)
	s_barrier
	s_cbranch_vccz .LBB7_91
; %bb.81:
	v_mov_b32_e32 v1, s37
	v_add_co_u32_e32 v6, vcc, s36, v0
	v_addc_co_u32_e32 v7, vcc, 0, v1, vcc
	v_cmp_gt_i64_e32 vcc, s[38:39], v[6:7]
	s_and_saveexec_b64 s[0:1], vcc
	s_cbranch_execz .LBB7_90
; %bb.82:
	s_lshl_b32 s4, s44, 2
	v_cmp_neq_f32_e64 s[2:3], s34, 0
	s_sub_i32 s10, 0, s4
	s_mov_b64 s[4:5], 0
	v_mov_b32_e32 v1, s25
	v_mov_b32_e32 v11, s41
	s_branch .LBB7_84
.LBB7_83:                               ;   in Loop: Header=BB7_84 Depth=1
	v_add_co_u32_e32 v2, vcc, s40, v2
	v_addc_co_u32_e32 v3, vcc, v11, v3, vcc
	v_add_co_u32_e32 v6, vcc, 0x100, v6
	v_addc_co_u32_e32 v7, vcc, 0, v7, vcc
	v_cmp_le_i64_e32 vcc, s[38:39], v[6:7]
	s_or_b64 s[4:5], vcc, s[4:5]
	global_store_dword v[2:3], v12, off
	s_andn2_b64 exec, exec, s[4:5]
	s_cbranch_execz .LBB7_90
.LBB7_84:                               ; =>This Loop Header: Depth=1
                                        ;     Child Loop BB7_86 Depth 2
	v_lshlrev_b64 v[2:3], 3, v[6:7]
	v_add_co_u32_e32 v2, vcc, s24, v2
	v_addc_co_u32_e32 v3, vcc, v1, v3, vcc
	global_load_dwordx4 v[2:5], v[2:3], off
	v_mov_b32_e32 v12, 0
	s_waitcnt vmcnt(0)
	v_cmp_lt_i64_e32 vcc, v[2:3], v[4:5]
	s_and_saveexec_b64 s[6:7], vcc
	s_cbranch_execz .LBB7_88
; %bb.85:                               ;   in Loop: Header=BB7_84 Depth=1
	v_mov_b32_e32 v9, s45
	v_subrev_co_u32_e32 v4, vcc, s44, v4
	v_subb_co_u32_e32 v5, vcc, v5, v9, vcc
	v_subrev_co_u32_e32 v8, vcc, s44, v2
	v_subb_co_u32_e32 v9, vcc, v3, v9, vcc
	v_lshl_add_u32 v2, v2, 2, s10
	s_mov_b64 s[8:9], 0
	v_mov_b32_e32 v12, 0
.LBB7_86:                               ;   Parent Loop BB7_84 Depth=1
                                        ; =>  This Inner Loop Header: Depth=2
	ds_read_b32 v3, v2
	v_add_co_u32_e32 v8, vcc, 1, v8
	v_addc_co_u32_e32 v9, vcc, 0, v9, vcc
	v_cmp_ge_i64_e32 vcc, v[8:9], v[4:5]
	v_add_u32_e32 v2, 4, v2
	s_or_b64 s[8:9], vcc, s[8:9]
	s_waitcnt lgkmcnt(0)
	v_add_f32_e32 v12, v12, v3
	s_andn2_b64 exec, exec, s[8:9]
	s_cbranch_execnz .LBB7_86
; %bb.87:                               ;   in Loop: Header=BB7_84 Depth=1
	s_or_b64 exec, exec, s[8:9]
.LBB7_88:                               ;   in Loop: Header=BB7_84 Depth=1
	s_or_b64 exec, exec, s[6:7]
	s_and_b64 vcc, exec, s[2:3]
	v_lshlrev_b64 v[2:3], 2, v[6:7]
	s_cbranch_vccz .LBB7_83
; %bb.89:                               ;   in Loop: Header=BB7_84 Depth=1
	v_mov_b32_e32 v5, s41
	v_add_co_u32_e32 v4, vcc, s40, v2
	v_addc_co_u32_e32 v5, vcc, v5, v3, vcc
	global_load_dword v4, v[4:5], off
	s_waitcnt vmcnt(0)
	v_fmac_f32_e32 v12, s34, v4
	s_branch .LBB7_83
.LBB7_90:
	s_or_b64 exec, exec, s[0:1]
	s_mov_b64 s[0:1], 0
.LBB7_91:
	s_andn2_b64 vcc, exec, s[0:1]
	s_cbranch_vccnz .LBB7_116
; %bb.92:
	s_flbit_i32_b32 s0, s42
	s_min_u32 s0, s0, 32
	s_sub_i32 s0, 31, s0
	v_lshrrev_b32_e32 v4, s0, v0
	v_mov_b32_e32 v1, s37
	v_add_co_u32_e32 v2, vcc, s36, v4
	v_addc_co_u32_e32 v3, vcc, 0, v1, vcc
	s_add_i32 s0, s42, -1
	v_mov_b32_e32 v8, 0
	v_and_b32_e64 v1, s0, 0
	v_and_b32_e32 v0, s0, v0
	v_cmp_le_i64_e64 s[0:1], s[38:39], v[2:3]
	v_cmp_gt_i64_e32 vcc, s[38:39], v[2:3]
	s_and_saveexec_b64 s[2:3], vcc
	s_cbranch_execz .LBB7_98
; %bb.93:
	v_lshlrev_b32_e32 v4, 3, v4
	global_load_dwordx4 v[6:9], v4, s[46:47]
	v_mov_b32_e32 v5, s45
	v_subrev_co_u32_e32 v11, vcc, s44, v0
	v_subb_co_u32_e32 v12, vcc, v1, v5, vcc
	s_waitcnt vmcnt(0)
	v_subrev_co_u32_e32 v4, vcc, s44, v8
	v_subb_co_u32_e32 v5, vcc, v9, v5, vcc
	v_add_co_u32_e32 v6, vcc, v6, v11
	v_addc_co_u32_e32 v7, vcc, v7, v12, vcc
	v_cmp_lt_i64_e32 vcc, v[6:7], v[4:5]
	v_mov_b32_e32 v8, 0
	s_and_saveexec_b64 s[4:5], vcc
	s_cbranch_execz .LBB7_97
; %bb.94:
	v_lshlrev_b32_e32 v9, 2, v6
	s_lshl_b32 s8, s42, 2
	s_mov_b64 s[6:7], 0
	v_mov_b32_e32 v8, 0
	v_mov_b32_e32 v11, s43
.LBB7_95:                               ; =>This Inner Loop Header: Depth=1
	ds_read_b32 v12, v9
	v_add_co_u32_e32 v6, vcc, s42, v6
	v_addc_co_u32_e32 v7, vcc, v7, v11, vcc
	v_cmp_ge_i64_e32 vcc, v[6:7], v[4:5]
	v_add_u32_e32 v9, s8, v9
	s_or_b64 s[6:7], vcc, s[6:7]
	s_waitcnt lgkmcnt(0)
	v_add_f32_e32 v8, v8, v12
	s_andn2_b64 exec, exec, s[6:7]
	s_cbranch_execnz .LBB7_95
; %bb.96:
	s_or_b64 exec, exec, s[6:7]
.LBB7_97:
	s_or_b64 exec, exec, s[4:5]
.LBB7_98:
	s_or_b64 exec, exec, s[2:3]
	v_mov_b32_e32 v4, 0x81
	v_mov_b32_e32 v5, 0
	v_cmp_lt_i64_e32 vcc, s[42:43], v[4:5]
	s_and_b64 vcc, exec, vcc
	s_barrier
	ds_write_b32 v10, v8
	s_waitcnt lgkmcnt(0)
	s_barrier
	s_cbranch_vccnz .LBB7_100
; %bb.99:
	ds_read_b32 v4, v10 offset:512
	s_waitcnt lgkmcnt(0)
	s_barrier
	v_add_f32_e32 v8, v8, v4
	ds_write_b32 v10, v8
.LBB7_100:
	v_mov_b32_e32 v4, 0x41
	v_mov_b32_e32 v5, 0
	v_cmp_lt_i64_e32 vcc, s[42:43], v[4:5]
	s_waitcnt lgkmcnt(0)
	s_barrier
	s_cbranch_vccnz .LBB7_102
; %bb.101:
	ds_read_b32 v4, v10 offset:256
	s_waitcnt lgkmcnt(0)
	s_barrier
	v_add_f32_e32 v8, v8, v4
	ds_write_b32 v10, v8
.LBB7_102:
	v_cmp_lt_i64_e64 s[2:3], s[42:43], 33
	s_and_b64 vcc, exec, s[2:3]
	s_waitcnt lgkmcnt(0)
	s_barrier
	s_cbranch_vccnz .LBB7_104
; %bb.103:
	ds_read_b32 v4, v10 offset:128
	s_waitcnt lgkmcnt(0)
	s_barrier
	v_add_f32_e32 v8, v8, v4
	ds_write_b32 v10, v8
.LBB7_104:
	v_cmp_lt_i64_e64 s[2:3], s[42:43], 17
	s_and_b64 vcc, exec, s[2:3]
	s_waitcnt lgkmcnt(0)
	s_barrier
	s_cbranch_vccnz .LBB7_106
; %bb.105:
	ds_read_b32 v4, v10 offset:64
	s_waitcnt lgkmcnt(0)
	s_barrier
	v_add_f32_e32 v8, v8, v4
	ds_write_b32 v10, v8
.LBB7_106:
	v_cmp_lt_i64_e64 s[2:3], s[42:43], 9
	s_and_b64 vcc, exec, s[2:3]
	s_waitcnt lgkmcnt(0)
	s_barrier
	s_cbranch_vccnz .LBB7_108
; %bb.107:
	ds_read_b32 v4, v10 offset:32
	s_waitcnt lgkmcnt(0)
	s_barrier
	v_add_f32_e32 v8, v8, v4
	ds_write_b32 v10, v8
.LBB7_108:
	v_cmp_lt_i64_e64 s[2:3], s[42:43], 5
	s_and_b64 vcc, exec, s[2:3]
	s_waitcnt lgkmcnt(0)
	s_barrier
	s_cbranch_vccnz .LBB7_110
; %bb.109:
	ds_read_b32 v4, v10 offset:16
	s_waitcnt lgkmcnt(0)
	s_barrier
	v_add_f32_e32 v8, v8, v4
	ds_write_b32 v10, v8
.LBB7_110:
	s_cmp_eq_u64 s[42:43], 2
	s_waitcnt lgkmcnt(0)
	s_barrier
	s_cbranch_scc1 .LBB7_112
; %bb.111:
	ds_read_b32 v4, v10 offset:8
	s_waitcnt lgkmcnt(0)
	s_barrier
	v_add_f32_e32 v8, v8, v4
	ds_write_b32 v10, v8
.LBB7_112:
	s_waitcnt lgkmcnt(0)
	s_barrier
	ds_read_b32 v4, v10 offset:4
	v_cmp_eq_u64_e32 vcc, 0, v[0:1]
	s_xor_b64 s[0:1], s[0:1], -1
	s_and_b64 s[0:1], vcc, s[0:1]
	s_waitcnt lgkmcnt(0)
	v_add_f32_e32 v4, v8, v4
	s_barrier
	ds_write_b32 v10, v4
	s_and_saveexec_b64 s[2:3], s[0:1]
	s_cbranch_execz .LBB7_116
; %bb.113:
	v_cmp_eq_f32_e64 s[0:1], s34, 0
	s_and_b64 vcc, exec, s[0:1]
	v_lshlrev_b64 v[0:1], 2, v[2:3]
	s_cbranch_vccnz .LBB7_115
; %bb.114:
	v_mov_b32_e32 v3, s41
	v_add_co_u32_e32 v2, vcc, s40, v0
	v_addc_co_u32_e32 v3, vcc, v3, v1, vcc
	global_load_dword v2, v[2:3], off
	s_waitcnt vmcnt(0)
	v_fmac_f32_e32 v4, s34, v2
.LBB7_115:
	v_mov_b32_e32 v2, s41
	v_add_co_u32_e32 v0, vcc, s40, v0
	v_addc_co_u32_e32 v1, vcc, v2, v1, vcc
	global_store_dword v[0:1], v4, off
.LBB7_116:
	s_endpgm
	.section	.rodata,"a",@progbits
	.p2align	6, 0x0
	.amdhsa_kernel _ZN9rocsparseL22csrmvn_adaptive_kernelIllffffEEvbT_PKS1_PjPKT0_NS_24const_host_device_scalarIT4_EES3_S7_PKT1_PKT2_SA_PT3_21rocsparse_index_base_b
		.amdhsa_group_segment_fixed_size 4096
		.amdhsa_private_segment_fixed_size 0
		.amdhsa_kernarg_size 104
		.amdhsa_user_sgpr_count 6
		.amdhsa_user_sgpr_private_segment_buffer 1
		.amdhsa_user_sgpr_dispatch_ptr 0
		.amdhsa_user_sgpr_queue_ptr 0
		.amdhsa_user_sgpr_kernarg_segment_ptr 1
		.amdhsa_user_sgpr_dispatch_id 0
		.amdhsa_user_sgpr_flat_scratch_init 0
		.amdhsa_user_sgpr_kernarg_preload_length 0
		.amdhsa_user_sgpr_kernarg_preload_offset 0
		.amdhsa_user_sgpr_private_segment_size 0
		.amdhsa_uses_dynamic_stack 0
		.amdhsa_system_sgpr_private_segment_wavefront_offset 0
		.amdhsa_system_sgpr_workgroup_id_x 1
		.amdhsa_system_sgpr_workgroup_id_y 0
		.amdhsa_system_sgpr_workgroup_id_z 0
		.amdhsa_system_sgpr_workgroup_info 0
		.amdhsa_system_vgpr_workitem_id 0
		.amdhsa_next_free_vgpr 20
		.amdhsa_next_free_sgpr 62
		.amdhsa_accum_offset 20
		.amdhsa_reserve_vcc 1
		.amdhsa_reserve_flat_scratch 0
		.amdhsa_float_round_mode_32 0
		.amdhsa_float_round_mode_16_64 0
		.amdhsa_float_denorm_mode_32 3
		.amdhsa_float_denorm_mode_16_64 3
		.amdhsa_dx10_clamp 1
		.amdhsa_ieee_mode 1
		.amdhsa_fp16_overflow 0
		.amdhsa_tg_split 0
		.amdhsa_exception_fp_ieee_invalid_op 0
		.amdhsa_exception_fp_denorm_src 0
		.amdhsa_exception_fp_ieee_div_zero 0
		.amdhsa_exception_fp_ieee_overflow 0
		.amdhsa_exception_fp_ieee_underflow 0
		.amdhsa_exception_fp_ieee_inexact 0
		.amdhsa_exception_int_div_zero 0
	.end_amdhsa_kernel
	.section	.text._ZN9rocsparseL22csrmvn_adaptive_kernelIllffffEEvbT_PKS1_PjPKT0_NS_24const_host_device_scalarIT4_EES3_S7_PKT1_PKT2_SA_PT3_21rocsparse_index_base_b,"axG",@progbits,_ZN9rocsparseL22csrmvn_adaptive_kernelIllffffEEvbT_PKS1_PjPKT0_NS_24const_host_device_scalarIT4_EES3_S7_PKT1_PKT2_SA_PT3_21rocsparse_index_base_b,comdat
.Lfunc_end7:
	.size	_ZN9rocsparseL22csrmvn_adaptive_kernelIllffffEEvbT_PKS1_PjPKT0_NS_24const_host_device_scalarIT4_EES3_S7_PKT1_PKT2_SA_PT3_21rocsparse_index_base_b, .Lfunc_end7-_ZN9rocsparseL22csrmvn_adaptive_kernelIllffffEEvbT_PKS1_PjPKT0_NS_24const_host_device_scalarIT4_EES3_S7_PKT1_PKT2_SA_PT3_21rocsparse_index_base_b
                                        ; -- End function
	.section	.AMDGPU.csdata,"",@progbits
; Kernel info:
; codeLenInByte = 4060
; NumSgprs: 66
; NumVgprs: 20
; NumAgprs: 0
; TotalNumVgprs: 20
; ScratchSize: 0
; MemoryBound: 0
; FloatMode: 240
; IeeeMode: 1
; LDSByteSize: 4096 bytes/workgroup (compile time only)
; SGPRBlocks: 8
; VGPRBlocks: 2
; NumSGPRsForWavesPerEU: 66
; NumVGPRsForWavesPerEU: 20
; AccumOffset: 20
; Occupancy: 8
; WaveLimiterHint : 1
; COMPUTE_PGM_RSRC2:SCRATCH_EN: 0
; COMPUTE_PGM_RSRC2:USER_SGPR: 6
; COMPUTE_PGM_RSRC2:TRAP_HANDLER: 0
; COMPUTE_PGM_RSRC2:TGID_X_EN: 1
; COMPUTE_PGM_RSRC2:TGID_Y_EN: 0
; COMPUTE_PGM_RSRC2:TGID_Z_EN: 0
; COMPUTE_PGM_RSRC2:TIDIG_COMP_CNT: 0
; COMPUTE_PGM_RSRC3_GFX90A:ACCUM_OFFSET: 4
; COMPUTE_PGM_RSRC3_GFX90A:TG_SPLIT: 0
	.section	.text._ZN9rocsparseL22partial_scale_y_kernelIlffEEvT_S1_S1_NS_24const_host_device_scalarIT1_EEPT0_b,"axG",@progbits,_ZN9rocsparseL22partial_scale_y_kernelIlffEEvT_S1_S1_NS_24const_host_device_scalarIT1_EEPT0_b,comdat
	.globl	_ZN9rocsparseL22partial_scale_y_kernelIlffEEvT_S1_S1_NS_24const_host_device_scalarIT1_EEPT0_b ; -- Begin function _ZN9rocsparseL22partial_scale_y_kernelIlffEEvT_S1_S1_NS_24const_host_device_scalarIT1_EEPT0_b
	.p2align	8
	.type	_ZN9rocsparseL22partial_scale_y_kernelIlffEEvT_S1_S1_NS_24const_host_device_scalarIT1_EEPT0_b,@function
_ZN9rocsparseL22partial_scale_y_kernelIlffEEvT_S1_S1_NS_24const_host_device_scalarIT1_EEPT0_b: ; @_ZN9rocsparseL22partial_scale_y_kernelIlffEEvT_S1_S1_NS_24const_host_device_scalarIT1_EEPT0_b
; %bb.0:
	s_load_dword s0, s[4:5], 0x28
	s_load_dwordx8 s[8:15], s[4:5], 0x0
	s_waitcnt lgkmcnt(0)
	s_bitcmp1_b32 s0, 0
	s_cselect_b64 s[0:1], -1, 0
	s_and_b64 vcc, exec, s[0:1]
	s_cbranch_vccnz .LBB8_2
; %bb.1:
	s_load_dword s14, s[14:15], 0x0
.LBB8_2:
	s_waitcnt lgkmcnt(0)
	v_cmp_eq_f32_e64 s[0:1], s14, 1.0
	s_and_b64 vcc, exec, s[0:1]
	s_cbranch_vccnz .LBB8_12
; %bb.3:
	s_add_u32 s0, s10, s8
	s_addc_u32 s1, s11, s9
	s_sub_u32 s0, s0, s12
	v_lshl_or_b32 v0, s6, 8, v0
	v_mov_b32_e32 v1, 0
	s_subb_u32 s1, s1, s13
	v_cmp_gt_i64_e32 vcc, s[0:1], v[0:1]
	s_and_saveexec_b64 s[0:1], vcc
	s_cbranch_execz .LBB8_12
; %bb.4:
	s_load_dwordx2 s[2:3], s[4:5], 0x20
	v_cmp_le_i64_e32 vcc, s[10:11], v[0:1]
	v_cmp_neq_f32_e64 s[0:1], s14, 0
	s_and_saveexec_b64 s[4:5], vcc
	s_xor_b64 s[4:5], exec, s[4:5]
	s_cbranch_execz .LBB8_8
; %bb.5:
	v_mov_b32_e32 v1, s11
	v_subrev_co_u32_e32 v0, vcc, s10, v0
	s_lshl_b64 s[6:7], s[12:13], 2
	v_subb_co_u32_e32 v1, vcc, 0, v1, vcc
	s_waitcnt lgkmcnt(0)
	s_add_u32 s6, s6, s2
	v_lshlrev_b64 v[0:1], 2, v[0:1]
	s_addc_u32 s7, s7, s3
	v_mov_b32_e32 v3, s7
	v_add_co_u32_e32 v2, vcc, s6, v0
	v_addc_co_u32_e32 v3, vcc, v3, v1, vcc
	s_and_b64 vcc, exec, s[0:1]
	s_cbranch_vccz .LBB8_13
; %bb.6:
	global_load_dword v0, v[2:3], off
	s_waitcnt vmcnt(0)
	v_mul_f32_e32 v0, s14, v0
	global_store_dword v[2:3], v0, off
                                        ; implicit-def: $vgpr0_vgpr1
	s_cbranch_execnz .LBB8_8
.LBB8_7:
	v_mov_b32_e32 v0, 0
	global_store_dword v[2:3], v0, off
                                        ; implicit-def: $vgpr0_vgpr1
.LBB8_8:
	s_andn2_saveexec_b64 s[4:5], s[4:5]
	s_cbranch_execz .LBB8_12
; %bb.9:
	v_lshlrev_b64 v[0:1], 2, v[0:1]
	s_waitcnt lgkmcnt(0)
	v_mov_b32_e32 v2, s3
	v_add_co_u32_e32 v0, vcc, s2, v0
	v_addc_co_u32_e32 v1, vcc, v2, v1, vcc
	s_and_b64 vcc, exec, s[0:1]
	s_cbranch_vccz .LBB8_14
; %bb.10:
	global_load_dword v2, v[0:1], off
	s_waitcnt vmcnt(0)
	v_mul_f32_e32 v2, s14, v2
	global_store_dword v[0:1], v2, off
	s_cbranch_execnz .LBB8_12
.LBB8_11:
	v_mov_b32_e32 v2, 0
	global_store_dword v[0:1], v2, off
.LBB8_12:
	s_endpgm
.LBB8_13:
                                        ; implicit-def: $vgpr0_vgpr1
	s_branch .LBB8_7
.LBB8_14:
	s_branch .LBB8_11
	.section	.rodata,"a",@progbits
	.p2align	6, 0x0
	.amdhsa_kernel _ZN9rocsparseL22partial_scale_y_kernelIlffEEvT_S1_S1_NS_24const_host_device_scalarIT1_EEPT0_b
		.amdhsa_group_segment_fixed_size 0
		.amdhsa_private_segment_fixed_size 0
		.amdhsa_kernarg_size 44
		.amdhsa_user_sgpr_count 6
		.amdhsa_user_sgpr_private_segment_buffer 1
		.amdhsa_user_sgpr_dispatch_ptr 0
		.amdhsa_user_sgpr_queue_ptr 0
		.amdhsa_user_sgpr_kernarg_segment_ptr 1
		.amdhsa_user_sgpr_dispatch_id 0
		.amdhsa_user_sgpr_flat_scratch_init 0
		.amdhsa_user_sgpr_kernarg_preload_length 0
		.amdhsa_user_sgpr_kernarg_preload_offset 0
		.amdhsa_user_sgpr_private_segment_size 0
		.amdhsa_uses_dynamic_stack 0
		.amdhsa_system_sgpr_private_segment_wavefront_offset 0
		.amdhsa_system_sgpr_workgroup_id_x 1
		.amdhsa_system_sgpr_workgroup_id_y 0
		.amdhsa_system_sgpr_workgroup_id_z 0
		.amdhsa_system_sgpr_workgroup_info 0
		.amdhsa_system_vgpr_workitem_id 0
		.amdhsa_next_free_vgpr 4
		.amdhsa_next_free_sgpr 16
		.amdhsa_accum_offset 4
		.amdhsa_reserve_vcc 1
		.amdhsa_reserve_flat_scratch 0
		.amdhsa_float_round_mode_32 0
		.amdhsa_float_round_mode_16_64 0
		.amdhsa_float_denorm_mode_32 3
		.amdhsa_float_denorm_mode_16_64 3
		.amdhsa_dx10_clamp 1
		.amdhsa_ieee_mode 1
		.amdhsa_fp16_overflow 0
		.amdhsa_tg_split 0
		.amdhsa_exception_fp_ieee_invalid_op 0
		.amdhsa_exception_fp_denorm_src 0
		.amdhsa_exception_fp_ieee_div_zero 0
		.amdhsa_exception_fp_ieee_overflow 0
		.amdhsa_exception_fp_ieee_underflow 0
		.amdhsa_exception_fp_ieee_inexact 0
		.amdhsa_exception_int_div_zero 0
	.end_amdhsa_kernel
	.section	.text._ZN9rocsparseL22partial_scale_y_kernelIlffEEvT_S1_S1_NS_24const_host_device_scalarIT1_EEPT0_b,"axG",@progbits,_ZN9rocsparseL22partial_scale_y_kernelIlffEEvT_S1_S1_NS_24const_host_device_scalarIT1_EEPT0_b,comdat
.Lfunc_end8:
	.size	_ZN9rocsparseL22partial_scale_y_kernelIlffEEvT_S1_S1_NS_24const_host_device_scalarIT1_EEPT0_b, .Lfunc_end8-_ZN9rocsparseL22partial_scale_y_kernelIlffEEvT_S1_S1_NS_24const_host_device_scalarIT1_EEPT0_b
                                        ; -- End function
	.section	.AMDGPU.csdata,"",@progbits
; Kernel info:
; codeLenInByte = 324
; NumSgprs: 20
; NumVgprs: 4
; NumAgprs: 0
; TotalNumVgprs: 4
; ScratchSize: 0
; MemoryBound: 0
; FloatMode: 240
; IeeeMode: 1
; LDSByteSize: 0 bytes/workgroup (compile time only)
; SGPRBlocks: 2
; VGPRBlocks: 0
; NumSGPRsForWavesPerEU: 20
; NumVGPRsForWavesPerEU: 4
; AccumOffset: 4
; Occupancy: 8
; WaveLimiterHint : 0
; COMPUTE_PGM_RSRC2:SCRATCH_EN: 0
; COMPUTE_PGM_RSRC2:USER_SGPR: 6
; COMPUTE_PGM_RSRC2:TRAP_HANDLER: 0
; COMPUTE_PGM_RSRC2:TGID_X_EN: 1
; COMPUTE_PGM_RSRC2:TGID_Y_EN: 0
; COMPUTE_PGM_RSRC2:TGID_Z_EN: 0
; COMPUTE_PGM_RSRC2:TIDIG_COMP_CNT: 0
; COMPUTE_PGM_RSRC3_GFX90A:ACCUM_OFFSET: 0
; COMPUTE_PGM_RSRC3_GFX90A:TG_SPLIT: 0
	.section	.text._ZN9rocsparseL27csrmvn_symm_adaptive_kernelIllffffEEvbT_S1_PKS1_NS_24const_host_device_scalarIT4_EES3_PKT0_PKT1_PKT2_S6_PT3_21rocsparse_index_base_b,"axG",@progbits,_ZN9rocsparseL27csrmvn_symm_adaptive_kernelIllffffEEvbT_S1_PKS1_NS_24const_host_device_scalarIT4_EES3_PKT0_PKT1_PKT2_S6_PT3_21rocsparse_index_base_b,comdat
	.globl	_ZN9rocsparseL27csrmvn_symm_adaptive_kernelIllffffEEvbT_S1_PKS1_NS_24const_host_device_scalarIT4_EES3_PKT0_PKT1_PKT2_S6_PT3_21rocsparse_index_base_b ; -- Begin function _ZN9rocsparseL27csrmvn_symm_adaptive_kernelIllffffEEvbT_S1_PKS1_NS_24const_host_device_scalarIT4_EES3_PKT0_PKT1_PKT2_S6_PT3_21rocsparse_index_base_b
	.p2align	8
	.type	_ZN9rocsparseL27csrmvn_symm_adaptive_kernelIllffffEEvbT_S1_PKS1_NS_24const_host_device_scalarIT4_EES3_PKT0_PKT1_PKT2_S6_PT3_21rocsparse_index_base_b,@function
_ZN9rocsparseL27csrmvn_symm_adaptive_kernelIllffffEEvbT_S1_PKS1_NS_24const_host_device_scalarIT4_EES3_PKT0_PKT1_PKT2_S6_PT3_21rocsparse_index_base_b: ; @_ZN9rocsparseL27csrmvn_symm_adaptive_kernelIllffffEEvbT_S1_PKS1_NS_24const_host_device_scalarIT4_EES3_PKT0_PKT1_PKT2_S6_PT3_21rocsparse_index_base_b
; %bb.0:
	s_load_dwordx2 s[30:31], s[4:5], 0x58
	s_load_dwordx2 s[36:37], s[4:5], 0x20
	;; [unrolled: 1-line block ×3, first 2 shown]
	s_waitcnt lgkmcnt(0)
	s_bitcmp1_b32 s31, 0
	s_cselect_b64 s[8:9], -1, 0
	s_xor_b64 s[2:3], s[8:9], -1
	s_and_b64 vcc, exec, s[8:9]
	s_cbranch_vccnz .LBB9_2
; %bb.1:
	s_load_dword s36, s[36:37], 0x0
.LBB9_2:
	s_andn2_b64 vcc, exec, s[2:3]
	s_cbranch_vccnz .LBB9_4
; %bb.3:
	s_load_dword s0, s[0:1], 0x0
.LBB9_4:
	s_waitcnt lgkmcnt(0)
	v_cmp_neq_f32_e64 s[2:3], s36, 0
	v_cmp_neq_f32_e64 s[0:1], s0, 1.0
	s_or_b64 s[0:1], s[2:3], s[0:1]
	s_andn2_b64 vcc, exec, s[0:1]
	s_cbranch_vccnz .LBB9_179
; %bb.5:
	s_load_dwordx2 s[0:1], s[4:5], 0x18
	s_ashr_i32 s7, s6, 31
	s_lshl_b64 s[2:3], s[6:7], 3
	v_lshlrev_b32_e32 v18, 2, v0
	v_mov_b32_e32 v1, 0
	s_waitcnt lgkmcnt(0)
	s_add_u32 s0, s0, s2
	s_addc_u32 s1, s1, s3
	ds_write2st64_b32 v18, v1, v1 offset1:4
	ds_write2st64_b32 v18, v1, v1 offset0:8 offset1:12
	s_waitcnt lgkmcnt(0)
	s_barrier
	s_load_dwordx4 s[24:27], s[0:1], 0x0
	s_load_dwordx8 s[16:23], s[4:5], 0x28
	s_load_dwordx2 s[14:15], s[4:5], 0x50
	s_mov_b64 s[0:1], -1
	s_waitcnt lgkmcnt(0)
	s_sub_u32 s28, s26, s24
	s_subb_u32 s29, s27, s25
	v_cmp_gt_i64_e64 s[2:3], s[28:29], 2
	s_and_b64 vcc, exec, s[2:3]
	s_cbranch_vccnz .LBB9_40
; %bb.6:
	v_pk_mov_b32 v[2:3], s[24:25], s[24:25] op_sel:[0,1]
	v_cmp_gt_i64_e32 vcc, s[26:27], v[2:3]
	v_subrev_co_u32_e64 v1, s[0:1], s30, v0
	s_mov_b32 s31, 0
	v_subb_co_u32_e64 v10, s[0:1], 0, 0, s[0:1]
	s_cbranch_vccnz .LBB9_8
; %bb.7:
	s_lshl_b64 s[0:1], s[24:25], 3
	s_add_u32 s0, s16, s0
	s_addc_u32 s1, s17, s1
	s_load_dwordx2 s[34:35], s[0:1], 0x0
	s_cbranch_execz .LBB9_9
	s_branch .LBB9_29
.LBB9_8:
                                        ; implicit-def: $sgpr34_sgpr35
.LBB9_9:
	s_lshl_b64 s[12:13], s[24:25], 3
	s_add_u32 s12, s16, s12
	s_addc_u32 s13, s17, s13
	s_waitcnt lgkmcnt(0)
	s_load_dwordx2 s[34:35], s[12:13], 0x0
	s_movk_i32 s33, 0x100
	s_add_u32 s37, s16, 8
	v_cmp_gt_u32_e64 s[0:1], s33, v0
	v_cmp_gt_u32_e64 s[2:3], 64, v0
	;; [unrolled: 1-line block ×4, first 2 shown]
	v_cmp_eq_u32_e64 s[10:11], 0, v0
	s_addc_u32 s48, s17, 0
	v_mov_b32_e32 v11, s31
	v_mov_b32_e32 v12, s23
	;; [unrolled: 1-line block ×3, first 2 shown]
	v_pk_mov_b32 v[2:3], s[26:27], s[26:27] op_sel:[0,1]
	s_waitcnt lgkmcnt(0)
	s_mov_b64 s[40:41], s[34:35]
	s_mov_b64 s[38:39], s[24:25]
	s_branch .LBB9_11
.LBB9_10:                               ;   in Loop: Header=BB9_11 Depth=1
	s_or_b64 exec, exec, s[12:13]
	s_add_u32 s38, s38, 1
	s_addc_u32 s39, s39, 0
	v_cmp_ge_i64_e32 vcc, s[38:39], v[2:3]
	s_cbranch_vccnz .LBB9_29
.LBB9_11:                               ; =>This Loop Header: Depth=1
                                        ;     Child Loop BB9_13 Depth 2
                                        ;     Child Loop BB9_28 Depth 2
	s_mov_b64 s[12:13], s[40:41]
	s_lshl_b64 s[40:41], s[38:39], 3
	s_add_u32 s40, s37, s40
	s_addc_u32 s41, s48, s41
	s_load_dwordx2 s[40:41], s[40:41], 0x0
	v_mov_b32_e32 v5, s13
	v_add_co_u32_e32 v4, vcc, s12, v1
	v_addc_co_u32_e32 v5, vcc, v5, v10, vcc
	s_waitcnt lgkmcnt(0)
	s_sub_u32 s42, s40, s30
	s_subb_u32 s43, s41, 0
	v_cmp_gt_i64_e32 vcc, s[42:43], v[4:5]
	v_mov_b32_e32 v14, 0
	s_and_saveexec_b64 s[44:45], vcc
	s_cbranch_execz .LBB9_15
; %bb.12:                               ;   in Loop: Header=BB9_11 Depth=1
	v_lshlrev_b64 v[6:7], 3, v[4:5]
	v_mov_b32_e32 v8, s19
	v_add_co_u32_e32 v6, vcc, s18, v6
	v_addc_co_u32_e32 v7, vcc, v8, v7, vcc
	v_lshlrev_b64 v[8:9], 2, v[4:5]
	v_mov_b32_e32 v14, s21
	v_add_co_u32_e32 v8, vcc, s20, v8
	v_addc_co_u32_e32 v9, vcc, v14, v9, vcc
	s_mov_b64 s[46:47], 0
	v_mov_b32_e32 v14, 0
.LBB9_13:                               ;   Parent Loop BB9_11 Depth=1
                                        ; =>  This Inner Loop Header: Depth=2
	global_load_dwordx2 v[16:17], v[6:7], off
	global_load_dword v15, v[8:9], off
	s_waitcnt vmcnt(1)
	v_subrev_co_u32_e32 v16, vcc, s30, v16
	v_subb_co_u32_e32 v17, vcc, v17, v11, vcc
	v_lshlrev_b64 v[16:17], 2, v[16:17]
	v_add_co_u32_e32 v16, vcc, s22, v16
	v_addc_co_u32_e32 v17, vcc, v12, v17, vcc
	global_load_dword v16, v[16:17], off
	v_add_co_u32_e32 v4, vcc, s33, v4
	v_addc_co_u32_e32 v5, vcc, 0, v5, vcc
	v_add_co_u32_e32 v6, vcc, 0x800, v6
	v_addc_co_u32_e32 v7, vcc, 0, v7, vcc
	v_add_co_u32_e32 v8, vcc, 0x400, v8
	v_cmp_le_i64_e64 s[12:13], s[42:43], v[4:5]
	v_addc_co_u32_e32 v9, vcc, 0, v9, vcc
	s_or_b64 s[46:47], s[12:13], s[46:47]
	s_waitcnt vmcnt(0)
	v_fmac_f32_e32 v14, v15, v16
	s_andn2_b64 exec, exec, s[46:47]
	s_cbranch_execnz .LBB9_13
; %bb.14:                               ;   in Loop: Header=BB9_11 Depth=1
	s_or_b64 exec, exec, s[46:47]
.LBB9_15:                               ;   in Loop: Header=BB9_11 Depth=1
	s_or_b64 exec, exec, s[44:45]
	ds_write_b32 v18, v14
	s_waitcnt lgkmcnt(0)
	s_barrier
	s_and_saveexec_b64 s[12:13], s[0:1]
	s_cbranch_execz .LBB9_17
; %bb.16:                               ;   in Loop: Header=BB9_11 Depth=1
	ds_read2st64_b32 v[4:5], v18 offset1:4
	ds_read2st64_b32 v[6:7], v18 offset0:8 offset1:12
	s_waitcnt lgkmcnt(0)
	v_add_f32_e32 v5, v5, v6
	v_add_f32_e32 v5, v5, v7
	;; [unrolled: 1-line block ×3, first 2 shown]
	ds_write_b32 v18, v4
.LBB9_17:                               ;   in Loop: Header=BB9_11 Depth=1
	s_or_b64 exec, exec, s[12:13]
	s_waitcnt lgkmcnt(0)
	s_barrier
	s_and_saveexec_b64 s[12:13], s[2:3]
	s_cbranch_execz .LBB9_19
; %bb.18:                               ;   in Loop: Header=BB9_11 Depth=1
	ds_read2st64_b32 v[4:5], v18 offset1:1
	ds_read2st64_b32 v[6:7], v18 offset0:2 offset1:3
	s_waitcnt lgkmcnt(0)
	v_add_f32_e32 v5, v5, v6
	v_add_f32_e32 v5, v5, v7
	;; [unrolled: 1-line block ×3, first 2 shown]
	ds_write_b32 v18, v4
.LBB9_19:                               ;   in Loop: Header=BB9_11 Depth=1
	s_or_b64 exec, exec, s[12:13]
	s_waitcnt lgkmcnt(0)
	s_barrier
	s_and_saveexec_b64 s[12:13], s[6:7]
	s_cbranch_execz .LBB9_21
; %bb.20:                               ;   in Loop: Header=BB9_11 Depth=1
	ds_read2_b32 v[4:5], v18 offset1:16
	ds_read2_b32 v[6:7], v18 offset0:32 offset1:48
	s_waitcnt lgkmcnt(0)
	v_add_f32_e32 v5, v5, v6
	v_add_f32_e32 v5, v5, v7
	;; [unrolled: 1-line block ×3, first 2 shown]
	ds_write_b32 v18, v4
.LBB9_21:                               ;   in Loop: Header=BB9_11 Depth=1
	s_or_b64 exec, exec, s[12:13]
	s_waitcnt lgkmcnt(0)
	s_barrier
	s_and_saveexec_b64 s[12:13], s[8:9]
	s_cbranch_execz .LBB9_23
; %bb.22:                               ;   in Loop: Header=BB9_11 Depth=1
	ds_read2_b32 v[4:5], v18 offset1:4
	ds_read2_b32 v[6:7], v18 offset0:8 offset1:12
	s_waitcnt lgkmcnt(0)
	v_add_f32_e32 v5, v5, v6
	v_add_f32_e32 v5, v5, v7
	;; [unrolled: 1-line block ×3, first 2 shown]
	ds_write_b32 v18, v4
.LBB9_23:                               ;   in Loop: Header=BB9_11 Depth=1
	s_or_b64 exec, exec, s[12:13]
	s_waitcnt lgkmcnt(0)
	s_barrier
	s_and_saveexec_b64 s[12:13], s[10:11]
	s_cbranch_execz .LBB9_25
; %bb.24:                               ;   in Loop: Header=BB9_11 Depth=1
	ds_read2_b32 v[4:5], v13 offset0:1 offset1:2
	ds_read_b32 v6, v13 offset:12
	ds_read_b32 v7, v18
	s_waitcnt lgkmcnt(2)
	v_add_f32_e32 v4, v4, v5
	s_waitcnt lgkmcnt(1)
	v_add_f32_e32 v4, v4, v6
	;; [unrolled: 2-line block ×3, first 2 shown]
	ds_write_b32 v18, v4
.LBB9_25:                               ;   in Loop: Header=BB9_11 Depth=1
	s_or_b64 exec, exec, s[12:13]
	s_waitcnt lgkmcnt(0)
	s_barrier
	s_and_saveexec_b64 s[12:13], s[10:11]
	s_cbranch_execz .LBB9_10
; %bb.26:                               ;   in Loop: Header=BB9_11 Depth=1
	s_mov_b64 s[44:45], exec
	v_mbcnt_lo_u32_b32 v4, s44, 0
	v_mbcnt_hi_u32_b32 v4, s45, v4
	v_cmp_eq_u32_e32 vcc, 0, v4
	s_and_b64 s[42:43], exec, vcc
	s_mov_b64 exec, s[42:43]
	s_cbranch_execz .LBB9_10
; %bb.27:                               ;   in Loop: Header=BB9_11 Depth=1
	s_lshl_b64 s[42:43], s[38:39], 2
	s_add_u32 s42, s14, s42
	s_addc_u32 s43, s15, s43
	global_load_dword v5, v13, s[42:43]
	ds_read_b32 v4, v13
	s_bcnt1_i32_b64 s44, s[44:45]
	v_cvt_f32_ubyte0_e32 v6, s44
	s_mov_b64 s[44:45], 0
	s_waitcnt lgkmcnt(0)
	v_mul_f32_e32 v4, s36, v4
	v_mul_f32_e32 v6, v4, v6
.LBB9_28:                               ;   Parent Loop BB9_11 Depth=1
                                        ; =>  This Inner Loop Header: Depth=2
	s_waitcnt vmcnt(0)
	v_add_f32_e32 v4, v5, v6
	global_atomic_cmpswap v4, v13, v[4:5], s[42:43] glc
	s_waitcnt vmcnt(0)
	v_cmp_eq_u32_e32 vcc, v4, v5
	s_or_b64 s[44:45], vcc, s[44:45]
	v_mov_b32_e32 v5, v4
	s_andn2_b64 exec, exec, s[44:45]
	s_cbranch_execnz .LBB9_28
	s_branch .LBB9_10
.LBB9_29:
	s_lshl_b64 s[0:1], s[26:27], 3
	s_add_u32 s0, s16, s0
	s_addc_u32 s1, s17, s1
	s_load_dwordx2 s[0:1], s[0:1], 0x0
	s_waitcnt lgkmcnt(0)
	v_mov_b32_e32 v3, s35
	v_add_co_u32_e32 v2, vcc, s34, v1
	v_addc_co_u32_e32 v3, vcc, v3, v10, vcc
	s_sub_u32 s6, s0, s30
	s_subb_u32 s7, s1, 0
	v_cmp_gt_i64_e32 vcc, s[6:7], v[2:3]
	s_and_saveexec_b64 s[8:9], vcc
	s_cbranch_execz .LBB9_39
; %bb.30:
	s_add_u32 s10, s26, -1
	s_addc_u32 s11, s27, -1
	s_add_u32 s0, s26, -2
	s_addc_u32 s1, s27, -1
	v_pk_mov_b32 v[4:5], s[24:25], s[24:25] op_sel:[0,1]
	s_cmp_lg_u64 s[0:1], s[24:25]
	v_cmp_gt_i64_e32 vcc, s[10:11], v[4:5]
	s_cselect_b64 s[0:1], -1, 0
	s_and_b64 s[0:1], vcc, s[0:1]
	v_cndmask_b32_e64 v1, 0, 1, s[0:1]
	s_mov_b64 s[12:13], 0
	v_cmp_ne_u32_e64 s[0:1], 1, v1
	v_mov_b32_e32 v1, s17
	v_mov_b32_e32 v8, s31
	;; [unrolled: 1-line block ×3, first 2 shown]
	s_branch .LBB9_32
.LBB9_31:                               ;   in Loop: Header=BB9_32 Depth=1
	s_or_b64 exec, exec, s[2:3]
	v_add_co_u32_e32 v2, vcc, 0x100, v2
	v_addc_co_u32_e32 v3, vcc, 0, v3, vcc
	v_cmp_le_i64_e32 vcc, s[6:7], v[2:3]
	s_or_b64 s[12:13], vcc, s[12:13]
	s_andn2_b64 exec, exec, s[12:13]
	s_cbranch_execz .LBB9_39
.LBB9_32:                               ; =>This Loop Header: Depth=1
                                        ;     Child Loop BB9_34 Depth 2
                                        ;     Child Loop BB9_38 Depth 2
	s_and_b64 vcc, exec, s[0:1]
	v_pk_mov_b32 v[4:5], s[24:25], s[24:25] op_sel:[0,1]
	v_pk_mov_b32 v[6:7], s[10:11], s[10:11] op_sel:[0,1]
	s_cbranch_vccnz .LBB9_36
; %bb.33:                               ;   in Loop: Header=BB9_32 Depth=1
	s_mov_b64 s[34:35], 0
	v_pk_mov_b32 v[4:5], s[24:25], s[24:25] op_sel:[0,1]
	v_pk_mov_b32 v[6:7], s[10:11], s[10:11] op_sel:[0,1]
.LBB9_34:                               ;   Parent Loop BB9_32 Depth=1
                                        ; =>  This Inner Loop Header: Depth=2
	v_add_co_u32_e32 v10, vcc, v6, v4
	v_addc_co_u32_e32 v11, vcc, v7, v5, vcc
	v_lshrrev_b32_e32 v12, 31, v11
	v_add_co_u32_e32 v10, vcc, v10, v12
	v_addc_co_u32_e32 v11, vcc, 0, v11, vcc
	v_ashrrev_i64 v[10:11], 1, v[10:11]
	v_lshlrev_b64 v[12:13], 3, v[10:11]
	v_mov_b32_e32 v14, s17
	v_add_co_u32_e32 v12, vcc, s16, v12
	v_addc_co_u32_e32 v13, vcc, v14, v13, vcc
	global_load_dwordx2 v[12:13], v[12:13], off
	v_mov_b32_e32 v14, s31
	s_waitcnt vmcnt(0)
	v_subrev_co_u32_e32 v12, vcc, s30, v12
	v_subb_co_u32_e32 v13, vcc, v13, v14, vcc
	v_cmp_gt_i64_e32 vcc, v[12:13], v[2:3]
	v_cndmask_b32_e32 v6, v6, v10, vcc
	v_cndmask_b32_e32 v7, v7, v11, vcc
	v_cndmask_b32_e32 v4, v10, v4, vcc
	v_add_co_u32_e64 v10, s[2:3], -1, v6
	v_cndmask_b32_e32 v5, v11, v5, vcc
	v_addc_co_u32_e64 v11, s[2:3], -1, v7, s[2:3]
	v_cmp_ge_i64_e32 vcc, v[4:5], v[6:7]
	v_cmp_eq_u64_e64 s[2:3], v[4:5], v[10:11]
	s_or_b64 s[2:3], vcc, s[2:3]
	s_and_b64 s[2:3], exec, s[2:3]
	s_or_b64 s[34:35], s[2:3], s[34:35]
	s_andn2_b64 exec, exec, s[34:35]
	s_cbranch_execnz .LBB9_34
; %bb.35:                               ;   in Loop: Header=BB9_32 Depth=1
	s_or_b64 exec, exec, s[34:35]
.LBB9_36:                               ;   in Loop: Header=BB9_32 Depth=1
	v_lshlrev_b64 v[10:11], 3, v[6:7]
	v_add_co_u32_e32 v10, vcc, s16, v10
	v_addc_co_u32_e32 v11, vcc, v1, v11, vcc
	global_load_dwordx2 v[10:11], v[10:11], off
	v_lshlrev_b64 v[12:13], 3, v[2:3]
	v_add_co_u32_e32 v12, vcc, s18, v12
	v_addc_co_u32_e32 v13, vcc, v9, v13, vcc
	global_load_dwordx2 v[12:13], v[12:13], off
	s_waitcnt vmcnt(1)
	v_subrev_co_u32_e32 v10, vcc, s30, v10
	v_subb_co_u32_e32 v11, vcc, v11, v8, vcc
	v_cmp_gt_i64_e32 vcc, v[10:11], v[2:3]
	v_cndmask_b32_e32 v5, v7, v5, vcc
	v_cndmask_b32_e32 v4, v6, v4, vcc
	s_waitcnt vmcnt(0)
	v_subrev_co_u32_e32 v6, vcc, s30, v12
	v_subb_co_u32_e32 v7, vcc, v13, v8, vcc
	v_cmp_ne_u64_e32 vcc, v[6:7], v[4:5]
	s_and_saveexec_b64 s[2:3], vcc
	s_cbranch_execz .LBB9_31
; %bb.37:                               ;   in Loop: Header=BB9_32 Depth=1
	v_lshlrev_b64 v[10:11], 2, v[2:3]
	v_mov_b32_e32 v13, s21
	v_add_co_u32_e32 v10, vcc, s20, v10
	v_addc_co_u32_e32 v11, vcc, v13, v11, vcc
	v_lshlrev_b64 v[4:5], 2, v[4:5]
	global_load_dword v10, v[10:11], off
	v_mov_b32_e32 v11, s23
	v_add_co_u32_e32 v4, vcc, s22, v4
	v_lshlrev_b64 v[6:7], 2, v[6:7]
	v_addc_co_u32_e32 v5, vcc, v11, v5, vcc
	v_mov_b32_e32 v12, s15
	global_load_dword v11, v[4:5], off
	v_add_co_u32_e32 v4, vcc, s14, v6
	v_addc_co_u32_e32 v5, vcc, v12, v7, vcc
	global_load_dword v7, v[4:5], off
	s_mov_b64 s[34:35], 0
	s_waitcnt vmcnt(2)
	v_mul_f32_e32 v6, s36, v10
	s_waitcnt vmcnt(1)
	v_mul_f32_e32 v10, v6, v11
.LBB9_38:                               ;   Parent Loop BB9_32 Depth=1
                                        ; =>  This Inner Loop Header: Depth=2
	s_waitcnt vmcnt(0)
	v_add_f32_e32 v6, v7, v10
	global_atomic_cmpswap v6, v[4:5], v[6:7], off glc
	s_waitcnt vmcnt(0)
	v_cmp_eq_u32_e32 vcc, v6, v7
	s_or_b64 s[34:35], vcc, s[34:35]
	v_mov_b32_e32 v7, v6
	s_andn2_b64 exec, exec, s[34:35]
	s_cbranch_execnz .LBB9_38
	s_branch .LBB9_31
.LBB9_39:
	s_or_b64 exec, exec, s[8:9]
	s_mov_b64 s[0:1], 0
.LBB9_40:
	s_and_b64 vcc, exec, s[0:1]
	s_cbranch_vccz .LBB9_179
; %bb.41:
	s_load_dword s0, s[4:5], 0x6c
	s_mov_b32 s31, 0
	v_pk_mov_b32 v[2:3], s[28:29], s[28:29] op_sel:[0,1]
	s_mov_b32 s13, s31
	s_mov_b64 s[34:35], 0
	s_waitcnt lgkmcnt(0)
	s_and_b32 s12, s0, 0xffff
	v_cmp_lt_u64_e32 vcc, s[12:13], v[2:3]
	s_cbranch_vccnz .LBB9_43
; %bb.42:
	v_cvt_f32_u32_e32 v1, s28
	s_sub_i32 s0, 0, s28
	v_rcp_iflag_f32_e32 v1, v1
	v_mul_f32_e32 v1, 0x4f7ffffe, v1
	v_cvt_u32_f32_e32 v1, v1
	v_readfirstlane_b32 s1, v1
	s_mul_i32 s0, s0, s1
	s_mul_hi_u32 s0, s1, s0
	s_add_i32 s1, s1, s0
	s_mul_hi_u32 s0, s12, s1
	s_mul_i32 s2, s0, s28
	s_sub_i32 s2, s12, s2
	s_add_i32 s1, s0, 1
	s_sub_i32 s3, s2, s28
	s_cmp_ge_u32 s2, s28
	s_cselect_b32 s0, s1, s0
	s_cselect_b32 s2, s3, s2
	s_add_i32 s1, s0, 1
	s_cmp_ge_u32 s2, s28
	s_cselect_b32 s34, s1, s0
.LBB9_43:
	s_lshl_b64 s[0:1], s[24:25], 3
	s_add_u32 s10, s16, s0
	s_addc_u32 s11, s17, s1
	s_load_dwordx2 s[8:9], s[10:11], 0x0
	v_subrev_co_u32_e32 v2, vcc, s30, v0
	s_load_dwordx4 s[4:7], s[4:5], 0x8
	v_subb_co_u32_e64 v3, s[0:1], 0, 0, vcc
	s_waitcnt lgkmcnt(0)
	v_mov_b32_e32 v4, s9
	v_add_co_u32_e32 v6, vcc, s8, v2
	v_addc_co_u32_e32 v7, vcc, v4, v3, vcc
	v_add_co_u32_e32 v8, vcc, 0x300, v6
	v_addc_co_u32_e32 v9, vcc, 0, v7, vcc
	v_mov_b32_e32 v1, 0
	v_cmp_le_i64_e64 s[0:1], s[4:5], v[8:9]
	s_and_saveexec_b64 s[2:3], s[0:1]
	s_xor_b64 s[4:5], exec, s[2:3]
	s_cbranch_execnz .LBB9_46
; %bb.44:
	s_andn2_saveexec_b64 s[2:3], s[4:5]
	s_cbranch_execnz .LBB9_57
.LBB9_45:
	s_or_b64 exec, exec, s[2:3]
	v_cmp_gt_i64_e32 vcc, s[6:7], v[0:1]
	s_and_saveexec_b64 s[4:5], vcc
	s_cbranch_execnz .LBB9_58
	s_branch .LBB9_65
.LBB9_46:
	s_lshl_b64 s[2:3], s[26:27], 3
	s_add_u32 s2, s16, s2
	s_addc_u32 s3, s17, s3
	s_load_dwordx2 s[2:3], s[2:3], 0x0
	s_waitcnt lgkmcnt(0)
	s_sub_u32 s38, s2, s8
	s_subb_u32 s39, s3, s9
	v_cmp_gt_i64_e32 vcc, s[38:39], v[0:1]
	s_and_saveexec_b64 s[40:41], vcc
	s_cbranch_execz .LBB9_56
; %bb.47:
	s_not_b64 s[42:43], s[8:9]
	s_add_u32 s2, s2, s42
	s_addc_u32 s3, s3, s43
	v_mov_b32_e32 v2, s3
	v_sub_co_u32_e32 v4, vcc, s2, v0
	v_subbrev_co_u32_e32 v5, vcc, 0, v2, vcc
	s_mov_b64 s[2:3], 0xff
	v_cmp_lt_u64_e32 vcc, s[2:3], v[4:5]
	s_mov_b64 s[2:3], 0
                                        ; implicit-def: $vgpr12_vgpr13
                                        ; implicit-def: $vgpr2_vgpr3
	s_and_saveexec_b64 s[42:43], vcc
	s_xor_b64 s[42:43], exec, s[42:43]
	s_cbranch_execnz .LBB9_50
; %bb.48:
	s_andn2_saveexec_b64 s[42:43], s[42:43]
	s_cbranch_execnz .LBB9_53
.LBB9_49:
	s_or_b64 exec, exec, s[42:43]
	s_and_b64 exec, exec, s[2:3]
	s_cbranch_execnz .LBB9_54
	s_branch .LBB9_56
.LBB9_50:
	v_lshrrev_b64 v[2:3], 8, v[4:5]
	v_add_co_u32_e32 v4, vcc, 1, v2
	v_addc_co_u32_e32 v5, vcc, 0, v3, vcc
	v_lshlrev_b64 v[2:3], 2, v[6:7]
	v_mov_b32_e32 v14, s21
	v_add_co_u32_e32 v15, vcc, s20, v2
	v_addc_co_u32_e32 v16, vcc, v3, v14, vcc
	s_movk_i32 s2, 0x400
	v_and_b32_e32 v10, -2, v4
	v_mov_b32_e32 v11, v5
	v_add_co_u32_e32 v14, vcc, s2, v15
	s_mov_b32 s37, s36
	v_mov_b32_e32 v12, v0
	v_mov_b32_e32 v13, v0
	v_addc_co_u32_e32 v15, vcc, 0, v16, vcc
	s_mov_b64 s[46:47], 0x100
	s_mov_b64 s[44:45], 0
	v_pk_mov_b32 v[16:17], v[10:11], v[10:11] op_sel:[0,1]
	s_mov_b64 s[48:49], 0
.LBB9_51:                               ; =>This Inner Loop Header: Depth=1
	global_load_dword v20, v[14:15], off offset:-1024
	global_load_dword v21, v[14:15], off
	v_add_lshl_u32 v19, v12, s48, 2
	s_add_u32 s48, s48, 0x200
	v_add_co_u32_e32 v14, vcc, 0x800, v14
	v_add_co_u32_e64 v16, s[2:3], -2, v16
	s_addc_u32 s49, s49, 0
	v_add_lshl_u32 v22, v13, s46, 2
	v_addc_co_u32_e64 v17, s[2:3], -1, v17, s[2:3]
	v_addc_co_u32_e32 v15, vcc, 0, v15, vcc
	s_add_u32 s46, s46, 0x200
	v_cmp_eq_u64_e32 vcc, 0, v[16:17]
	s_addc_u32 s47, s47, 0
	s_or_b64 s[44:45], vcc, s[44:45]
	s_waitcnt vmcnt(0)
	v_pk_mul_f32 v[20:21], s[36:37], v[20:21]
	ds_write_b32 v19, v20
	ds_write_b32 v22, v21
	s_andn2_b64 exec, exec, s[44:45]
	s_cbranch_execnz .LBB9_51
; %bb.52:
	s_or_b64 exec, exec, s[44:45]
	v_cmp_ne_u64_e32 vcc, v[4:5], v[10:11]
	v_lshlrev_b64 v[12:13], 8, v[10:11]
	s_and_b64 s[2:3], vcc, exec
	s_andn2_saveexec_b64 s[42:43], s[42:43]
	s_cbranch_execz .LBB9_49
.LBB9_53:
	v_lshlrev_b64 v[2:3], 2, v[6:7]
	v_pk_mov_b32 v[12:13], 0, 0
	s_or_b64 s[2:3], s[2:3], exec
	s_or_b64 exec, exec, s[42:43]
	s_and_b64 exec, exec, s[2:3]
	s_cbranch_execz .LBB9_56
.LBB9_54:
	v_lshlrev_b64 v[4:5], 2, v[12:13]
	v_add_co_u32_e32 v2, vcc, v4, v2
	v_addc_co_u32_e32 v3, vcc, v5, v3, vcc
	v_mov_b32_e32 v4, s21
	v_add_co_u32_e32 v2, vcc, s20, v2
	v_addc_co_u32_e32 v3, vcc, v4, v3, vcc
	v_add_co_u32_e32 v4, vcc, v12, v0
	v_lshlrev_b32_e32 v10, 2, v12
	v_addc_co_u32_e32 v5, vcc, 0, v13, vcc
	v_lshl_add_u32 v10, v0, 2, v10
	s_mov_b64 s[2:3], 0
.LBB9_55:                               ; =>This Inner Loop Header: Depth=1
	global_load_dword v11, v[2:3], off
	v_add_co_u32_e32 v2, vcc, 0x400, v2
	v_addc_co_u32_e32 v3, vcc, 0, v3, vcc
	v_add_co_u32_e32 v4, vcc, 0x100, v4
	v_addc_co_u32_e32 v5, vcc, 0, v5, vcc
	v_cmp_le_i64_e32 vcc, s[38:39], v[4:5]
	s_or_b64 s[2:3], vcc, s[2:3]
	s_waitcnt vmcnt(0)
	v_mul_f32_e32 v11, s36, v11
	ds_write_b32 v10, v11
	v_add_u32_e32 v10, 0x400, v10
	s_andn2_b64 exec, exec, s[2:3]
	s_cbranch_execnz .LBB9_55
.LBB9_56:
	s_or_b64 exec, exec, s[40:41]
	s_andn2_saveexec_b64 s[2:3], s[4:5]
	s_cbranch_execz .LBB9_45
.LBB9_57:
	v_lshlrev_b64 v[2:3], 2, v[6:7]
	v_mov_b32_e32 v4, s21
	v_add_co_u32_e32 v2, vcc, s20, v2
	v_addc_co_u32_e32 v3, vcc, v4, v3, vcc
	global_load_dword v4, v[2:3], off
	global_load_dword v5, v[2:3], off offset:1024
	global_load_dword v10, v[2:3], off offset:2048
	;; [unrolled: 1-line block ×3, first 2 shown]
	s_waitcnt vmcnt(3)
	v_mul_f32_e32 v2, s36, v4
	s_waitcnt vmcnt(2)
	v_mul_f32_e32 v3, s36, v5
	;; [unrolled: 2-line block ×4, first 2 shown]
	ds_write2st64_b32 v18, v2, v3 offset1:4
	ds_write2st64_b32 v18, v4, v5 offset0:8 offset1:12
	s_or_b64 exec, exec, s[2:3]
	v_cmp_gt_i64_e32 vcc, s[6:7], v[0:1]
	s_and_saveexec_b64 s[4:5], vcc
	s_cbranch_execz .LBB9_65
.LBB9_58:
	v_not_b32_e32 v3, v0
	v_not_b32_e32 v2, 0
	v_mov_b32_e32 v5, s7
	v_add_co_u32_e32 v4, vcc, s6, v3
	v_addc_co_u32_e32 v5, vcc, v2, v5, vcc
	s_mov_b64 s[2:3], 0x2ff
	v_cmp_lt_u64_e32 vcc, s[2:3], v[4:5]
	s_mov_b64 s[2:3], -1
	v_pk_mov_b32 v[2:3], v[0:1], v[0:1] op_sel:[0,1]
	s_and_saveexec_b64 s[20:21], vcc
	s_cbranch_execz .LBB9_62
; %bb.59:
	v_lshrrev_b64 v[2:3], 8, v[4:5]
	v_add_co_u32_e32 v10, vcc, 1, v2
	v_addc_co_u32_e32 v11, vcc, 0, v3, vcc
	v_or_b32_e32 v2, 0x100, v0
	v_mov_b32_e32 v3, v1
	v_and_b32_e32 v12, -4, v10
	v_mov_b32_e32 v13, v11
	v_pk_mov_b32 v[4:5], v[2:3], v[2:3] op_sel:[0,1]
	s_mov_b64 s[36:37], 0
	v_mov_b32_e32 v16, 0x1000
	v_mov_b32_e32 v17, 0
	v_pk_mov_b32 v[14:15], v[12:13], v[12:13] op_sel:[0,1]
	v_pk_mov_b32 v[2:3], v[0:1], v[0:1] op_sel:[0,1]
.LBB9_60:                               ; =>This Inner Loop Header: Depth=1
	v_lshl_add_u32 v20, v4, 2, v16
	v_add_co_u32_e32 v4, vcc, 0x400, v4
	v_add_co_u32_e64 v14, s[2:3], -4, v14
	v_addc_co_u32_e32 v5, vcc, 0, v5, vcc
	v_addc_co_u32_e64 v15, s[2:3], -1, v15, s[2:3]
	v_lshl_add_u32 v19, v2, 2, v16
	v_add_co_u32_e32 v2, vcc, 0x400, v2
	v_cmp_eq_u64_e64 s[2:3], 0, v[14:15]
	s_or_b64 s[36:37], s[2:3], s[36:37]
	v_addc_co_u32_e32 v3, vcc, 0, v3, vcc
	ds_write_b32 v19, v17
	ds_write_b32 v20, v17
	ds_write_b32 v19, v17 offset:2048
	ds_write_b32 v20, v17 offset:2048
	s_andn2_b64 exec, exec, s[36:37]
	s_cbranch_execnz .LBB9_60
; %bb.61:
	s_or_b64 exec, exec, s[36:37]
	v_lshlrev_b64 v[2:3], 8, v[12:13]
	v_cmp_ne_u64_e32 vcc, v[10:11], v[12:13]
	v_or_b32_e32 v3, 0, v3
	v_or_b32_e32 v2, v2, v0
	s_orn2_b64 s[2:3], vcc, exec
.LBB9_62:
	s_or_b64 exec, exec, s[20:21]
	s_and_b64 exec, exec, s[2:3]
	s_cbranch_execz .LBB9_65
; %bb.63:
	v_mov_b32_e32 v4, 0x1000
	v_lshl_add_u32 v4, v2, 2, v4
	s_mov_b64 s[2:3], 0
	v_mov_b32_e32 v5, 0
.LBB9_64:                               ; =>This Inner Loop Header: Depth=1
	v_add_co_u32_e32 v2, vcc, 0x100, v2
	v_addc_co_u32_e32 v3, vcc, 0, v3, vcc
	v_cmp_le_i64_e32 vcc, s[6:7], v[2:3]
	ds_write_b32 v4, v5
	s_or_b64 s[2:3], vcc, s[2:3]
	v_add_u32_e32 v4, 0x400, v4
	s_andn2_b64 exec, exec, s[2:3]
	s_cbranch_execnz .LBB9_64
.LBB9_65:
	s_or_b64 exec, exec, s[4:5]
	s_sub_u32 s4, s26, s6
	v_pk_mov_b32 v[2:3], s[6:7], s[6:7] op_sel:[0,1]
	s_subb_u32 s5, s27, s7
	v_cmp_ge_i64_e32 vcc, s[26:27], v[2:3]
	s_and_b64 s[2:3], vcc, exec
	s_cselect_b32 s5, s5, 0
	s_cselect_b32 s4, s4, 0
	s_waitcnt lgkmcnt(0)
	s_barrier
	s_and_saveexec_b64 s[2:3], s[0:1]
	s_xor_b64 s[20:21], exec, s[2:3]
	s_cbranch_execz .LBB9_84
; %bb.66:
	s_lshl_b64 s[0:1], s[26:27], 3
	s_add_u32 s0, s16, s0
	s_addc_u32 s1, s17, s1
	s_load_dwordx2 s[0:1], s[0:1], 0x0
	s_waitcnt lgkmcnt(0)
	s_sub_u32 s36, s0, s8
	s_subb_u32 s37, s1, s9
	v_cmp_gt_i64_e32 vcc, s[36:37], v[0:1]
	s_and_saveexec_b64 s[38:39], vcc
	s_cbranch_execz .LBB9_83
; %bb.67:
	s_add_u32 s40, s26, -1
	s_addc_u32 s41, s27, -1
	s_add_u32 s2, s26, -2
	s_addc_u32 s3, s27, -1
	v_pk_mov_b32 v[2:3], s[24:25], s[24:25] op_sel:[0,1]
	s_cmp_lg_u64 s[2:3], s[24:25]
	v_cmp_gt_i64_e32 vcc, s[40:41], v[2:3]
	s_cselect_b64 s[2:3], -1, 0
	s_and_b64 s[2:3], vcc, s[2:3]
	s_sub_u32 s42, s0, s30
	v_cndmask_b32_e64 v2, 0, 1, s[2:3]
	s_subb_u32 s43, s1, 0
	s_mov_b64 s[44:45], 0
	v_cmp_ne_u32_e64 s[0:1], 1, v2
	v_mov_b32_e32 v12, s17
	v_mov_b32_e32 v13, s31
	;; [unrolled: 1-line block ×4, first 2 shown]
	s_mov_b64 s[46:47], 0
	s_branch .LBB9_70
.LBB9_68:                               ;   in Loop: Header=BB9_70 Depth=1
	s_or_b64 exec, exec, s[2:3]
.LBB9_69:                               ;   in Loop: Header=BB9_70 Depth=1
	s_or_b64 exec, exec, s[48:49]
	v_lshlrev_b64 v[2:3], 2, v[2:3]
	v_mov_b32_e32 v4, s23
	v_add_co_u32_e32 v2, vcc, s22, v2
	v_addc_co_u32_e32 v3, vcc, v4, v3, vcc
	global_load_dword v4, v[2:3], off
	s_add_u32 s46, s46, 0x100
	s_addc_u32 s47, s47, 0
	v_mov_b32_e32 v3, s47
	v_add_co_u32_e32 v2, vcc, s46, v0
	v_addc_co_u32_e32 v3, vcc, 0, v3, vcc
	v_cmp_le_i64_e32 vcc, s[36:37], v[2:3]
	v_lshlrev_b32_e32 v5, 2, v16
	s_or_b64 s[44:45], vcc, s[44:45]
	s_waitcnt vmcnt(0) lgkmcnt(0)
	v_mul_f32_e32 v2, v4, v10
	ds_write_b32 v5, v2
	s_andn2_b64 exec, exec, s[44:45]
	s_cbranch_execz .LBB9_83
.LBB9_70:                               ; =>This Loop Header: Depth=1
                                        ;     Child Loop BB9_72 Depth 2
                                        ;     Child Loop BB9_79 Depth 2
	v_mov_b32_e32 v2, s47
	v_add_co_u32_e32 v4, vcc, s46, v6
	v_addc_co_u32_e32 v5, vcc, v2, v7, vcc
	s_and_b64 vcc, exec, s[0:1]
	v_pk_mov_b32 v[8:9], s[24:25], s[24:25] op_sel:[0,1]
	v_pk_mov_b32 v[10:11], s[40:41], s[40:41] op_sel:[0,1]
	s_cbranch_vccnz .LBB9_74
; %bb.71:                               ;   in Loop: Header=BB9_70 Depth=1
	s_mov_b64 s[48:49], 0
	v_pk_mov_b32 v[8:9], s[24:25], s[24:25] op_sel:[0,1]
	v_pk_mov_b32 v[10:11], s[40:41], s[40:41] op_sel:[0,1]
.LBB9_72:                               ;   Parent Loop BB9_70 Depth=1
                                        ; =>  This Inner Loop Header: Depth=2
	v_add_co_u32_e32 v2, vcc, v10, v8
	v_addc_co_u32_e32 v3, vcc, v11, v9, vcc
	v_lshrrev_b32_e32 v16, 31, v3
	v_add_co_u32_e32 v2, vcc, v2, v16
	v_addc_co_u32_e32 v3, vcc, 0, v3, vcc
	v_ashrrev_i64 v[2:3], 1, v[2:3]
	v_lshlrev_b64 v[16:17], 3, v[2:3]
	v_mov_b32_e32 v19, s17
	v_add_co_u32_e32 v16, vcc, s16, v16
	v_addc_co_u32_e32 v17, vcc, v19, v17, vcc
	global_load_dwordx2 v[16:17], v[16:17], off
	v_mov_b32_e32 v19, s31
	s_waitcnt vmcnt(0)
	v_subrev_co_u32_e32 v16, vcc, s30, v16
	v_subb_co_u32_e32 v17, vcc, v17, v19, vcc
	v_cmp_gt_i64_e32 vcc, v[16:17], v[4:5]
	v_cndmask_b32_e32 v10, v10, v2, vcc
	v_cndmask_b32_e32 v11, v11, v3, vcc
	;; [unrolled: 1-line block ×3, first 2 shown]
	v_add_co_u32_e64 v2, s[2:3], -1, v10
	v_cndmask_b32_e32 v9, v3, v9, vcc
	v_addc_co_u32_e64 v3, s[2:3], -1, v11, s[2:3]
	v_cmp_ge_i64_e32 vcc, v[8:9], v[10:11]
	v_cmp_eq_u64_e64 s[2:3], v[8:9], v[2:3]
	s_or_b64 s[2:3], vcc, s[2:3]
	s_and_b64 s[2:3], exec, s[2:3]
	s_or_b64 s[48:49], s[2:3], s[48:49]
	s_andn2_b64 exec, exec, s[48:49]
	s_cbranch_execnz .LBB9_72
; %bb.73:                               ;   in Loop: Header=BB9_70 Depth=1
	s_or_b64 exec, exec, s[48:49]
.LBB9_74:                               ;   in Loop: Header=BB9_70 Depth=1
	v_lshlrev_b64 v[2:3], 3, v[10:11]
	v_add_co_u32_e32 v2, vcc, s16, v2
	v_addc_co_u32_e32 v3, vcc, v12, v3, vcc
	v_lshlrev_b64 v[16:17], 3, v[4:5]
	global_load_dwordx2 v[2:3], v[2:3], off
	v_add_co_u32_e32 v16, vcc, s18, v16
	v_addc_co_u32_e32 v17, vcc, v14, v17, vcc
	global_load_dwordx2 v[20:21], v[16:17], off
	v_add_co_u32_e32 v16, vcc, s46, v0
	v_cmp_le_i64_e32 vcc, s[42:43], v[4:5]
	s_waitcnt vmcnt(1)
	v_subrev_co_u32_e64 v22, s[2:3], s30, v2
	v_subb_co_u32_e64 v23, s[2:3], v3, v13, s[2:3]
	s_waitcnt vmcnt(0)
	v_subrev_co_u32_e64 v2, s[2:3], s30, v20
	v_subb_co_u32_e64 v3, s[2:3], v21, v13, s[2:3]
	v_cmp_gt_i64_e64 s[2:3], v[22:23], v[4:5]
	v_cndmask_b32_e64 v5, v11, v9, s[2:3]
	v_cndmask_b32_e64 v4, v10, v8, s[2:3]
	v_cmp_eq_u64_e64 s[2:3], v[2:3], v[4:5]
	s_or_b64 s[2:3], s[2:3], vcc
	v_lshlrev_b32_e32 v8, 2, v16
                                        ; implicit-def: $vgpr10
	s_and_saveexec_b64 s[48:49], s[2:3]
	s_xor_b64 s[2:3], exec, s[48:49]
	s_cbranch_execz .LBB9_76
; %bb.75:                               ;   in Loop: Header=BB9_70 Depth=1
	ds_read_b32 v10, v8
                                        ; implicit-def: $vgpr8
                                        ; implicit-def: $vgpr4_vgpr5
.LBB9_76:                               ;   in Loop: Header=BB9_70 Depth=1
	s_andn2_saveexec_b64 s[48:49], s[2:3]
	s_cbranch_execz .LBB9_69
; %bb.77:                               ;   in Loop: Header=BB9_70 Depth=1
	v_cmp_gt_i64_e32 vcc, s[4:5], v[2:3]
	v_cmp_le_i64_e64 s[2:3], s[26:27], v[2:3]
	s_or_b64 s[2:3], vcc, s[2:3]
	v_lshlrev_b64 v[4:5], 2, v[4:5]
                                        ; implicit-def: $vgpr10
	s_and_saveexec_b64 s[50:51], s[2:3]
	s_xor_b64 s[2:3], exec, s[50:51]
	s_cbranch_execz .LBB9_81
; %bb.78:                               ;   in Loop: Header=BB9_70 Depth=1
	v_mov_b32_e32 v17, s23
	v_add_co_u32_e32 v4, vcc, s22, v4
	s_waitcnt lgkmcnt(0)
	v_lshlrev_b64 v[10:11], 2, v[2:3]
	v_addc_co_u32_e32 v5, vcc, v17, v5, vcc
	v_mov_b32_e32 v9, s15
	global_load_dword v17, v[4:5], off
	v_add_co_u32_e32 v4, vcc, s14, v10
	v_addc_co_u32_e32 v5, vcc, v9, v11, vcc
	global_load_dword v9, v[4:5], off
	ds_read_b32 v10, v8
	s_mov_b64 s[50:51], 0
	s_waitcnt vmcnt(1) lgkmcnt(0)
	v_mul_f32_e32 v11, v10, v17
.LBB9_79:                               ;   Parent Loop BB9_70 Depth=1
                                        ; =>  This Inner Loop Header: Depth=2
	s_waitcnt vmcnt(0)
	v_add_f32_e32 v8, v9, v11
	global_atomic_cmpswap v8, v[4:5], v[8:9], off glc
	s_waitcnt vmcnt(0)
	v_cmp_eq_u32_e32 vcc, v8, v9
	s_or_b64 s[50:51], vcc, s[50:51]
	v_mov_b32_e32 v9, v8
	s_andn2_b64 exec, exec, s[50:51]
	s_cbranch_execnz .LBB9_79
; %bb.80:                               ;   in Loop: Header=BB9_70 Depth=1
	s_or_b64 exec, exec, s[50:51]
                                        ; implicit-def: $vgpr8
                                        ; implicit-def: $vgpr4_vgpr5
.LBB9_81:                               ;   in Loop: Header=BB9_70 Depth=1
	s_andn2_saveexec_b64 s[2:3], s[2:3]
	s_cbranch_execz .LBB9_68
; %bb.82:                               ;   in Loop: Header=BB9_70 Depth=1
	v_mov_b32_e32 v9, s23
	v_add_co_u32_e32 v4, vcc, s22, v4
	v_addc_co_u32_e32 v5, vcc, v9, v5, vcc
	global_load_dword v4, v[4:5], off
	s_waitcnt lgkmcnt(0)
	ds_read_b32 v10, v8
	v_subrev_u32_e32 v5, s4, v2
	v_lshl_add_u32 v5, v5, 2, v15
	s_waitcnt vmcnt(0) lgkmcnt(0)
	v_mul_f32_e32 v4, v10, v4
	ds_add_f32 v5, v4
	s_branch .LBB9_68
.LBB9_83:
	s_or_b64 exec, exec, s[38:39]
                                        ; implicit-def: $vgpr8_vgpr9
                                        ; implicit-def: $vgpr6
.LBB9_84:
	s_andn2_saveexec_b64 s[20:21], s[20:21]
	s_cbranch_execz .LBB9_134
; %bb.85:
	s_add_u32 s36, s26, -1
	s_addc_u32 s37, s27, -1
	s_add_u32 s0, s26, -2
	s_addc_u32 s1, s27, -1
	v_pk_mov_b32 v[4:5], s[24:25], s[24:25] op_sel:[0,1]
	s_cmp_eq_u64 s[0:1], s[24:25]
	v_cmp_le_i64_e32 vcc, s[36:37], v[4:5]
	s_cselect_b64 s[0:1], -1, 0
	s_or_b64 s[2:3], vcc, s[0:1]
	s_and_b64 vcc, exec, s[2:3]
	v_pk_mov_b32 v[10:11], s[36:37], s[36:37] op_sel:[0,1]
	s_cbranch_vccnz .LBB9_89
; %bb.86:
	s_mov_b64 s[38:39], 0
	v_pk_mov_b32 v[4:5], s[24:25], s[24:25] op_sel:[0,1]
	v_pk_mov_b32 v[10:11], s[36:37], s[36:37] op_sel:[0,1]
	v_mov_b32_e32 v2, s17
	v_mov_b32_e32 v3, s31
.LBB9_87:                               ; =>This Inner Loop Header: Depth=1
	v_add_co_u32_e32 v12, vcc, v10, v4
	v_addc_co_u32_e32 v13, vcc, v11, v5, vcc
	v_lshrrev_b32_e32 v14, 31, v13
	v_add_co_u32_e32 v12, vcc, v12, v14
	v_addc_co_u32_e32 v13, vcc, 0, v13, vcc
	v_ashrrev_i64 v[12:13], 1, v[12:13]
	v_lshlrev_b64 v[14:15], 3, v[12:13]
	v_add_co_u32_e32 v14, vcc, s16, v14
	v_addc_co_u32_e32 v15, vcc, v2, v15, vcc
	global_load_dwordx2 v[14:15], v[14:15], off
	s_waitcnt vmcnt(0)
	v_subrev_co_u32_e32 v14, vcc, s30, v14
	v_subb_co_u32_e32 v15, vcc, v15, v3, vcc
	v_cmp_gt_i64_e32 vcc, v[14:15], v[6:7]
	v_cndmask_b32_e32 v10, v10, v12, vcc
	v_cndmask_b32_e32 v11, v11, v13, vcc
	;; [unrolled: 1-line block ×3, first 2 shown]
	v_add_co_u32_e64 v12, s[0:1], -1, v10
	v_cndmask_b32_e32 v5, v13, v5, vcc
	v_addc_co_u32_e64 v13, s[0:1], -1, v11, s[0:1]
	v_cmp_ge_i64_e32 vcc, v[4:5], v[10:11]
	v_cmp_eq_u64_e64 s[0:1], v[4:5], v[12:13]
	s_or_b64 s[0:1], vcc, s[0:1]
	s_and_b64 s[0:1], exec, s[0:1]
	s_or_b64 s[38:39], s[0:1], s[38:39]
	s_andn2_b64 exec, exec, s[38:39]
	s_cbranch_execnz .LBB9_87
; %bb.88:
	s_or_b64 exec, exec, s[38:39]
.LBB9_89:
	v_lshlrev_b64 v[2:3], 3, v[10:11]
	v_mov_b32_e32 v12, s17
	v_add_co_u32_e32 v2, vcc, s16, v2
	v_addc_co_u32_e32 v3, vcc, v12, v3, vcc
	global_load_dwordx2 v[12:13], v[2:3], off
	v_lshlrev_b64 v[2:3], 3, v[6:7]
	v_mov_b32_e32 v14, s19
	v_add_co_u32_e32 v2, vcc, s18, v2
	v_addc_co_u32_e32 v3, vcc, v14, v3, vcc
	global_load_dwordx2 v[14:15], v[2:3], off
	v_mov_b32_e32 v16, s31
	s_xor_b64 s[2:3], s[2:3], -1
	s_lshl_b64 s[0:1], s[26:27], 3
	s_add_u32 s18, s16, s0
	s_addc_u32 s19, s17, s1
	s_waitcnt vmcnt(1)
	v_subrev_co_u32_e32 v12, vcc, s30, v12
	v_subb_co_u32_e32 v13, vcc, v13, v16, vcc
	v_cmp_gt_i64_e32 vcc, v[12:13], v[6:7]
	v_cndmask_b32_e32 v11, v11, v5, vcc
	v_cndmask_b32_e32 v10, v10, v4, vcc
	s_waitcnt vmcnt(0)
	v_subrev_co_u32_e32 v4, vcc, s30, v14
	v_subb_co_u32_e32 v5, vcc, v15, v16, vcc
	v_cmp_ne_u64_e32 vcc, v[4:5], v[10:11]
	s_and_saveexec_b64 s[38:39], vcc
	s_cbranch_execz .LBB9_97
; %bb.90:
	s_load_dwordx2 s[0:1], s[18:19], 0x0
	s_waitcnt lgkmcnt(0)
	s_sub_u32 s0, s0, s30
	s_subb_u32 s1, s1, 0
	v_cmp_gt_i64_e32 vcc, s[0:1], v[6:7]
	s_and_b64 exec, exec, vcc
	s_cbranch_execz .LBB9_97
; %bb.91:
	v_cmp_gt_i64_e32 vcc, s[4:5], v[4:5]
	v_cmp_le_i64_e64 s[0:1], s[26:27], v[4:5]
	s_or_b64 s[0:1], vcc, s[0:1]
	v_lshlrev_b64 v[10:11], 2, v[10:11]
	s_and_saveexec_b64 s[40:41], s[0:1]
	s_xor_b64 s[0:1], exec, s[40:41]
	s_cbranch_execz .LBB9_95
; %bb.92:
	v_mov_b32_e32 v15, s23
	v_add_co_u32_e32 v10, vcc, s22, v10
	v_lshlrev_b64 v[12:13], 2, v[4:5]
	v_addc_co_u32_e32 v11, vcc, v15, v11, vcc
	v_mov_b32_e32 v14, s15
	global_load_dword v15, v[10:11], off
	v_add_co_u32_e32 v10, vcc, s14, v12
	v_addc_co_u32_e32 v11, vcc, v14, v13, vcc
	global_load_dword v13, v[10:11], off
	ds_read_b32 v12, v18
	s_mov_b64 s[40:41], 0
	s_waitcnt vmcnt(1) lgkmcnt(0)
	v_mul_f32_e32 v14, v12, v15
.LBB9_93:                               ; =>This Inner Loop Header: Depth=1
	s_waitcnt vmcnt(0)
	v_add_f32_e32 v12, v13, v14
	global_atomic_cmpswap v12, v[10:11], v[12:13], off glc
	s_waitcnt vmcnt(0)
	v_cmp_eq_u32_e32 vcc, v12, v13
	s_or_b64 s[40:41], vcc, s[40:41]
	v_mov_b32_e32 v13, v12
	s_andn2_b64 exec, exec, s[40:41]
	s_cbranch_execnz .LBB9_93
; %bb.94:
	s_or_b64 exec, exec, s[40:41]
                                        ; implicit-def: $vgpr10_vgpr11
.LBB9_95:
	s_andn2_saveexec_b64 s[0:1], s[0:1]
	s_cbranch_execz .LBB9_97
; %bb.96:
	v_mov_b32_e32 v12, s23
	v_add_co_u32_e32 v10, vcc, s22, v10
	v_addc_co_u32_e32 v11, vcc, v12, v11, vcc
	global_load_dword v10, v[10:11], off
	ds_read_b32 v11, v18
	v_subrev_u32_e32 v12, s4, v4
	v_mov_b32_e32 v13, 0x1000
	v_lshl_add_u32 v12, v12, 2, v13
	s_waitcnt vmcnt(0) lgkmcnt(0)
	v_mul_f32_e32 v10, v11, v10
	ds_add_f32 v12, v10
.LBB9_97:
	s_or_b64 exec, exec, s[38:39]
	v_lshlrev_b64 v[4:5], 2, v[4:5]
	v_mov_b32_e32 v10, s23
	v_add_co_u32_e32 v4, vcc, s22, v4
	v_addc_co_u32_e32 v5, vcc, v10, v5, vcc
	global_load_dword v12, v[4:5], off
	ds_read_b32 v13, v18
	v_add_co_u32_e32 v4, vcc, 0x100, v6
	v_cndmask_b32_e64 v14, 0, 1, s[2:3]
	v_addc_co_u32_e32 v5, vcc, 0, v7, vcc
	v_pk_mov_b32 v[10:11], s[24:25], s[24:25] op_sel:[0,1]
	v_cmp_ne_u32_e64 s[0:1], 1, v14
	s_andn2_b64 vcc, exec, s[2:3]
	s_waitcnt vmcnt(0) lgkmcnt(0)
	v_mul_f32_e32 v12, v12, v13
	ds_write_b32 v18, v12
	v_pk_mov_b32 v[12:13], s[36:37], s[36:37] op_sel:[0,1]
	s_cbranch_vccnz .LBB9_101
; %bb.98:
	s_mov_b64 s[38:39], 0
	v_pk_mov_b32 v[10:11], s[24:25], s[24:25] op_sel:[0,1]
	v_pk_mov_b32 v[12:13], s[36:37], s[36:37] op_sel:[0,1]
	v_mov_b32_e32 v14, s17
	v_mov_b32_e32 v15, s31
.LBB9_99:                               ; =>This Inner Loop Header: Depth=1
	v_add_co_u32_e32 v16, vcc, v12, v10
	v_addc_co_u32_e32 v17, vcc, v13, v11, vcc
	v_lshrrev_b32_e32 v19, 31, v17
	v_add_co_u32_e32 v16, vcc, v16, v19
	v_addc_co_u32_e32 v17, vcc, 0, v17, vcc
	v_ashrrev_i64 v[16:17], 1, v[16:17]
	v_lshlrev_b64 v[20:21], 3, v[16:17]
	v_add_co_u32_e32 v20, vcc, s16, v20
	v_addc_co_u32_e32 v21, vcc, v14, v21, vcc
	global_load_dwordx2 v[20:21], v[20:21], off
	s_waitcnt vmcnt(0)
	v_subrev_co_u32_e32 v20, vcc, s30, v20
	v_subb_co_u32_e32 v21, vcc, v21, v15, vcc
	v_cmp_gt_i64_e32 vcc, v[20:21], v[4:5]
	v_cndmask_b32_e32 v12, v12, v16, vcc
	v_cndmask_b32_e32 v13, v13, v17, vcc
	;; [unrolled: 1-line block ×3, first 2 shown]
	v_add_co_u32_e64 v16, s[2:3], -1, v12
	v_cndmask_b32_e32 v11, v17, v11, vcc
	v_addc_co_u32_e64 v17, s[2:3], -1, v13, s[2:3]
	v_cmp_ge_i64_e32 vcc, v[10:11], v[12:13]
	v_cmp_eq_u64_e64 s[2:3], v[10:11], v[16:17]
	s_or_b64 s[2:3], vcc, s[2:3]
	s_and_b64 s[2:3], exec, s[2:3]
	s_or_b64 s[38:39], s[2:3], s[38:39]
	s_andn2_b64 exec, exec, s[38:39]
	s_cbranch_execnz .LBB9_99
; %bb.100:
	s_or_b64 exec, exec, s[38:39]
.LBB9_101:
	v_lshlrev_b64 v[14:15], 3, v[12:13]
	v_mov_b32_e32 v16, s17
	v_add_co_u32_e32 v14, vcc, s16, v14
	v_addc_co_u32_e32 v15, vcc, v16, v15, vcc
	global_load_dwordx2 v[16:17], v[14:15], off
	global_load_dwordx2 v[20:21], v[2:3], off offset:2048
	v_mov_b32_e32 v19, s31
	s_waitcnt vmcnt(1)
	v_subrev_co_u32_e32 v14, vcc, s30, v16
	v_subb_co_u32_e32 v15, vcc, v17, v19, vcc
	v_cmp_gt_i64_e32 vcc, v[14:15], v[4:5]
	v_cndmask_b32_e32 v13, v13, v11, vcc
	v_cndmask_b32_e32 v12, v12, v10, vcc
	s_waitcnt vmcnt(0)
	v_subrev_co_u32_e32 v10, vcc, s30, v20
	v_subb_co_u32_e32 v11, vcc, v21, v19, vcc
	v_cmp_ne_u64_e32 vcc, v[10:11], v[12:13]
	s_and_saveexec_b64 s[38:39], vcc
	s_cbranch_execz .LBB9_109
; %bb.102:
	s_load_dwordx2 s[2:3], s[18:19], 0x0
	s_waitcnt lgkmcnt(0)
	s_sub_u32 s2, s2, s30
	s_subb_u32 s3, s3, 0
	v_cmp_gt_i64_e32 vcc, s[2:3], v[4:5]
	s_and_b64 exec, exec, vcc
	s_cbranch_execz .LBB9_109
; %bb.103:
	v_cmp_gt_i64_e32 vcc, s[4:5], v[10:11]
	v_cmp_le_i64_e64 s[2:3], s[26:27], v[10:11]
	s_or_b64 s[2:3], vcc, s[2:3]
	v_lshlrev_b64 v[4:5], 2, v[12:13]
	s_and_saveexec_b64 s[40:41], s[2:3]
	s_xor_b64 s[2:3], exec, s[40:41]
	s_cbranch_execz .LBB9_107
; %bb.104:
	v_mov_b32_e32 v15, s23
	v_add_co_u32_e32 v4, vcc, s22, v4
	v_lshlrev_b64 v[12:13], 2, v[10:11]
	v_addc_co_u32_e32 v5, vcc, v15, v5, vcc
	v_mov_b32_e32 v14, s15
	global_load_dword v15, v[4:5], off
	v_add_co_u32_e32 v4, vcc, s14, v12
	v_addc_co_u32_e32 v5, vcc, v14, v13, vcc
	global_load_dword v13, v[4:5], off
	ds_read_b32 v12, v18 offset:1024
	s_mov_b64 s[40:41], 0
	s_waitcnt vmcnt(1) lgkmcnt(0)
	v_mul_f32_e32 v14, v12, v15
.LBB9_105:                              ; =>This Inner Loop Header: Depth=1
	s_waitcnt vmcnt(0)
	v_add_f32_e32 v12, v13, v14
	global_atomic_cmpswap v12, v[4:5], v[12:13], off glc
	s_waitcnt vmcnt(0)
	v_cmp_eq_u32_e32 vcc, v12, v13
	s_or_b64 s[40:41], vcc, s[40:41]
	v_mov_b32_e32 v13, v12
	s_andn2_b64 exec, exec, s[40:41]
	s_cbranch_execnz .LBB9_105
; %bb.106:
	s_or_b64 exec, exec, s[40:41]
                                        ; implicit-def: $vgpr4_vgpr5
.LBB9_107:
	s_andn2_saveexec_b64 s[2:3], s[2:3]
	s_cbranch_execz .LBB9_109
; %bb.108:
	v_mov_b32_e32 v12, s23
	v_add_co_u32_e32 v4, vcc, s22, v4
	v_addc_co_u32_e32 v5, vcc, v12, v5, vcc
	global_load_dword v4, v[4:5], off
	ds_read_b32 v5, v18 offset:1024
	v_subrev_u32_e32 v12, s4, v10
	v_mov_b32_e32 v13, 0x1000
	v_lshl_add_u32 v12, v12, 2, v13
	s_waitcnt vmcnt(0) lgkmcnt(0)
	v_mul_f32_e32 v4, v5, v4
	ds_add_f32 v12, v4
.LBB9_109:
	s_or_b64 exec, exec, s[38:39]
	v_lshlrev_b64 v[4:5], 2, v[10:11]
	v_mov_b32_e32 v10, s23
	v_add_co_u32_e32 v4, vcc, s22, v4
	v_addc_co_u32_e32 v5, vcc, v10, v5, vcc
	global_load_dword v12, v[4:5], off
	ds_read_b32 v13, v18 offset:1024
	v_add_co_u32_e32 v4, vcc, 0x200, v6
	v_addc_co_u32_e32 v5, vcc, 0, v7, vcc
	v_pk_mov_b32 v[10:11], s[24:25], s[24:25] op_sel:[0,1]
	s_and_b64 vcc, exec, s[0:1]
	s_waitcnt vmcnt(0) lgkmcnt(0)
	v_mul_f32_e32 v6, v12, v13
	ds_write_b32 v18, v6 offset:1024
	v_pk_mov_b32 v[6:7], s[36:37], s[36:37] op_sel:[0,1]
	s_cbranch_vccnz .LBB9_113
; %bb.110:
	s_mov_b64 s[38:39], 0
	v_pk_mov_b32 v[10:11], s[24:25], s[24:25] op_sel:[0,1]
	v_pk_mov_b32 v[6:7], s[36:37], s[36:37] op_sel:[0,1]
	v_mov_b32_e32 v12, s17
	v_mov_b32_e32 v13, s31
.LBB9_111:                              ; =>This Inner Loop Header: Depth=1
	v_add_co_u32_e32 v14, vcc, v6, v10
	v_addc_co_u32_e32 v15, vcc, v7, v11, vcc
	v_lshrrev_b32_e32 v16, 31, v15
	v_add_co_u32_e32 v14, vcc, v14, v16
	v_addc_co_u32_e32 v15, vcc, 0, v15, vcc
	v_ashrrev_i64 v[14:15], 1, v[14:15]
	v_lshlrev_b64 v[16:17], 3, v[14:15]
	v_add_co_u32_e32 v16, vcc, s16, v16
	v_addc_co_u32_e32 v17, vcc, v12, v17, vcc
	global_load_dwordx2 v[16:17], v[16:17], off
	s_waitcnt vmcnt(0)
	v_subrev_co_u32_e32 v16, vcc, s30, v16
	v_subb_co_u32_e32 v17, vcc, v17, v13, vcc
	v_cmp_gt_i64_e32 vcc, v[16:17], v[4:5]
	v_cndmask_b32_e32 v6, v6, v14, vcc
	v_cndmask_b32_e32 v7, v7, v15, vcc
	;; [unrolled: 1-line block ×3, first 2 shown]
	v_add_co_u32_e64 v14, s[2:3], -1, v6
	v_cndmask_b32_e32 v11, v15, v11, vcc
	v_addc_co_u32_e64 v15, s[2:3], -1, v7, s[2:3]
	v_cmp_ge_i64_e32 vcc, v[10:11], v[6:7]
	v_cmp_eq_u64_e64 s[2:3], v[10:11], v[14:15]
	s_or_b64 s[2:3], vcc, s[2:3]
	s_and_b64 s[2:3], exec, s[2:3]
	s_or_b64 s[38:39], s[2:3], s[38:39]
	s_andn2_b64 exec, exec, s[38:39]
	s_cbranch_execnz .LBB9_111
; %bb.112:
	s_or_b64 exec, exec, s[38:39]
.LBB9_113:
	v_lshlrev_b64 v[12:13], 3, v[6:7]
	v_mov_b32_e32 v14, s17
	v_add_co_u32_e32 v12, vcc, s16, v12
	v_addc_co_u32_e32 v13, vcc, v14, v13, vcc
	global_load_dwordx2 v[12:13], v[12:13], off
	v_add_co_u32_e32 v14, vcc, 0x1000, v2
	v_addc_co_u32_e32 v15, vcc, 0, v3, vcc
	global_load_dwordx2 v[14:15], v[14:15], off
	v_mov_b32_e32 v16, s31
	s_waitcnt vmcnt(1)
	v_subrev_co_u32_e32 v12, vcc, s30, v12
	v_subb_co_u32_e32 v13, vcc, v13, v16, vcc
	v_cmp_gt_i64_e32 vcc, v[12:13], v[4:5]
	v_cndmask_b32_e32 v11, v7, v11, vcc
	v_cndmask_b32_e32 v10, v6, v10, vcc
	s_waitcnt vmcnt(0)
	v_subrev_co_u32_e32 v6, vcc, s30, v14
	v_subb_co_u32_e32 v7, vcc, v15, v16, vcc
	v_cmp_ne_u64_e32 vcc, v[6:7], v[10:11]
	s_and_saveexec_b64 s[38:39], vcc
	s_cbranch_execz .LBB9_121
; %bb.114:
	s_load_dwordx2 s[2:3], s[18:19], 0x0
	s_waitcnt lgkmcnt(0)
	s_sub_u32 s2, s2, s30
	s_subb_u32 s3, s3, 0
	v_cmp_gt_i64_e32 vcc, s[2:3], v[4:5]
	s_and_b64 exec, exec, vcc
	s_cbranch_execz .LBB9_121
; %bb.115:
	v_cmp_gt_i64_e32 vcc, s[4:5], v[6:7]
	v_cmp_le_i64_e64 s[2:3], s[26:27], v[6:7]
	s_or_b64 s[2:3], vcc, s[2:3]
	v_lshlrev_b64 v[4:5], 2, v[10:11]
	s_and_saveexec_b64 s[40:41], s[2:3]
	s_xor_b64 s[2:3], exec, s[40:41]
	s_cbranch_execz .LBB9_119
; %bb.116:
	v_mov_b32_e32 v13, s23
	v_add_co_u32_e32 v4, vcc, s22, v4
	v_lshlrev_b64 v[10:11], 2, v[6:7]
	v_addc_co_u32_e32 v5, vcc, v13, v5, vcc
	v_mov_b32_e32 v12, s15
	global_load_dword v13, v[4:5], off
	v_add_co_u32_e32 v4, vcc, s14, v10
	v_addc_co_u32_e32 v5, vcc, v12, v11, vcc
	global_load_dword v11, v[4:5], off
	ds_read_b32 v10, v18 offset:2048
	s_mov_b64 s[40:41], 0
	s_waitcnt vmcnt(1) lgkmcnt(0)
	v_mul_f32_e32 v12, v10, v13
.LBB9_117:                              ; =>This Inner Loop Header: Depth=1
	s_waitcnt vmcnt(0)
	v_add_f32_e32 v10, v11, v12
	global_atomic_cmpswap v10, v[4:5], v[10:11], off glc
	s_waitcnt vmcnt(0)
	v_cmp_eq_u32_e32 vcc, v10, v11
	s_or_b64 s[40:41], vcc, s[40:41]
	v_mov_b32_e32 v11, v10
	s_andn2_b64 exec, exec, s[40:41]
	s_cbranch_execnz .LBB9_117
; %bb.118:
	s_or_b64 exec, exec, s[40:41]
                                        ; implicit-def: $vgpr4_vgpr5
.LBB9_119:
	s_andn2_saveexec_b64 s[2:3], s[2:3]
	s_cbranch_execz .LBB9_121
; %bb.120:
	v_mov_b32_e32 v10, s23
	v_add_co_u32_e32 v4, vcc, s22, v4
	v_addc_co_u32_e32 v5, vcc, v10, v5, vcc
	global_load_dword v4, v[4:5], off
	ds_read_b32 v5, v18 offset:2048
	v_subrev_u32_e32 v10, s4, v6
	v_mov_b32_e32 v11, 0x1000
	v_lshl_add_u32 v10, v10, 2, v11
	s_waitcnt vmcnt(0) lgkmcnt(0)
	v_mul_f32_e32 v4, v5, v4
	ds_add_f32 v10, v4
.LBB9_121:
	s_or_b64 exec, exec, s[38:39]
	v_lshlrev_b64 v[4:5], 2, v[6:7]
	v_mov_b32_e32 v6, s23
	v_add_co_u32_e32 v4, vcc, s22, v4
	v_addc_co_u32_e32 v5, vcc, v6, v5, vcc
	global_load_dword v6, v[4:5], off
	ds_read_b32 v7, v18 offset:2048
	s_and_b64 vcc, exec, s[0:1]
	v_pk_mov_b32 v[4:5], s[24:25], s[24:25] op_sel:[0,1]
	s_waitcnt vmcnt(0) lgkmcnt(0)
	v_mul_f32_e32 v6, v6, v7
	ds_write_b32 v18, v6 offset:2048
	v_pk_mov_b32 v[6:7], s[36:37], s[36:37] op_sel:[0,1]
	s_cbranch_vccnz .LBB9_125
; %bb.122:
	s_mov_b64 s[2:3], 0
	v_pk_mov_b32 v[4:5], s[24:25], s[24:25] op_sel:[0,1]
	v_pk_mov_b32 v[6:7], s[36:37], s[36:37] op_sel:[0,1]
	v_mov_b32_e32 v10, s17
	v_mov_b32_e32 v11, s31
.LBB9_123:                              ; =>This Inner Loop Header: Depth=1
	v_add_co_u32_e32 v12, vcc, v6, v4
	v_addc_co_u32_e32 v13, vcc, v7, v5, vcc
	v_lshrrev_b32_e32 v14, 31, v13
	v_add_co_u32_e32 v12, vcc, v12, v14
	v_addc_co_u32_e32 v13, vcc, 0, v13, vcc
	v_ashrrev_i64 v[12:13], 1, v[12:13]
	v_lshlrev_b64 v[14:15], 3, v[12:13]
	v_add_co_u32_e32 v14, vcc, s16, v14
	v_addc_co_u32_e32 v15, vcc, v10, v15, vcc
	global_load_dwordx2 v[14:15], v[14:15], off
	s_waitcnt vmcnt(0)
	v_subrev_co_u32_e32 v14, vcc, s30, v14
	v_subb_co_u32_e32 v15, vcc, v15, v11, vcc
	v_cmp_gt_i64_e32 vcc, v[14:15], v[8:9]
	v_cndmask_b32_e32 v6, v6, v12, vcc
	v_cndmask_b32_e32 v7, v7, v13, vcc
	;; [unrolled: 1-line block ×3, first 2 shown]
	v_add_co_u32_e64 v12, s[0:1], -1, v6
	v_cndmask_b32_e32 v5, v13, v5, vcc
	v_addc_co_u32_e64 v13, s[0:1], -1, v7, s[0:1]
	v_cmp_ge_i64_e32 vcc, v[4:5], v[6:7]
	v_cmp_eq_u64_e64 s[0:1], v[4:5], v[12:13]
	s_or_b64 s[0:1], vcc, s[0:1]
	s_and_b64 s[0:1], exec, s[0:1]
	s_or_b64 s[2:3], s[0:1], s[2:3]
	s_andn2_b64 exec, exec, s[2:3]
	s_cbranch_execnz .LBB9_123
; %bb.124:
	s_or_b64 exec, exec, s[2:3]
.LBB9_125:
	v_lshlrev_b64 v[10:11], 3, v[6:7]
	v_mov_b32_e32 v12, s17
	v_add_co_u32_e32 v10, vcc, s16, v10
	v_addc_co_u32_e32 v11, vcc, v12, v11, vcc
	global_load_dwordx2 v[10:11], v[10:11], off
	v_add_co_u32_e32 v2, vcc, 0x1000, v2
	v_addc_co_u32_e32 v3, vcc, 0, v3, vcc
	global_load_dwordx2 v[2:3], v[2:3], off offset:2048
	v_mov_b32_e32 v12, s31
	s_waitcnt vmcnt(1)
	v_subrev_co_u32_e32 v10, vcc, s30, v10
	v_subb_co_u32_e32 v11, vcc, v11, v12, vcc
	v_cmp_gt_i64_e32 vcc, v[10:11], v[8:9]
	v_cndmask_b32_e32 v5, v7, v5, vcc
	v_cndmask_b32_e32 v4, v6, v4, vcc
	s_waitcnt vmcnt(0)
	v_subrev_co_u32_e32 v2, vcc, s30, v2
	v_subb_co_u32_e32 v3, vcc, v3, v12, vcc
	v_cmp_ne_u64_e32 vcc, v[2:3], v[4:5]
	s_and_saveexec_b64 s[2:3], vcc
	s_cbranch_execz .LBB9_133
; %bb.126:
	s_load_dwordx2 s[0:1], s[18:19], 0x0
	s_waitcnt lgkmcnt(0)
	s_sub_u32 s0, s0, s30
	s_subb_u32 s1, s1, 0
	v_cmp_gt_i64_e32 vcc, s[0:1], v[8:9]
	s_and_b64 exec, exec, vcc
	s_cbranch_execz .LBB9_133
; %bb.127:
	v_cmp_gt_i64_e32 vcc, s[4:5], v[2:3]
	v_cmp_le_i64_e64 s[0:1], s[26:27], v[2:3]
	s_or_b64 s[0:1], vcc, s[0:1]
	v_lshlrev_b64 v[4:5], 2, v[4:5]
	s_and_saveexec_b64 s[18:19], s[0:1]
	s_xor_b64 s[0:1], exec, s[18:19]
	s_cbranch_execz .LBB9_131
; %bb.128:
	v_mov_b32_e32 v9, s23
	v_add_co_u32_e32 v4, vcc, s22, v4
	v_lshlrev_b64 v[6:7], 2, v[2:3]
	v_addc_co_u32_e32 v5, vcc, v9, v5, vcc
	v_mov_b32_e32 v8, s15
	global_load_dword v9, v[4:5], off
	v_add_co_u32_e32 v4, vcc, s14, v6
	v_addc_co_u32_e32 v5, vcc, v8, v7, vcc
	global_load_dword v7, v[4:5], off
	ds_read_b32 v6, v18 offset:3072
	s_mov_b64 s[18:19], 0
	s_waitcnt vmcnt(1) lgkmcnt(0)
	v_mul_f32_e32 v8, v6, v9
.LBB9_129:                              ; =>This Inner Loop Header: Depth=1
	s_waitcnt vmcnt(0)
	v_add_f32_e32 v6, v7, v8
	global_atomic_cmpswap v6, v[4:5], v[6:7], off glc
	s_waitcnt vmcnt(0)
	v_cmp_eq_u32_e32 vcc, v6, v7
	s_or_b64 s[18:19], vcc, s[18:19]
	v_mov_b32_e32 v7, v6
	s_andn2_b64 exec, exec, s[18:19]
	s_cbranch_execnz .LBB9_129
; %bb.130:
	s_or_b64 exec, exec, s[18:19]
                                        ; implicit-def: $vgpr4_vgpr5
.LBB9_131:
	s_andn2_saveexec_b64 s[0:1], s[0:1]
	s_cbranch_execz .LBB9_133
; %bb.132:
	v_mov_b32_e32 v6, s23
	v_add_co_u32_e32 v4, vcc, s22, v4
	v_addc_co_u32_e32 v5, vcc, v6, v5, vcc
	global_load_dword v4, v[4:5], off
	ds_read_b32 v5, v18 offset:3072
	v_subrev_u32_e32 v6, s4, v2
	v_mov_b32_e32 v7, 0x1000
	v_lshl_add_u32 v6, v6, 2, v7
	s_waitcnt vmcnt(0) lgkmcnt(0)
	v_mul_f32_e32 v4, v5, v4
	ds_add_f32 v6, v4
.LBB9_133:
	s_or_b64 exec, exec, s[2:3]
	v_lshlrev_b64 v[2:3], 2, v[2:3]
	v_mov_b32_e32 v4, s23
	v_add_co_u32_e32 v2, vcc, s22, v2
	v_addc_co_u32_e32 v3, vcc, v4, v3, vcc
	global_load_dword v2, v[2:3], off
	ds_read_b32 v3, v18 offset:3072
	s_waitcnt vmcnt(0) lgkmcnt(0)
	v_mul_f32_e32 v2, v2, v3
	ds_write_b32 v18, v2 offset:3072
.LBB9_134:
	s_or_b64 exec, exec, s[20:21]
	v_pk_mov_b32 v[2:3], s[6:7], s[6:7] op_sel:[0,1]
	v_cmp_lt_i64_e32 vcc, s[26:27], v[2:3]
	s_and_b64 s[0:1], vcc, exec
	s_cselect_b32 s18, s26, s6
	s_cselect_b32 s0, s27, s7
	s_sub_u32 s2, s18, s28
	s_subb_u32 s3, s0, s29
	v_cmp_gt_i64_e32 vcc, s[2:3], v[0:1]
	s_waitcnt lgkmcnt(0)
	s_barrier
	s_and_saveexec_b64 s[0:1], vcc
	s_cbranch_execz .LBB9_139
; %bb.135:
	s_lshl_b64 s[4:5], s[4:5], 2
	s_add_u32 s19, s14, s4
	s_addc_u32 s6, s15, s5
	s_mov_b64 s[4:5], 0
	v_mov_b32_e32 v8, s6
	v_mov_b32_e32 v9, 0x1000
	v_pk_mov_b32 v[2:3], v[0:1], v[0:1] op_sel:[0,1]
.LBB9_136:                              ; =>This Loop Header: Depth=1
                                        ;     Child Loop BB9_137 Depth 2
	v_lshlrev_b64 v[4:5], 2, v[2:3]
	v_add_co_u32_e32 v4, vcc, s19, v4
	v_addc_co_u32_e32 v5, vcc, v8, v5, vcc
	global_load_dword v7, v[4:5], off
	v_lshl_add_u32 v6, v2, 2, v9
	ds_read_b32 v10, v6
	s_mov_b64 s[6:7], 0
.LBB9_137:                              ;   Parent Loop BB9_136 Depth=1
                                        ; =>  This Inner Loop Header: Depth=2
	s_waitcnt vmcnt(0) lgkmcnt(0)
	v_add_f32_e32 v6, v7, v10
	global_atomic_cmpswap v6, v[4:5], v[6:7], off glc
	s_waitcnt vmcnt(0)
	v_cmp_eq_u32_e32 vcc, v6, v7
	s_or_b64 s[6:7], vcc, s[6:7]
	v_mov_b32_e32 v7, v6
	s_andn2_b64 exec, exec, s[6:7]
	s_cbranch_execnz .LBB9_137
; %bb.138:                              ;   in Loop: Header=BB9_136 Depth=1
	s_or_b64 exec, exec, s[6:7]
	v_add_co_u32_e32 v2, vcc, 0x100, v2
	v_addc_co_u32_e32 v3, vcc, 0, v3, vcc
	v_cmp_le_i64_e32 vcc, s[2:3], v[2:3]
	s_or_b64 s[4:5], vcc, s[4:5]
	s_andn2_b64 exec, exec, s[4:5]
	s_cbranch_execnz .LBB9_136
.LBB9_139:
	s_or_b64 exec, exec, s[0:1]
	s_add_i32 s0, s34, -1
	s_ashr_i32 s1, s0, 1
	s_or_b32 s0, s1, s0
	s_ashr_i32 s1, s0, 2
	s_or_b32 s0, s1, s0
	;; [unrolled: 2-line block ×5, first 2 shown]
	s_add_i32 s3, s3, 1
	s_ashr_i32 s20, s3, 1
	v_mov_b32_e32 v2, s25
	v_add_co_u32_e32 v6, vcc, s24, v0
	v_addc_co_u32_e32 v7, vcc, 0, v2, vcc
	s_cmp_gt_i32 s20, 1
	s_mov_b64 s[0:1], -1
	s_barrier
	s_cbranch_scc1 .LBB9_150
; %bb.140:
	v_cmp_gt_i64_e32 vcc, s[26:27], v[6:7]
	s_and_saveexec_b64 s[0:1], vcc
	s_cbranch_execz .LBB9_149
; %bb.141:
	s_sub_i32 s4, s18, s26
	s_lshl_b32 s4, s4, 2
	s_add_i32 s21, s4, 0x1000
	s_lshl_b32 s4, s8, 2
	s_sub_i32 s22, 0, s4
	s_mov_b64 s[4:5], 0
	v_mov_b32_e32 v12, s17
	v_mov_b32_e32 v13, s15
	;; [unrolled: 1-line block ×3, first 2 shown]
	v_pk_mov_b32 v[8:9], v[6:7], v[6:7] op_sel:[0,1]
.LBB9_142:                              ; =>This Loop Header: Depth=1
                                        ;     Child Loop BB9_144 Depth 2
                                        ;     Child Loop BB9_147 Depth 2
	v_lshlrev_b64 v[2:3], 3, v[8:9]
	v_add_co_u32_e32 v2, vcc, s16, v2
	v_addc_co_u32_e32 v3, vcc, v12, v3, vcc
	global_load_dwordx4 v[2:5], v[2:3], off
	v_mov_b32_e32 v15, 0
	s_waitcnt vmcnt(0)
	v_cmp_lt_i64_e32 vcc, v[2:3], v[4:5]
	s_and_saveexec_b64 s[6:7], vcc
	s_cbranch_execz .LBB9_146
; %bb.143:                              ;   in Loop: Header=BB9_142 Depth=1
	v_mov_b32_e32 v11, s9
	v_subrev_co_u32_e32 v4, vcc, s8, v4
	v_subb_co_u32_e32 v5, vcc, v5, v11, vcc
	v_subrev_co_u32_e32 v10, vcc, s8, v2
	v_subb_co_u32_e32 v11, vcc, v3, v11, vcc
	v_lshl_add_u32 v2, v2, 2, s22
	s_mov_b64 s[18:19], 0
	v_mov_b32_e32 v15, 0
.LBB9_144:                              ;   Parent Loop BB9_142 Depth=1
                                        ; =>  This Inner Loop Header: Depth=2
	ds_read_b32 v3, v2
	v_add_co_u32_e32 v10, vcc, 1, v10
	v_addc_co_u32_e32 v11, vcc, 0, v11, vcc
	v_cmp_ge_i64_e32 vcc, v[10:11], v[4:5]
	v_add_u32_e32 v2, 4, v2
	s_or_b64 s[18:19], vcc, s[18:19]
	s_waitcnt lgkmcnt(0)
	v_add_f32_e32 v15, v15, v3
	s_andn2_b64 exec, exec, s[18:19]
	s_cbranch_execnz .LBB9_144
; %bb.145:                              ;   in Loop: Header=BB9_142 Depth=1
	s_or_b64 exec, exec, s[18:19]
.LBB9_146:                              ;   in Loop: Header=BB9_142 Depth=1
	s_or_b64 exec, exec, s[6:7]
	v_lshlrev_b64 v[2:3], 2, v[8:9]
	v_add_co_u32_e32 v2, vcc, s14, v2
	v_addc_co_u32_e32 v3, vcc, v13, v3, vcc
	global_load_dword v5, v[2:3], off
	v_lshl_add_u32 v4, v8, 2, s21
	ds_read_b32 v4, v4
	s_mov_b64 s[6:7], 0
	s_waitcnt lgkmcnt(0)
	v_add_f32_e32 v10, v15, v4
.LBB9_147:                              ;   Parent Loop BB9_142 Depth=1
                                        ; =>  This Inner Loop Header: Depth=2
	s_waitcnt vmcnt(0)
	v_add_f32_e32 v4, v5, v10
	global_atomic_cmpswap v4, v[2:3], v[4:5], off glc
	s_waitcnt vmcnt(0)
	v_cmp_eq_u32_e32 vcc, v4, v5
	s_or_b64 s[6:7], vcc, s[6:7]
	v_mov_b32_e32 v5, v4
	s_andn2_b64 exec, exec, s[6:7]
	s_cbranch_execnz .LBB9_147
; %bb.148:                              ;   in Loop: Header=BB9_142 Depth=1
	s_or_b64 exec, exec, s[6:7]
	v_add_co_u32_e32 v8, vcc, s12, v8
	v_addc_co_u32_e32 v9, vcc, v9, v14, vcc
	v_cmp_le_i64_e32 vcc, s[26:27], v[8:9]
	s_or_b64 s[4:5], vcc, s[4:5]
	s_andn2_b64 exec, exec, s[4:5]
	s_cbranch_execnz .LBB9_142
.LBB9_149:
	s_or_b64 exec, exec, s[0:1]
	s_mov_b64 s[0:1], 0
.LBB9_150:
	s_andn2_b64 vcc, exec, s[0:1]
	s_cbranch_vccnz .LBB9_179
; %bb.151:
	v_cvt_f32_u32_e32 v14, s20
	s_sub_i32 s6, 0, s20
	v_mov_b32_e32 v11, 0
	v_mov_b32_e32 v4, s11
	v_rcp_iflag_f32_e32 v2, v14
	v_mov_b32_e32 v12, s9
	v_mul_f32_e32 v2, 0x4f7ffffe, v2
	v_cvt_u32_f32_e32 v2, v2
	v_mul_lo_u32 v3, s6, v2
	v_mul_hi_u32 v3, v2, v3
	v_add_u32_e32 v2, v2, v3
	v_mul_hi_u32 v2, v0, v2
	v_mul_lo_u32 v3, v2, s20
	v_sub_u32_e32 v3, v0, v3
	v_add_u32_e32 v5, 1, v2
	v_cmp_le_u32_e32 vcc, s20, v3
	v_cndmask_b32_e32 v2, v2, v5, vcc
	v_subrev_u32_e32 v5, s20, v3
	v_cndmask_b32_e32 v3, v3, v5, vcc
	v_add_u32_e32 v5, 1, v2
	v_cmp_le_u32_e32 vcc, s20, v3
	v_cndmask_b32_e32 v10, v2, v5, vcc
	v_lshlrev_b64 v[2:3], 3, v[10:11]
	v_add_co_u32_e32 v2, vcc, s10, v2
	v_addc_co_u32_e32 v3, vcc, v4, v3, vcc
	global_load_dwordx4 v[2:5], v[2:3], off
	s_waitcnt vmcnt(0)
	v_subrev_co_u32_e32 v8, vcc, s8, v2
	v_subb_co_u32_e32 v9, vcc, v3, v12, vcc
	v_subrev_co_u32_e32 v16, vcc, s8, v4
	v_subb_co_u32_e32 v17, vcc, v5, v12, vcc
	v_sub_co_u32_e32 v3, vcc, v16, v8
	v_subb_co_u32_e32 v13, vcc, v17, v9, vcc
	v_mov_b32_e32 v12, v11
	v_cmp_ne_u64_e32 vcc, 0, v[12:13]
                                        ; implicit-def: $vgpr4_vgpr5
	s_and_saveexec_b64 s[0:1], vcc
	s_xor_b64 s[4:5], exec, s[0:1]
	s_cbranch_execz .LBB9_153
; %bb.152:
	v_cvt_f32_ubyte0_e32 v4, 0
	v_madmk_f32 v4, v4, 0x4f800000, v14
	v_rcp_f32_e32 v4, v4
	s_sub_u32 s0, 0, s20
	s_subb_u32 s1, 0, 0
	v_mul_f32_e32 v4, 0x5f7ffffc, v4
	v_mul_f32_e32 v5, 0x2f800000, v4
	v_trunc_f32_e32 v5, v5
	v_madmk_f32 v4, v5, 0xcf800000, v4
	v_cvt_u32_f32_e32 v5, v5
	v_cvt_u32_f32_e32 v4, v4
	v_mul_lo_u32 v12, s0, v5
	v_mul_hi_u32 v15, s0, v4
	v_mul_lo_u32 v14, s1, v4
	v_add_u32_e32 v12, v15, v12
	v_add_u32_e32 v12, v12, v14
	v_mul_lo_u32 v19, s0, v4
	v_mul_lo_u32 v15, v4, v12
	v_mul_hi_u32 v20, v4, v19
	v_mul_hi_u32 v14, v4, v12
	v_add_co_u32_e32 v15, vcc, v20, v15
	v_addc_co_u32_e32 v14, vcc, 0, v14, vcc
	v_mul_hi_u32 v21, v5, v19
	v_mul_lo_u32 v19, v5, v19
	v_add_co_u32_e32 v15, vcc, v15, v19
	v_mul_hi_u32 v20, v5, v12
	v_addc_co_u32_e32 v14, vcc, v14, v21, vcc
	v_addc_co_u32_e32 v15, vcc, 0, v20, vcc
	v_mul_lo_u32 v12, v5, v12
	v_add_co_u32_e32 v12, vcc, v14, v12
	v_addc_co_u32_e32 v14, vcc, 0, v15, vcc
	v_add_co_u32_e32 v4, vcc, v4, v12
	v_addc_co_u32_e32 v5, vcc, v5, v14, vcc
	v_mul_lo_u32 v12, s0, v5
	v_mul_hi_u32 v14, s0, v4
	v_add_u32_e32 v12, v14, v12
	v_mul_lo_u32 v14, s1, v4
	v_add_u32_e32 v12, v12, v14
	v_mul_lo_u32 v15, s0, v4
	v_mul_hi_u32 v19, v5, v15
	v_mul_lo_u32 v20, v5, v15
	v_mul_lo_u32 v22, v4, v12
	v_mul_hi_u32 v15, v4, v15
	v_mul_hi_u32 v21, v4, v12
	v_add_co_u32_e32 v15, vcc, v15, v22
	v_addc_co_u32_e32 v21, vcc, 0, v21, vcc
	v_add_co_u32_e32 v15, vcc, v15, v20
	v_mul_hi_u32 v14, v5, v12
	v_addc_co_u32_e32 v15, vcc, v21, v19, vcc
	v_addc_co_u32_e32 v14, vcc, 0, v14, vcc
	v_mul_lo_u32 v12, v5, v12
	v_add_co_u32_e32 v12, vcc, v15, v12
	v_addc_co_u32_e32 v14, vcc, 0, v14, vcc
	v_add_co_u32_e32 v12, vcc, v4, v12
	v_addc_co_u32_e32 v14, vcc, v5, v14, vcc
	v_ashrrev_i32_e32 v15, 31, v13
	v_add_co_u32_e32 v3, vcc, v3, v15
	v_addc_co_u32_e32 v4, vcc, v13, v15, vcc
	v_xor_b32_e32 v3, v3, v15
	v_xor_b32_e32 v19, v4, v15
	v_mad_u64_u32 v[4:5], s[0:1], v3, v14, 0
	v_mul_hi_u32 v13, v3, v12
	v_add_co_u32_e32 v20, vcc, v13, v4
	v_addc_co_u32_e32 v21, vcc, 0, v5, vcc
	v_mad_u64_u32 v[12:13], s[0:1], v19, v12, 0
	v_add_co_u32_e32 v12, vcc, v20, v12
	v_mad_u64_u32 v[4:5], s[0:1], v19, v14, 0
	v_addc_co_u32_e32 v12, vcc, v21, v13, vcc
	v_addc_co_u32_e32 v5, vcc, 0, v5, vcc
	v_add_co_u32_e32 v14, vcc, v12, v4
	v_addc_co_u32_e32 v20, vcc, 0, v5, vcc
	v_mad_u64_u32 v[4:5], s[0:1], s20, v14, 0
	v_mov_b32_e32 v12, v5
	v_mad_u64_u32 v[12:13], s[0:1], s20, v20, v[12:13]
	v_sub_co_u32_e32 v3, vcc, v3, v4
	v_subb_co_u32_e32 v4, vcc, v19, v12, vcc
	v_subrev_co_u32_e32 v5, vcc, s20, v3
	v_subbrev_co_u32_e32 v12, vcc, 0, v4, vcc
	v_cmp_le_u32_e32 vcc, s20, v5
	v_cndmask_b32_e64 v5, 0, -1, vcc
	v_cmp_eq_u32_e32 vcc, 0, v12
	v_cndmask_b32_e32 v5, -1, v5, vcc
	v_add_co_u32_e32 v12, vcc, 2, v14
	v_addc_co_u32_e32 v13, vcc, 0, v20, vcc
	v_add_co_u32_e32 v19, vcc, 1, v14
	v_cmp_le_u32_e64 s[0:1], s20, v3
	v_addc_co_u32_e32 v21, vcc, 0, v20, vcc
	v_cndmask_b32_e64 v3, 0, -1, s[0:1]
	v_cmp_eq_u32_e64 s[0:1], 0, v4
	v_cmp_ne_u32_e32 vcc, 0, v5
	v_cndmask_b32_e64 v3, -1, v3, s[0:1]
	v_cmp_ne_u32_e64 s[0:1], 0, v3
	v_cndmask_b32_e32 v4, v19, v12, vcc
	v_cndmask_b32_e32 v5, v21, v13, vcc
	v_cndmask_b32_e64 v4, v14, v4, s[0:1]
	v_cndmask_b32_e64 v3, v20, v5, s[0:1]
	v_xor_b32_e32 v4, v4, v15
	v_xor_b32_e32 v3, v3, v15
	v_sub_co_u32_e32 v4, vcc, v4, v15
	v_subb_co_u32_e32 v5, vcc, v3, v15, vcc
                                        ; implicit-def: $vgpr3
.LBB9_153:
	s_andn2_saveexec_b64 s[0:1], s[4:5]
	s_cbranch_execz .LBB9_155
; %bb.154:
	v_cvt_f32_u32_e32 v4, s20
	v_rcp_iflag_f32_e32 v4, v4
	v_mul_f32_e32 v4, 0x4f7ffffe, v4
	v_cvt_u32_f32_e32 v4, v4
	v_mul_lo_u32 v5, s6, v4
	v_mul_hi_u32 v5, v4, v5
	v_add_u32_e32 v4, v4, v5
	v_mul_hi_u32 v4, v3, v4
	v_mul_lo_u32 v5, v4, s20
	v_sub_u32_e32 v3, v3, v5
	v_add_u32_e32 v12, 1, v4
	v_subrev_u32_e32 v5, s20, v3
	v_cmp_le_u32_e32 vcc, s20, v3
	v_cndmask_b32_e32 v3, v3, v5, vcc
	v_cndmask_b32_e32 v4, v4, v12, vcc
	v_add_u32_e32 v5, 1, v4
	v_cmp_le_u32_e32 vcc, s20, v3
	v_cndmask_b32_e32 v4, v4, v5, vcc
	v_mov_b32_e32 v5, 0
.LBB9_155:
	s_or_b64 exec, exec, s[0:1]
	v_cmp_gt_i64_e32 vcc, s[28:29], v[10:11]
	v_mov_b32_e32 v19, 0
	s_and_saveexec_b64 s[0:1], vcc
	s_cbranch_execz .LBB9_169
; %bb.156:
	s_add_i32 s4, s20, -1
	v_and_b32_e32 v10, s4, v0
	v_cmp_lt_i64_e32 vcc, 0, v[4:5]
	v_mov_b32_e32 v19, 0
	s_and_saveexec_b64 s[4:5], vcc
	s_cbranch_execz .LBB9_166
; %bb.157:
	v_cmp_lt_u64_e32 vcc, 3, v[4:5]
	v_pk_mov_b32 v[12:13], 0, 0
	v_mov_b32_e32 v19, 0
	s_and_saveexec_b64 s[6:7], vcc
	s_cbranch_execz .LBB9_161
; %bb.158:
	s_lshl_b32 s10, s8, 2
	s_lshl_b32 s11, s20, 3
	;; [unrolled: 1-line block ×3, first 2 shown]
	v_lshlrev_b32_e32 v3, 2, v2
	s_sub_i32 s17, s11, s10
	s_mul_i32 s11, s20, 12
	v_and_b32_e32 v13, 0x7fffffff, v5
	v_and_b32_e32 v12, -4, v4
	s_sub_i32 s9, s9, s10
	v_lshl_add_u32 v3, v10, 2, v3
	s_lshl_b32 s16, s20, 4
	s_sub_i32 s18, s11, s10
	s_sub_i32 s19, 0, s10
	s_mov_b64 s[10:11], 0
	v_mov_b32_e32 v19, 0
	s_mov_b64 s[12:13], 0
.LBB9_159:                              ; =>This Inner Loop Header: Depth=1
	v_add_u32_e32 v11, s19, v3
	v_add_u32_e32 v14, s9, v3
	;; [unrolled: 1-line block ×4, first 2 shown]
	ds_read_b32 v11, v11
	ds_read_b32 v14, v14
	;; [unrolled: 1-line block ×4, first 2 shown]
	s_add_u32 s12, s12, 4
	s_waitcnt lgkmcnt(3)
	v_add_f32_e32 v11, v19, v11
	s_addc_u32 s13, s13, 0
	s_waitcnt lgkmcnt(2)
	v_add_f32_e32 v11, v11, v14
	v_cmp_eq_u64_e32 vcc, s[12:13], v[12:13]
	s_waitcnt lgkmcnt(1)
	v_add_f32_e32 v11, v11, v15
	v_add_u32_e32 v3, s16, v3
	s_or_b64 s[10:11], vcc, s[10:11]
	s_waitcnt lgkmcnt(0)
	v_add_f32_e32 v19, v11, v20
	s_andn2_b64 exec, exec, s[10:11]
	s_cbranch_execnz .LBB9_159
; %bb.160:
	s_or_b64 exec, exec, s[10:11]
.LBB9_161:
	s_or_b64 exec, exec, s[6:7]
	v_and_b32_e32 v14, 3, v4
	v_mov_b32_e32 v15, 0
	s_mov_b64 s[10:11], 0
	v_cmp_ne_u64_e32 vcc, 0, v[14:15]
	s_and_saveexec_b64 s[6:7], vcc
	s_cbranch_execz .LBB9_165
; %bb.162:
	v_mul_lo_u32 v3, s20, v12
	v_add3_u32 v2, v10, v3, v2
	v_subrev_u32_e32 v2, s8, v2
	v_lshlrev_b32_e32 v2, 2, v2
	s_lshl_b32 s8, s20, 2
.LBB9_163:                              ; =>This Inner Loop Header: Depth=1
	ds_read_b32 v3, v2
	v_add_co_u32_e32 v14, vcc, -1, v14
	v_addc_co_u32_e32 v15, vcc, -1, v15, vcc
	v_cmp_eq_u64_e32 vcc, 0, v[14:15]
	v_add_u32_e32 v2, s8, v2
	s_or_b64 s[10:11], vcc, s[10:11]
	s_waitcnt lgkmcnt(0)
	v_add_f32_e32 v19, v19, v3
	s_andn2_b64 exec, exec, s[10:11]
	s_cbranch_execnz .LBB9_163
; %bb.164:
	s_or_b64 exec, exec, s[10:11]
.LBB9_165:
	s_or_b64 exec, exec, s[6:7]
.LBB9_166:
	s_or_b64 exec, exec, s[4:5]
	v_mad_u64_u32 v[2:3], s[4:5], v4, s20, v[8:9]
	v_mov_b32_e32 v4, v3
	v_mad_u64_u32 v[4:5], s[4:5], v5, s20, v[4:5]
	v_mov_b32_e32 v3, v4
	v_sub_co_u32_e32 v4, vcc, v16, v2
	v_mov_b32_e32 v11, 0
	v_subb_co_u32_e32 v5, vcc, v17, v3, vcc
	v_cmp_gt_i64_e32 vcc, v[4:5], v[10:11]
	s_and_saveexec_b64 s[4:5], vcc
	s_cbranch_execz .LBB9_168
; %bb.167:
	v_add_lshl_u32 v2, v10, v2, 2
	ds_read_b32 v2, v2
	s_waitcnt lgkmcnt(0)
	v_add_f32_e32 v19, v19, v2
.LBB9_168:
	s_or_b64 exec, exec, s[4:5]
.LBB9_169:
	s_or_b64 exec, exec, s[0:1]
	v_cmp_gt_i64_e32 vcc, s[28:29], v[0:1]
	s_barrier
	ds_write_b32 v18, v19
	s_waitcnt lgkmcnt(0)
	s_barrier
	s_and_saveexec_b64 s[0:1], vcc
	s_cbranch_execz .LBB9_179
; %bb.170:
	s_cmp_lt_u32 s20, 8
	v_mul_lo_u32 v1, s20, v0
	s_cbranch_scc1 .LBB9_173
; %bb.171:
	s_and_b32 s0, s20, 0x7ffffff8
	v_lshlrev_b32_e32 v2, 2, v1
	s_mov_b32 s1, 0
	v_mov_b32_e32 v4, 0
.LBB9_172:                              ; =>This Inner Loop Header: Depth=1
	ds_read2_b32 v[8:9], v2 offset1:1
	ds_read2_b32 v[10:11], v2 offset0:2 offset1:3
	ds_read2_b32 v[12:13], v2 offset0:4 offset1:5
	;; [unrolled: 1-line block ×3, first 2 shown]
	s_add_i32 s1, s1, 8
	s_waitcnt lgkmcnt(3)
	v_add_f32_e32 v3, v4, v8
	v_add_f32_e32 v3, v3, v9
	s_waitcnt lgkmcnt(2)
	v_add_f32_e32 v3, v3, v10
	v_add_f32_e32 v3, v3, v11
	;; [unrolled: 3-line block ×3, first 2 shown]
	s_waitcnt lgkmcnt(0)
	v_add_f32_e32 v3, v3, v14
	v_add_u32_e32 v2, 32, v2
	s_cmp_eq_u32 s0, s1
	v_add_f32_e32 v4, v3, v15
	s_cbranch_scc0 .LBB9_172
	s_branch .LBB9_174
.LBB9_173:
	s_mov_b32 s0, 0
	v_mov_b32_e32 v4, 0
.LBB9_174:
	s_bfe_u32 s1, s3, 0x30001
	s_cmp_eq_u32 s1, 0
	s_cbranch_scc1 .LBB9_177
; %bb.175:
	v_add_lshl_u32 v1, s0, v1, 2
.LBB9_176:                              ; =>This Inner Loop Header: Depth=1
	ds_read_b32 v2, v1
	s_add_i32 s1, s1, -1
	v_add_u32_e32 v1, 4, v1
	s_cmp_lg_u32 s1, 0
	s_waitcnt lgkmcnt(0)
	v_add_f32_e32 v4, v4, v2
	s_cbranch_scc1 .LBB9_176
.LBB9_177:
	v_lshlrev_b64 v[2:3], 2, v[6:7]
	v_mov_b32_e32 v1, s15
	v_add_co_u32_e32 v2, vcc, s14, v2
	v_addc_co_u32_e32 v3, vcc, v1, v3, vcc
	global_load_dword v1, v[2:3], off
	s_lshl_b32 s0, s2, 2
	s_addk_i32 s0, 0x1000
	v_lshl_add_u32 v0, v0, 2, s0
	ds_read_b32 v0, v0
	s_mov_b64 s[0:1], 0
	s_waitcnt lgkmcnt(0)
	v_add_f32_e32 v4, v4, v0
.LBB9_178:                              ; =>This Inner Loop Header: Depth=1
	s_waitcnt vmcnt(0)
	v_add_f32_e32 v0, v1, v4
	global_atomic_cmpswap v0, v[2:3], v[0:1], off glc
	s_waitcnt vmcnt(0)
	v_cmp_eq_u32_e32 vcc, v0, v1
	s_or_b64 s[0:1], vcc, s[0:1]
	v_mov_b32_e32 v1, v0
	s_andn2_b64 exec, exec, s[0:1]
	s_cbranch_execnz .LBB9_178
.LBB9_179:
	s_endpgm
	.section	.rodata,"a",@progbits
	.p2align	6, 0x0
	.amdhsa_kernel _ZN9rocsparseL27csrmvn_symm_adaptive_kernelIllffffEEvbT_S1_PKS1_NS_24const_host_device_scalarIT4_EES3_PKT0_PKT1_PKT2_S6_PT3_21rocsparse_index_base_b
		.amdhsa_group_segment_fixed_size 4096
		.amdhsa_private_segment_fixed_size 0
		.amdhsa_kernarg_size 352
		.amdhsa_user_sgpr_count 6
		.amdhsa_user_sgpr_private_segment_buffer 1
		.amdhsa_user_sgpr_dispatch_ptr 0
		.amdhsa_user_sgpr_queue_ptr 0
		.amdhsa_user_sgpr_kernarg_segment_ptr 1
		.amdhsa_user_sgpr_dispatch_id 0
		.amdhsa_user_sgpr_flat_scratch_init 0
		.amdhsa_user_sgpr_kernarg_preload_length 0
		.amdhsa_user_sgpr_kernarg_preload_offset 0
		.amdhsa_user_sgpr_private_segment_size 0
		.amdhsa_uses_dynamic_stack 0
		.amdhsa_system_sgpr_private_segment_wavefront_offset 0
		.amdhsa_system_sgpr_workgroup_id_x 1
		.amdhsa_system_sgpr_workgroup_id_y 0
		.amdhsa_system_sgpr_workgroup_id_z 0
		.amdhsa_system_sgpr_workgroup_info 0
		.amdhsa_system_vgpr_workitem_id 0
		.amdhsa_next_free_vgpr 24
		.amdhsa_next_free_sgpr 52
		.amdhsa_accum_offset 24
		.amdhsa_reserve_vcc 1
		.amdhsa_reserve_flat_scratch 0
		.amdhsa_float_round_mode_32 0
		.amdhsa_float_round_mode_16_64 0
		.amdhsa_float_denorm_mode_32 3
		.amdhsa_float_denorm_mode_16_64 3
		.amdhsa_dx10_clamp 1
		.amdhsa_ieee_mode 1
		.amdhsa_fp16_overflow 0
		.amdhsa_tg_split 0
		.amdhsa_exception_fp_ieee_invalid_op 0
		.amdhsa_exception_fp_denorm_src 0
		.amdhsa_exception_fp_ieee_div_zero 0
		.amdhsa_exception_fp_ieee_overflow 0
		.amdhsa_exception_fp_ieee_underflow 0
		.amdhsa_exception_fp_ieee_inexact 0
		.amdhsa_exception_int_div_zero 0
	.end_amdhsa_kernel
	.section	.text._ZN9rocsparseL27csrmvn_symm_adaptive_kernelIllffffEEvbT_S1_PKS1_NS_24const_host_device_scalarIT4_EES3_PKT0_PKT1_PKT2_S6_PT3_21rocsparse_index_base_b,"axG",@progbits,_ZN9rocsparseL27csrmvn_symm_adaptive_kernelIllffffEEvbT_S1_PKS1_NS_24const_host_device_scalarIT4_EES3_PKT0_PKT1_PKT2_S6_PT3_21rocsparse_index_base_b,comdat
.Lfunc_end9:
	.size	_ZN9rocsparseL27csrmvn_symm_adaptive_kernelIllffffEEvbT_S1_PKS1_NS_24const_host_device_scalarIT4_EES3_PKT0_PKT1_PKT2_S6_PT3_21rocsparse_index_base_b, .Lfunc_end9-_ZN9rocsparseL27csrmvn_symm_adaptive_kernelIllffffEEvbT_S1_PKS1_NS_24const_host_device_scalarIT4_EES3_PKT0_PKT1_PKT2_S6_PT3_21rocsparse_index_base_b
                                        ; -- End function
	.section	.AMDGPU.csdata,"",@progbits
; Kernel info:
; codeLenInByte = 8596
; NumSgprs: 56
; NumVgprs: 24
; NumAgprs: 0
; TotalNumVgprs: 24
; ScratchSize: 0
; MemoryBound: 0
; FloatMode: 240
; IeeeMode: 1
; LDSByteSize: 4096 bytes/workgroup (compile time only)
; SGPRBlocks: 6
; VGPRBlocks: 2
; NumSGPRsForWavesPerEU: 56
; NumVGPRsForWavesPerEU: 24
; AccumOffset: 24
; Occupancy: 8
; WaveLimiterHint : 1
; COMPUTE_PGM_RSRC2:SCRATCH_EN: 0
; COMPUTE_PGM_RSRC2:USER_SGPR: 6
; COMPUTE_PGM_RSRC2:TRAP_HANDLER: 0
; COMPUTE_PGM_RSRC2:TGID_X_EN: 1
; COMPUTE_PGM_RSRC2:TGID_Y_EN: 0
; COMPUTE_PGM_RSRC2:TGID_Z_EN: 0
; COMPUTE_PGM_RSRC2:TIDIG_COMP_CNT: 0
; COMPUTE_PGM_RSRC3_GFX90A:ACCUM_OFFSET: 5
; COMPUTE_PGM_RSRC3_GFX90A:TG_SPLIT: 0
	.section	.text._ZL33csrmvn_symm_large_adaptive_kernelIllffffEvbT_PKS0_N9rocsparse24const_host_device_scalarIT4_EES2_PKT0_PKT1_PKT2_S6_PT3_21rocsparse_index_base_b,"axG",@progbits,_ZL33csrmvn_symm_large_adaptive_kernelIllffffEvbT_PKS0_N9rocsparse24const_host_device_scalarIT4_EES2_PKT0_PKT1_PKT2_S6_PT3_21rocsparse_index_base_b,comdat
	.globl	_ZL33csrmvn_symm_large_adaptive_kernelIllffffEvbT_PKS0_N9rocsparse24const_host_device_scalarIT4_EES2_PKT0_PKT1_PKT2_S6_PT3_21rocsparse_index_base_b ; -- Begin function _ZL33csrmvn_symm_large_adaptive_kernelIllffffEvbT_PKS0_N9rocsparse24const_host_device_scalarIT4_EES2_PKT0_PKT1_PKT2_S6_PT3_21rocsparse_index_base_b
	.p2align	8
	.type	_ZL33csrmvn_symm_large_adaptive_kernelIllffffEvbT_PKS0_N9rocsparse24const_host_device_scalarIT4_EES2_PKT0_PKT1_PKT2_S6_PT3_21rocsparse_index_base_b,@function
_ZL33csrmvn_symm_large_adaptive_kernelIllffffEvbT_PKS0_N9rocsparse24const_host_device_scalarIT4_EES2_PKT0_PKT1_PKT2_S6_PT3_21rocsparse_index_base_b: ; @_ZL33csrmvn_symm_large_adaptive_kernelIllffffEvbT_PKS0_N9rocsparse24const_host_device_scalarIT4_EES2_PKT0_PKT1_PKT2_S6_PT3_21rocsparse_index_base_b
; %bb.0:
	s_load_dwordx2 s[24:25], s[4:5], 0x50
	s_load_dwordx2 s[26:27], s[4:5], 0x18
	;; [unrolled: 1-line block ×3, first 2 shown]
	s_waitcnt lgkmcnt(0)
	s_bitcmp1_b32 s25, 0
	s_cselect_b64 s[8:9], -1, 0
	s_xor_b64 s[2:3], s[8:9], -1
	s_and_b64 vcc, exec, s[8:9]
	s_cbranch_vccnz .LBB10_2
; %bb.1:
	s_load_dword s26, s[26:27], 0x0
.LBB10_2:
	s_andn2_b64 vcc, exec, s[2:3]
	s_cbranch_vccnz .LBB10_4
; %bb.3:
	s_load_dword s0, s[0:1], 0x0
.LBB10_4:
	s_waitcnt lgkmcnt(0)
	v_cmp_neq_f32_e64 s[2:3], s26, 0
	v_cmp_neq_f32_e64 s[0:1], s0, 1.0
	s_or_b64 s[0:1], s[2:3], s[0:1]
	s_andn2_b64 vcc, exec, s[0:1]
	s_mov_b32 s25, 0
	s_cbranch_vccnz .LBB10_38
; %bb.5:
	s_load_dwordx2 s[0:1], s[4:5], 0x10
	s_ashr_i32 s7, s6, 31
	s_lshl_b64 s[2:3], s[6:7], 3
	v_lshlrev_b32_e32 v8, 2, v0
	v_mov_b32_e32 v1, 0
	s_waitcnt lgkmcnt(0)
	s_add_u32 s0, s0, s2
	s_addc_u32 s1, s1, s3
	ds_write2st64_b32 v8, v1, v1 offset1:4
	ds_write2st64_b32 v8, v1, v1 offset0:8 offset1:12
	s_waitcnt lgkmcnt(0)
	s_barrier
	s_load_dwordx4 s[20:23], s[0:1], 0x0
	s_load_dwordx8 s[12:19], s[4:5], 0x20
	s_load_dwordx2 s[28:29], s[4:5], 0x48
	v_subrev_co_u32_e64 v9, s[0:1], s24, v0
	s_waitcnt lgkmcnt(0)
	v_pk_mov_b32 v[2:3], s[22:23], s[22:23] op_sel:[0,1]
	v_cmp_lt_i64_e32 vcc, s[20:21], v[2:3]
	v_subb_co_u32_e64 v10, s[0:1], 0, 0, s[0:1]
	s_cbranch_vccnz .LBB10_7
; %bb.6:
	s_lshl_b64 s[0:1], s[20:21], 3
	s_add_u32 s0, s12, s0
	s_addc_u32 s1, s13, s1
	s_load_dwordx2 s[30:31], s[0:1], 0x0
	s_cbranch_execz .LBB10_8
	s_branch .LBB10_28
.LBB10_7:
                                        ; implicit-def: $sgpr30_sgpr31
.LBB10_8:
	s_lshl_b64 s[10:11], s[20:21], 3
	s_add_u32 s10, s12, s10
	s_addc_u32 s11, s13, s11
	s_waitcnt lgkmcnt(0)
	s_load_dwordx2 s[30:31], s[10:11], 0x0
	s_movk_i32 s27, 0x100
	s_add_u32 s33, s12, 8
	v_cmp_gt_u32_e64 s[0:1], s27, v0
	v_cmp_gt_u32_e64 s[2:3], 64, v0
	;; [unrolled: 1-line block ×4, first 2 shown]
	v_cmp_eq_u32_e64 s[8:9], 0, v0
	s_addc_u32 s44, s13, 0
	v_mov_b32_e32 v11, s25
	v_mov_b32_e32 v12, s19
	;; [unrolled: 1-line block ×3, first 2 shown]
	v_pk_mov_b32 v[0:1], s[22:23], s[22:23] op_sel:[0,1]
	s_waitcnt lgkmcnt(0)
	s_mov_b64 s[36:37], s[30:31]
	s_mov_b64 s[34:35], s[20:21]
	s_branch .LBB10_10
.LBB10_9:                               ;   in Loop: Header=BB10_10 Depth=1
	s_or_b64 exec, exec, s[10:11]
	s_add_u32 s34, s34, 1
	s_addc_u32 s35, s35, 0
	v_cmp_ge_i64_e32 vcc, s[34:35], v[0:1]
	s_cbranch_vccnz .LBB10_28
.LBB10_10:                              ; =>This Loop Header: Depth=1
                                        ;     Child Loop BB10_12 Depth 2
                                        ;     Child Loop BB10_27 Depth 2
	s_mov_b64 s[10:11], s[36:37]
	s_lshl_b64 s[36:37], s[34:35], 3
	s_add_u32 s36, s33, s36
	s_addc_u32 s37, s44, s37
	s_load_dwordx2 s[36:37], s[36:37], 0x0
	v_mov_b32_e32 v3, s11
	v_add_co_u32_e32 v2, vcc, s10, v9
	v_addc_co_u32_e32 v3, vcc, v3, v10, vcc
	s_waitcnt lgkmcnt(0)
	s_sub_u32 s38, s36, s24
	s_subb_u32 s39, s37, 0
	v_cmp_gt_i64_e32 vcc, s[38:39], v[2:3]
	v_mov_b32_e32 v14, 0
	s_and_saveexec_b64 s[40:41], vcc
	s_cbranch_execz .LBB10_14
; %bb.11:                               ;   in Loop: Header=BB10_10 Depth=1
	v_lshlrev_b64 v[4:5], 3, v[2:3]
	v_mov_b32_e32 v6, s15
	v_add_co_u32_e32 v4, vcc, s14, v4
	v_addc_co_u32_e32 v5, vcc, v6, v5, vcc
	v_lshlrev_b64 v[6:7], 2, v[2:3]
	v_mov_b32_e32 v14, s17
	v_add_co_u32_e32 v6, vcc, s16, v6
	v_addc_co_u32_e32 v7, vcc, v14, v7, vcc
	s_mov_b64 s[42:43], 0
	v_mov_b32_e32 v14, 0
.LBB10_12:                              ;   Parent Loop BB10_10 Depth=1
                                        ; =>  This Inner Loop Header: Depth=2
	global_load_dwordx2 v[16:17], v[4:5], off
	global_load_dword v15, v[6:7], off
	s_waitcnt vmcnt(1)
	v_subrev_co_u32_e32 v16, vcc, s24, v16
	v_subb_co_u32_e32 v17, vcc, v17, v11, vcc
	v_lshlrev_b64 v[16:17], 2, v[16:17]
	v_add_co_u32_e32 v16, vcc, s18, v16
	v_addc_co_u32_e32 v17, vcc, v12, v17, vcc
	global_load_dword v16, v[16:17], off
	v_add_co_u32_e32 v2, vcc, s27, v2
	v_addc_co_u32_e32 v3, vcc, 0, v3, vcc
	v_add_co_u32_e32 v4, vcc, 0x800, v4
	v_addc_co_u32_e32 v5, vcc, 0, v5, vcc
	v_add_co_u32_e32 v6, vcc, 0x400, v6
	v_cmp_le_i64_e64 s[10:11], s[38:39], v[2:3]
	v_addc_co_u32_e32 v7, vcc, 0, v7, vcc
	s_or_b64 s[42:43], s[10:11], s[42:43]
	s_waitcnt vmcnt(0)
	v_fmac_f32_e32 v14, v15, v16
	s_andn2_b64 exec, exec, s[42:43]
	s_cbranch_execnz .LBB10_12
; %bb.13:                               ;   in Loop: Header=BB10_10 Depth=1
	s_or_b64 exec, exec, s[42:43]
.LBB10_14:                              ;   in Loop: Header=BB10_10 Depth=1
	s_or_b64 exec, exec, s[40:41]
	ds_write_b32 v8, v14
	s_waitcnt lgkmcnt(0)
	s_barrier
	s_and_saveexec_b64 s[10:11], s[0:1]
	s_cbranch_execz .LBB10_16
; %bb.15:                               ;   in Loop: Header=BB10_10 Depth=1
	ds_read2st64_b32 v[2:3], v8 offset1:4
	ds_read2st64_b32 v[4:5], v8 offset0:8 offset1:12
	s_waitcnt lgkmcnt(0)
	v_add_f32_e32 v3, v3, v4
	v_add_f32_e32 v3, v3, v5
	;; [unrolled: 1-line block ×3, first 2 shown]
	ds_write_b32 v8, v2
.LBB10_16:                              ;   in Loop: Header=BB10_10 Depth=1
	s_or_b64 exec, exec, s[10:11]
	s_waitcnt lgkmcnt(0)
	s_barrier
	s_and_saveexec_b64 s[10:11], s[2:3]
	s_cbranch_execz .LBB10_18
; %bb.17:                               ;   in Loop: Header=BB10_10 Depth=1
	ds_read2st64_b32 v[2:3], v8 offset1:1
	ds_read2st64_b32 v[4:5], v8 offset0:2 offset1:3
	s_waitcnt lgkmcnt(0)
	v_add_f32_e32 v3, v3, v4
	v_add_f32_e32 v3, v3, v5
	;; [unrolled: 1-line block ×3, first 2 shown]
	ds_write_b32 v8, v2
.LBB10_18:                              ;   in Loop: Header=BB10_10 Depth=1
	s_or_b64 exec, exec, s[10:11]
	s_waitcnt lgkmcnt(0)
	s_barrier
	s_and_saveexec_b64 s[10:11], s[4:5]
	s_cbranch_execz .LBB10_20
; %bb.19:                               ;   in Loop: Header=BB10_10 Depth=1
	ds_read2_b32 v[2:3], v8 offset1:16
	ds_read2_b32 v[4:5], v8 offset0:32 offset1:48
	s_waitcnt lgkmcnt(0)
	v_add_f32_e32 v3, v3, v4
	v_add_f32_e32 v3, v3, v5
	;; [unrolled: 1-line block ×3, first 2 shown]
	ds_write_b32 v8, v2
.LBB10_20:                              ;   in Loop: Header=BB10_10 Depth=1
	s_or_b64 exec, exec, s[10:11]
	s_waitcnt lgkmcnt(0)
	s_barrier
	s_and_saveexec_b64 s[10:11], s[6:7]
	s_cbranch_execz .LBB10_22
; %bb.21:                               ;   in Loop: Header=BB10_10 Depth=1
	ds_read2_b32 v[2:3], v8 offset1:4
	ds_read2_b32 v[4:5], v8 offset0:8 offset1:12
	s_waitcnt lgkmcnt(0)
	v_add_f32_e32 v3, v3, v4
	v_add_f32_e32 v3, v3, v5
	;; [unrolled: 1-line block ×3, first 2 shown]
	ds_write_b32 v8, v2
.LBB10_22:                              ;   in Loop: Header=BB10_10 Depth=1
	s_or_b64 exec, exec, s[10:11]
	s_waitcnt lgkmcnt(0)
	s_barrier
	s_and_saveexec_b64 s[10:11], s[8:9]
	s_cbranch_execz .LBB10_24
; %bb.23:                               ;   in Loop: Header=BB10_10 Depth=1
	ds_read2_b32 v[2:3], v13 offset0:1 offset1:2
	ds_read_b32 v4, v13 offset:12
	ds_read_b32 v5, v8
	s_waitcnt lgkmcnt(2)
	v_add_f32_e32 v2, v2, v3
	s_waitcnt lgkmcnt(1)
	v_add_f32_e32 v2, v2, v4
	;; [unrolled: 2-line block ×3, first 2 shown]
	ds_write_b32 v8, v2
.LBB10_24:                              ;   in Loop: Header=BB10_10 Depth=1
	s_or_b64 exec, exec, s[10:11]
	s_waitcnt lgkmcnt(0)
	s_barrier
	s_and_saveexec_b64 s[10:11], s[8:9]
	s_cbranch_execz .LBB10_9
; %bb.25:                               ;   in Loop: Header=BB10_10 Depth=1
	s_mov_b64 s[40:41], exec
	v_mbcnt_lo_u32_b32 v2, s40, 0
	v_mbcnt_hi_u32_b32 v2, s41, v2
	v_cmp_eq_u32_e32 vcc, 0, v2
	s_and_b64 s[38:39], exec, vcc
	s_mov_b64 exec, s[38:39]
	s_cbranch_execz .LBB10_9
; %bb.26:                               ;   in Loop: Header=BB10_10 Depth=1
	s_lshl_b64 s[38:39], s[34:35], 2
	s_add_u32 s38, s28, s38
	s_addc_u32 s39, s29, s39
	global_load_dword v3, v13, s[38:39]
	ds_read_b32 v2, v13
	s_bcnt1_i32_b64 s40, s[40:41]
	v_cvt_f32_ubyte0_e32 v4, s40
	s_mov_b64 s[40:41], 0
	s_waitcnt lgkmcnt(0)
	v_mul_f32_e32 v2, s26, v2
	v_mul_f32_e32 v4, v2, v4
.LBB10_27:                              ;   Parent Loop BB10_10 Depth=1
                                        ; =>  This Inner Loop Header: Depth=2
	s_waitcnt vmcnt(0)
	v_add_f32_e32 v2, v3, v4
	global_atomic_cmpswap v2, v13, v[2:3], s[38:39] glc
	s_waitcnt vmcnt(0)
	v_cmp_eq_u32_e32 vcc, v2, v3
	s_or_b64 s[40:41], vcc, s[40:41]
	v_mov_b32_e32 v3, v2
	s_andn2_b64 exec, exec, s[40:41]
	s_cbranch_execnz .LBB10_27
	s_branch .LBB10_9
.LBB10_28:
	s_lshl_b64 s[0:1], s[22:23], 3
	s_add_u32 s0, s12, s0
	s_addc_u32 s1, s13, s1
	s_load_dwordx2 s[0:1], s[0:1], 0x0
	s_waitcnt lgkmcnt(0)
	v_mov_b32_e32 v1, s31
	v_add_co_u32_e32 v0, vcc, s30, v9
	v_addc_co_u32_e32 v1, vcc, v1, v10, vcc
	s_sub_u32 s4, s0, s24
	s_subb_u32 s5, s1, 0
	v_cmp_gt_i64_e32 vcc, s[4:5], v[0:1]
	s_and_saveexec_b64 s[0:1], vcc
	s_cbranch_execz .LBB10_38
; %bb.29:
	s_add_u32 s6, s22, -1
	s_addc_u32 s7, s23, -1
	s_add_u32 s0, s22, -2
	s_addc_u32 s1, s23, -1
	v_pk_mov_b32 v[2:3], s[20:21], s[20:21] op_sel:[0,1]
	s_cmp_lg_u64 s[0:1], s[20:21]
	v_cmp_gt_i64_e32 vcc, s[6:7], v[2:3]
	s_cselect_b64 s[0:1], -1, 0
	s_and_b64 s[0:1], vcc, s[0:1]
	v_cndmask_b32_e64 v2, 0, 1, s[0:1]
	s_mov_b64 s[8:9], 0
	v_cmp_ne_u32_e64 s[0:1], 1, v2
	v_mov_b32_e32 v6, s13
	v_mov_b32_e32 v7, s25
	;; [unrolled: 1-line block ×3, first 2 shown]
	s_branch .LBB10_31
.LBB10_30:                              ;   in Loop: Header=BB10_31 Depth=1
	s_or_b64 exec, exec, s[2:3]
	v_add_co_u32_e32 v0, vcc, 0x100, v0
	v_addc_co_u32_e32 v1, vcc, 0, v1, vcc
	v_cmp_le_i64_e32 vcc, s[4:5], v[0:1]
	s_or_b64 s[8:9], vcc, s[8:9]
	s_andn2_b64 exec, exec, s[8:9]
	s_cbranch_execz .LBB10_38
.LBB10_31:                              ; =>This Loop Header: Depth=1
                                        ;     Child Loop BB10_33 Depth 2
                                        ;     Child Loop BB10_37 Depth 2
	s_and_b64 vcc, exec, s[0:1]
	v_pk_mov_b32 v[2:3], s[20:21], s[20:21] op_sel:[0,1]
	v_pk_mov_b32 v[4:5], s[6:7], s[6:7] op_sel:[0,1]
	s_cbranch_vccnz .LBB10_35
; %bb.32:                               ;   in Loop: Header=BB10_31 Depth=1
	s_mov_b64 s[10:11], 0
	v_pk_mov_b32 v[2:3], s[20:21], s[20:21] op_sel:[0,1]
	v_pk_mov_b32 v[4:5], s[6:7], s[6:7] op_sel:[0,1]
.LBB10_33:                              ;   Parent Loop BB10_31 Depth=1
                                        ; =>  This Inner Loop Header: Depth=2
	v_add_co_u32_e32 v9, vcc, v4, v2
	v_addc_co_u32_e32 v11, vcc, v5, v3, vcc
	v_lshrrev_b32_e32 v10, 31, v11
	v_add_co_u32_e32 v10, vcc, v9, v10
	v_addc_co_u32_e32 v11, vcc, 0, v11, vcc
	v_ashrrev_i64 v[10:11], 1, v[10:11]
	v_lshlrev_b64 v[12:13], 3, v[10:11]
	v_mov_b32_e32 v14, s13
	v_add_co_u32_e32 v12, vcc, s12, v12
	v_addc_co_u32_e32 v13, vcc, v14, v13, vcc
	global_load_dwordx2 v[12:13], v[12:13], off
	v_mov_b32_e32 v9, s25
	s_waitcnt vmcnt(0)
	v_subrev_co_u32_e32 v12, vcc, s24, v12
	v_subb_co_u32_e32 v13, vcc, v13, v9, vcc
	v_cmp_gt_i64_e32 vcc, v[12:13], v[0:1]
	v_cndmask_b32_e32 v4, v4, v10, vcc
	v_cndmask_b32_e32 v5, v5, v11, vcc
	;; [unrolled: 1-line block ×3, first 2 shown]
	v_add_co_u32_e64 v10, s[2:3], -1, v4
	v_cndmask_b32_e32 v3, v11, v3, vcc
	v_addc_co_u32_e64 v11, s[2:3], -1, v5, s[2:3]
	v_cmp_ge_i64_e32 vcc, v[2:3], v[4:5]
	v_cmp_eq_u64_e64 s[2:3], v[2:3], v[10:11]
	s_or_b64 s[2:3], vcc, s[2:3]
	s_and_b64 s[2:3], exec, s[2:3]
	s_or_b64 s[10:11], s[2:3], s[10:11]
	s_andn2_b64 exec, exec, s[10:11]
	s_cbranch_execnz .LBB10_33
; %bb.34:                               ;   in Loop: Header=BB10_31 Depth=1
	s_or_b64 exec, exec, s[10:11]
.LBB10_35:                              ;   in Loop: Header=BB10_31 Depth=1
	v_lshlrev_b64 v[10:11], 3, v[4:5]
	v_add_co_u32_e32 v10, vcc, s12, v10
	v_addc_co_u32_e32 v11, vcc, v6, v11, vcc
	global_load_dwordx2 v[10:11], v[10:11], off
	v_lshlrev_b64 v[12:13], 3, v[0:1]
	v_add_co_u32_e32 v12, vcc, s14, v12
	v_addc_co_u32_e32 v13, vcc, v8, v13, vcc
	global_load_dwordx2 v[12:13], v[12:13], off
	s_waitcnt vmcnt(1)
	v_subrev_co_u32_e32 v10, vcc, s24, v10
	v_subb_co_u32_e32 v11, vcc, v11, v7, vcc
	v_cmp_gt_i64_e32 vcc, v[10:11], v[0:1]
	v_cndmask_b32_e32 v3, v5, v3, vcc
	v_cndmask_b32_e32 v2, v4, v2, vcc
	s_waitcnt vmcnt(0)
	v_subrev_co_u32_e32 v4, vcc, s24, v12
	v_subb_co_u32_e32 v5, vcc, v13, v7, vcc
	v_cmp_ne_u64_e32 vcc, v[4:5], v[2:3]
	s_and_saveexec_b64 s[2:3], vcc
	s_cbranch_execz .LBB10_30
; %bb.36:                               ;   in Loop: Header=BB10_31 Depth=1
	v_lshlrev_b64 v[10:11], 2, v[0:1]
	v_mov_b32_e32 v12, s17
	v_add_co_u32_e32 v10, vcc, s16, v10
	v_addc_co_u32_e32 v11, vcc, v12, v11, vcc
	v_lshlrev_b64 v[2:3], 2, v[2:3]
	global_load_dword v10, v[10:11], off
	v_mov_b32_e32 v11, s19
	v_add_co_u32_e32 v2, vcc, s18, v2
	v_lshlrev_b64 v[4:5], 2, v[4:5]
	v_addc_co_u32_e32 v3, vcc, v11, v3, vcc
	v_mov_b32_e32 v9, s29
	global_load_dword v11, v[2:3], off
	v_add_co_u32_e32 v2, vcc, s28, v4
	v_addc_co_u32_e32 v3, vcc, v9, v5, vcc
	global_load_dword v5, v[2:3], off
	s_mov_b64 s[10:11], 0
	s_waitcnt vmcnt(2)
	v_mul_f32_e32 v4, s26, v10
	s_waitcnt vmcnt(1)
	v_mul_f32_e32 v9, v4, v11
.LBB10_37:                              ;   Parent Loop BB10_31 Depth=1
                                        ; =>  This Inner Loop Header: Depth=2
	s_waitcnt vmcnt(0)
	v_add_f32_e32 v4, v5, v9
	global_atomic_cmpswap v4, v[2:3], v[4:5], off glc
	s_waitcnt vmcnt(0)
	v_cmp_eq_u32_e32 vcc, v4, v5
	s_or_b64 s[10:11], vcc, s[10:11]
	v_mov_b32_e32 v5, v4
	s_andn2_b64 exec, exec, s[10:11]
	s_cbranch_execnz .LBB10_37
	s_branch .LBB10_30
.LBB10_38:
	s_endpgm
	.section	.rodata,"a",@progbits
	.p2align	6, 0x0
	.amdhsa_kernel _ZL33csrmvn_symm_large_adaptive_kernelIllffffEvbT_PKS0_N9rocsparse24const_host_device_scalarIT4_EES2_PKT0_PKT1_PKT2_S6_PT3_21rocsparse_index_base_b
		.amdhsa_group_segment_fixed_size 4096
		.amdhsa_private_segment_fixed_size 0
		.amdhsa_kernarg_size 88
		.amdhsa_user_sgpr_count 6
		.amdhsa_user_sgpr_private_segment_buffer 1
		.amdhsa_user_sgpr_dispatch_ptr 0
		.amdhsa_user_sgpr_queue_ptr 0
		.amdhsa_user_sgpr_kernarg_segment_ptr 1
		.amdhsa_user_sgpr_dispatch_id 0
		.amdhsa_user_sgpr_flat_scratch_init 0
		.amdhsa_user_sgpr_kernarg_preload_length 0
		.amdhsa_user_sgpr_kernarg_preload_offset 0
		.amdhsa_user_sgpr_private_segment_size 0
		.amdhsa_uses_dynamic_stack 0
		.amdhsa_system_sgpr_private_segment_wavefront_offset 0
		.amdhsa_system_sgpr_workgroup_id_x 1
		.amdhsa_system_sgpr_workgroup_id_y 0
		.amdhsa_system_sgpr_workgroup_id_z 0
		.amdhsa_system_sgpr_workgroup_info 0
		.amdhsa_system_vgpr_workitem_id 0
		.amdhsa_next_free_vgpr 18
		.amdhsa_next_free_sgpr 45
		.amdhsa_accum_offset 20
		.amdhsa_reserve_vcc 1
		.amdhsa_reserve_flat_scratch 0
		.amdhsa_float_round_mode_32 0
		.amdhsa_float_round_mode_16_64 0
		.amdhsa_float_denorm_mode_32 3
		.amdhsa_float_denorm_mode_16_64 3
		.amdhsa_dx10_clamp 1
		.amdhsa_ieee_mode 1
		.amdhsa_fp16_overflow 0
		.amdhsa_tg_split 0
		.amdhsa_exception_fp_ieee_invalid_op 0
		.amdhsa_exception_fp_denorm_src 0
		.amdhsa_exception_fp_ieee_div_zero 0
		.amdhsa_exception_fp_ieee_overflow 0
		.amdhsa_exception_fp_ieee_underflow 0
		.amdhsa_exception_fp_ieee_inexact 0
		.amdhsa_exception_int_div_zero 0
	.end_amdhsa_kernel
	.section	.text._ZL33csrmvn_symm_large_adaptive_kernelIllffffEvbT_PKS0_N9rocsparse24const_host_device_scalarIT4_EES2_PKT0_PKT1_PKT2_S6_PT3_21rocsparse_index_base_b,"axG",@progbits,_ZL33csrmvn_symm_large_adaptive_kernelIllffffEvbT_PKS0_N9rocsparse24const_host_device_scalarIT4_EES2_PKT0_PKT1_PKT2_S6_PT3_21rocsparse_index_base_b,comdat
.Lfunc_end10:
	.size	_ZL33csrmvn_symm_large_adaptive_kernelIllffffEvbT_PKS0_N9rocsparse24const_host_device_scalarIT4_EES2_PKT0_PKT1_PKT2_S6_PT3_21rocsparse_index_base_b, .Lfunc_end10-_ZL33csrmvn_symm_large_adaptive_kernelIllffffEvbT_PKS0_N9rocsparse24const_host_device_scalarIT4_EES2_PKT0_PKT1_PKT2_S6_PT3_21rocsparse_index_base_b
                                        ; -- End function
	.section	.AMDGPU.csdata,"",@progbits
; Kernel info:
; codeLenInByte = 1692
; NumSgprs: 49
; NumVgprs: 18
; NumAgprs: 0
; TotalNumVgprs: 18
; ScratchSize: 0
; MemoryBound: 0
; FloatMode: 240
; IeeeMode: 1
; LDSByteSize: 4096 bytes/workgroup (compile time only)
; SGPRBlocks: 6
; VGPRBlocks: 2
; NumSGPRsForWavesPerEU: 49
; NumVGPRsForWavesPerEU: 18
; AccumOffset: 20
; Occupancy: 8
; WaveLimiterHint : 1
; COMPUTE_PGM_RSRC2:SCRATCH_EN: 0
; COMPUTE_PGM_RSRC2:USER_SGPR: 6
; COMPUTE_PGM_RSRC2:TRAP_HANDLER: 0
; COMPUTE_PGM_RSRC2:TGID_X_EN: 1
; COMPUTE_PGM_RSRC2:TGID_Y_EN: 0
; COMPUTE_PGM_RSRC2:TGID_Z_EN: 0
; COMPUTE_PGM_RSRC2:TIDIG_COMP_CNT: 0
; COMPUTE_PGM_RSRC3_GFX90A:ACCUM_OFFSET: 4
; COMPUTE_PGM_RSRC3_GFX90A:TG_SPLIT: 0
	.section	.text._ZN9rocsparseL22csrmvn_adaptive_kernelIiiddddEEvbT_PKS1_PjPKT0_NS_24const_host_device_scalarIT4_EES3_S7_PKT1_PKT2_SA_PT3_21rocsparse_index_base_b,"axG",@progbits,_ZN9rocsparseL22csrmvn_adaptive_kernelIiiddddEEvbT_PKS1_PjPKT0_NS_24const_host_device_scalarIT4_EES3_S7_PKT1_PKT2_SA_PT3_21rocsparse_index_base_b,comdat
	.globl	_ZN9rocsparseL22csrmvn_adaptive_kernelIiiddddEEvbT_PKS1_PjPKT0_NS_24const_host_device_scalarIT4_EES3_S7_PKT1_PKT2_SA_PT3_21rocsparse_index_base_b ; -- Begin function _ZN9rocsparseL22csrmvn_adaptive_kernelIiiddddEEvbT_PKS1_PjPKT0_NS_24const_host_device_scalarIT4_EES3_S7_PKT1_PKT2_SA_PT3_21rocsparse_index_base_b
	.p2align	8
	.type	_ZN9rocsparseL22csrmvn_adaptive_kernelIiiddddEEvbT_PKS1_PjPKT0_NS_24const_host_device_scalarIT4_EES3_S7_PKT1_PKT2_SA_PT3_21rocsparse_index_base_b,@function
_ZN9rocsparseL22csrmvn_adaptive_kernelIiiddddEEvbT_PKS1_PjPKT0_NS_24const_host_device_scalarIT4_EES3_S7_PKT1_PKT2_SA_PT3_21rocsparse_index_base_b: ; @_ZN9rocsparseL22csrmvn_adaptive_kernelIiiddddEEvbT_PKS1_PjPKT0_NS_24const_host_device_scalarIT4_EES3_S7_PKT1_PKT2_SA_PT3_21rocsparse_index_base_b
; %bb.0:
	s_load_dwordx2 s[40:41], s[4:5], 0x58
	s_load_dwordx2 s[8:9], s[4:5], 0x20
	;; [unrolled: 1-line block ×3, first 2 shown]
	s_waitcnt lgkmcnt(0)
	s_bitcmp1_b32 s41, 0
	s_cselect_b64 s[10:11], -1, 0
	s_xor_b64 s[2:3], s[10:11], -1
	s_and_b64 vcc, exec, s[10:11]
	v_pk_mov_b32 v[8:9], s[8:9], s[8:9] op_sel:[0,1]
	s_cbranch_vccnz .LBB11_2
; %bb.1:
	v_pk_mov_b32 v[2:3], s[8:9], s[8:9] op_sel:[0,1]
	flat_load_dwordx2 v[8:9], v[2:3]
.LBB11_2:
	s_andn2_b64 vcc, exec, s[2:3]
	v_pk_mov_b32 v[6:7], s[0:1], s[0:1] op_sel:[0,1]
	s_cbranch_vccnz .LBB11_4
; %bb.3:
	v_pk_mov_b32 v[2:3], s[0:1], s[0:1] op_sel:[0,1]
	flat_load_dwordx2 v[6:7], v[2:3]
.LBB11_4:
	s_waitcnt vmcnt(0) lgkmcnt(0)
	v_cmp_neq_f64_e32 vcc, 0, v[8:9]
	v_cmp_neq_f64_e64 s[0:1], 1.0, v[6:7]
	s_or_b64 s[0:1], vcc, s[0:1]
	s_and_saveexec_b64 s[2:3], s[0:1]
	s_cbranch_execz .LBB11_116
; %bb.5:
	s_load_dwordx2 s[0:1], s[4:5], 0x8
	s_load_dwordx2 s[8:9], s[4:5], 0x18
	s_ashr_i32 s7, s6, 31
	s_lshl_b64 s[44:45], s[6:7], 2
	s_waitcnt lgkmcnt(0)
	s_add_u32 s0, s0, s44
	s_addc_u32 s1, s1, s45
	s_load_dwordx2 s[36:37], s[0:1], 0x0
	s_load_dwordx2 s[34:35], s[4:5], 0x50
	s_load_dwordx8 s[24:31], s[4:5], 0x28
	s_waitcnt lgkmcnt(0)
	s_sub_i32 s2, s37, s36
	s_add_u32 s0, s8, s44
	s_mov_b32 s42, s36
	s_addc_u32 s1, s9, s45
	s_ashr_i32 s43, s36, 31
	s_load_dword s33, s[0:1], 0x0
	s_lshl_b64 s[0:1], s[42:43], 2
	s_add_u32 s38, s24, s0
	s_addc_u32 s39, s25, s1
	s_load_dword s41, s[38:39], 0x0
	s_cmp_lt_i32 s2, 2
	s_mov_b64 s[0:1], -1
	s_cbranch_scc0 .LBB11_72
; %bb.6:
	s_cmp_lg_u32 s2, 1
	s_cselect_b64 s[0:1], -1, 0
	s_waitcnt lgkmcnt(0)
	s_cmp_lg_u32 s33, 0
	s_cselect_b64 s[2:3], -1, 0
	s_or_b64 s[2:3], s[0:1], s[2:3]
	s_mov_b64 s[0:1], -1
	s_and_b64 vcc, exec, s[2:3]
	s_cbranch_vccnz .LBB11_35
; %bb.7:
	s_cmp_le_i32 s37, s36
	s_cbranch_scc1 .LBB11_34
; %bb.8:
	s_movk_i32 s0, 0x80
	s_add_u32 s7, s24, 4
	v_subrev_u32_e32 v1, s40, v0
	v_lshlrev_b32_e32 v14, 3, v0
	v_cmp_gt_u32_e64 s[0:1], s0, v0
	v_cmp_gt_u32_e64 s[2:3], 64, v0
	;; [unrolled: 1-line block ×7, first 2 shown]
	v_cmp_eq_u32_e64 s[18:19], 0, v0
	v_cmp_neq_f64_e64 s[20:21], 0, v[6:7]
	s_addc_u32 s52, s25, 0
	v_mov_b32_e32 v15, s31
	v_mov_b32_e32 v16, 0
	s_mov_b32 s53, s41
	s_mov_b32 s46, s36
	s_branch .LBB11_11
.LBB11_9:                               ;   in Loop: Header=BB11_11 Depth=1
	s_or_b64 exec, exec, s[48:49]
	s_lshl_b64 s[48:49], s[46:47], 3
	s_add_u32 s48, s34, s48
	s_addc_u32 s49, s35, s49
	s_waitcnt lgkmcnt(0)
	global_store_dwordx2 v16, v[2:3], s[48:49]
.LBB11_10:                              ;   in Loop: Header=BB11_11 Depth=1
	s_or_b64 exec, exec, s[22:23]
	s_add_i32 s46, s46, 1
	s_cmp_ge_i32 s46, s37
	s_cbranch_scc1 .LBB11_34
.LBB11_11:                              ; =>This Loop Header: Depth=1
                                        ;     Child Loop BB11_13 Depth 2
	s_ashr_i32 s47, s46, 31
	s_lshl_b64 s[22:23], s[46:47], 2
	s_add_u32 s22, s7, s22
	s_addc_u32 s23, s52, s23
	s_mov_b32 s48, s53
	s_load_dword s53, s[22:23], 0x0
	v_add_u32_e32 v2, s48, v1
	v_pk_mov_b32 v[4:5], 0, 0
	s_waitcnt lgkmcnt(0)
	s_sub_i32 s54, s53, s40
	v_cmp_gt_i32_e32 vcc, s54, v2
	s_and_saveexec_b64 s[48:49], vcc
	s_cbranch_execz .LBB11_15
; %bb.12:                               ;   in Loop: Header=BB11_11 Depth=1
	v_ashrrev_i32_e32 v3, 31, v2
	v_lshlrev_b64 v[4:5], 3, v[2:3]
	v_mov_b32_e32 v11, s29
	v_add_co_u32_e32 v10, vcc, s28, v4
	v_addc_co_u32_e32 v11, vcc, v11, v5, vcc
	v_lshlrev_b64 v[4:5], 2, v[2:3]
	v_mov_b32_e32 v3, s27
	v_add_co_u32_e32 v12, vcc, s26, v4
	v_addc_co_u32_e32 v13, vcc, v3, v5, vcc
	s_mov_b64 s[50:51], 0
	v_pk_mov_b32 v[4:5], 0, 0
.LBB11_13:                              ;   Parent Loop BB11_11 Depth=1
                                        ; =>  This Inner Loop Header: Depth=2
	global_load_dword v3, v[12:13], off
	global_load_dwordx2 v[18:19], v[10:11], off
	v_add_u32_e32 v2, 0x100, v2
	v_cmp_le_i32_e64 s[22:23], s54, v2
	s_or_b64 s[50:51], s[22:23], s[50:51]
	s_waitcnt vmcnt(1)
	v_subrev_u32_e32 v20, s40, v3
	v_ashrrev_i32_e32 v21, 31, v20
	v_lshlrev_b64 v[20:21], 3, v[20:21]
	v_add_co_u32_e32 v20, vcc, s30, v20
	v_addc_co_u32_e32 v21, vcc, v15, v21, vcc
	global_load_dwordx2 v[20:21], v[20:21], off
	v_add_co_u32_e32 v10, vcc, 0x800, v10
	v_addc_co_u32_e32 v11, vcc, 0, v11, vcc
	v_add_co_u32_e32 v12, vcc, 0x400, v12
	s_waitcnt vmcnt(1)
	v_mul_f64 v[18:19], v[8:9], v[18:19]
	v_addc_co_u32_e32 v13, vcc, 0, v13, vcc
	s_waitcnt vmcnt(0)
	v_fmac_f64_e32 v[4:5], v[18:19], v[20:21]
	s_andn2_b64 exec, exec, s[50:51]
	s_cbranch_execnz .LBB11_13
; %bb.14:                               ;   in Loop: Header=BB11_11 Depth=1
	s_or_b64 exec, exec, s[50:51]
.LBB11_15:                              ;   in Loop: Header=BB11_11 Depth=1
	s_or_b64 exec, exec, s[48:49]
	ds_write_b64 v14, v[4:5]
	s_waitcnt lgkmcnt(0)
	s_barrier
	s_and_saveexec_b64 s[22:23], s[0:1]
	s_cbranch_execz .LBB11_17
; %bb.16:                               ;   in Loop: Header=BB11_11 Depth=1
	ds_read2st64_b64 v[2:5], v14 offset1:2
	s_waitcnt lgkmcnt(0)
	v_add_f64 v[2:3], v[2:3], v[4:5]
	ds_write_b64 v14, v[2:3]
.LBB11_17:                              ;   in Loop: Header=BB11_11 Depth=1
	s_or_b64 exec, exec, s[22:23]
	s_waitcnt lgkmcnt(0)
	s_barrier
	s_and_saveexec_b64 s[22:23], s[2:3]
	s_cbranch_execz .LBB11_19
; %bb.18:                               ;   in Loop: Header=BB11_11 Depth=1
	ds_read2st64_b64 v[2:5], v14 offset1:1
	s_waitcnt lgkmcnt(0)
	v_add_f64 v[2:3], v[2:3], v[4:5]
	ds_write_b64 v14, v[2:3]
.LBB11_19:                              ;   in Loop: Header=BB11_11 Depth=1
	s_or_b64 exec, exec, s[22:23]
	s_waitcnt lgkmcnt(0)
	s_barrier
	s_and_saveexec_b64 s[22:23], s[8:9]
	s_cbranch_execz .LBB11_21
; %bb.20:                               ;   in Loop: Header=BB11_11 Depth=1
	ds_read2_b64 v[2:5], v14 offset1:32
	s_waitcnt lgkmcnt(0)
	v_add_f64 v[2:3], v[2:3], v[4:5]
	ds_write_b64 v14, v[2:3]
.LBB11_21:                              ;   in Loop: Header=BB11_11 Depth=1
	s_or_b64 exec, exec, s[22:23]
	s_waitcnt lgkmcnt(0)
	s_barrier
	s_and_saveexec_b64 s[22:23], s[10:11]
	s_cbranch_execz .LBB11_23
; %bb.22:                               ;   in Loop: Header=BB11_11 Depth=1
	ds_read2_b64 v[2:5], v14 offset1:16
	s_waitcnt lgkmcnt(0)
	v_add_f64 v[2:3], v[2:3], v[4:5]
	ds_write_b64 v14, v[2:3]
.LBB11_23:                              ;   in Loop: Header=BB11_11 Depth=1
	;; [unrolled: 11-line block ×5, first 2 shown]
	s_or_b64 exec, exec, s[22:23]
	s_waitcnt lgkmcnt(0)
	s_barrier
	s_and_saveexec_b64 s[22:23], s[18:19]
	s_cbranch_execz .LBB11_31
; %bb.30:                               ;   in Loop: Header=BB11_11 Depth=1
	ds_read_b128 v[2:5], v16
	s_waitcnt lgkmcnt(0)
	v_add_f64 v[2:3], v[2:3], v[4:5]
	ds_write_b64 v16, v[2:3]
.LBB11_31:                              ;   in Loop: Header=BB11_11 Depth=1
	s_or_b64 exec, exec, s[22:23]
	s_waitcnt lgkmcnt(0)
	s_barrier
	s_and_saveexec_b64 s[22:23], s[18:19]
	s_cbranch_execz .LBB11_10
; %bb.32:                               ;   in Loop: Header=BB11_11 Depth=1
	ds_read_b64 v[2:3], v16
	s_and_saveexec_b64 s[48:49], s[20:21]
	s_cbranch_execz .LBB11_9
; %bb.33:                               ;   in Loop: Header=BB11_11 Depth=1
	s_lshl_b64 s[50:51], s[46:47], 3
	s_add_u32 s50, s34, s50
	s_addc_u32 s51, s35, s51
	global_load_dwordx2 v[4:5], v16, s[50:51]
	s_waitcnt vmcnt(0) lgkmcnt(0)
	v_fmac_f64_e32 v[2:3], v[6:7], v[4:5]
	s_branch .LBB11_9
.LBB11_34:
	s_mov_b64 s[0:1], 0
.LBB11_35:
	s_andn2_b64 vcc, exec, s[0:1]
	s_cbranch_vccnz .LBB11_71
; %bb.36:
	s_load_dwordx2 s[8:9], s[4:5], 0x10
	s_sub_i32 s6, s6, s33
	v_or_b32_e32 v1, s33, v0
	v_cmp_eq_u32_e32 vcc, 0, v1
	v_pk_mov_b32 v[2:3], 0, 0
	s_waitcnt lgkmcnt(0)
	s_add_u32 s2, s8, s44
	s_addc_u32 s3, s9, s45
	s_load_dword s16, s[2:3], 0x0
	s_and_saveexec_b64 s[0:1], vcc
	s_cbranch_execz .LBB11_40
; %bb.37:
	s_lshl_b64 s[10:11], s[42:43], 3
	s_add_u32 s10, s34, s10
	s_addc_u32 s11, s35, s11
	s_load_dwordx2 s[10:11], s[10:11], 0x0
	s_mov_b64 s[12:13], exec
	v_mbcnt_lo_u32_b32 v1, s12, 0
	v_mbcnt_hi_u32_b32 v1, s13, v1
	v_add_f64 v[2:3], v[6:7], -1.0
	v_cmp_eq_u32_e32 vcc, 0, v1
	s_waitcnt vmcnt(0) expcnt(0) lgkmcnt(0)
	s_and_saveexec_b64 s[14:15], vcc
	s_cbranch_execz .LBB11_39
; %bb.38:
	s_ashr_i32 s7, s6, 31
	s_lshl_b64 s[18:19], s[6:7], 2
	s_add_u32 s18, s8, s18
	s_addc_u32 s19, s9, s19
	s_bcnt1_i32_b64 s7, s[12:13]
	s_and_b32 s7, s7, 1
	v_mov_b32_e32 v1, 0
	v_mov_b32_e32 v4, s7
	global_atomic_xor v1, v4, s[18:19]
.LBB11_39:
	s_or_b64 exec, exec, s[14:15]
	v_mul_f64 v[2:3], v[2:3], s[10:11]
.LBB11_40:
	s_or_b64 exec, exec, s[0:1]
	s_load_dword s1, s[38:39], 0x4
	s_mul_i32 s0, s33, 0xc00
	s_sub_i32 s7, s41, s40
	s_add_i32 s0, s7, s0
	v_add_u32_e32 v4, s0, v0
	s_waitcnt lgkmcnt(0)
	s_sub_i32 s1, s1, s40
	v_cmp_gt_i32_e32 vcc, s1, v4
	s_and_saveexec_b64 s[10:11], vcc
	s_cbranch_execz .LBB11_44
; %bb.41:
	v_ashrrev_i32_e32 v5, 31, v4
	v_lshlrev_b64 v[10:11], 3, v[4:5]
	v_mov_b32_e32 v1, s29
	v_add_co_u32_e32 v10, vcc, s28, v10
	v_addc_co_u32_e32 v11, vcc, v1, v11, vcc
	v_lshlrev_b64 v[12:13], 2, v[4:5]
	s_addk_i32 s0, 0xc00
	v_mov_b32_e32 v1, s27
	v_add_co_u32_e32 v12, vcc, s26, v12
	s_min_i32 s7, s0, s1
	v_addc_co_u32_e32 v13, vcc, v1, v13, vcc
	s_mov_b64 s[12:13], 0
	v_mov_b32_e32 v1, s31
.LBB11_42:                              ; =>This Inner Loop Header: Depth=1
	global_load_dword v5, v[12:13], off
	global_load_dwordx2 v[14:15], v[10:11], off
	v_add_u32_e32 v4, 0x100, v4
	v_cmp_le_i32_e64 s[0:1], s7, v4
	s_or_b64 s[12:13], s[0:1], s[12:13]
	s_waitcnt vmcnt(1)
	v_subrev_u32_e32 v16, s40, v5
	v_ashrrev_i32_e32 v17, 31, v16
	v_lshlrev_b64 v[16:17], 3, v[16:17]
	v_add_co_u32_e32 v16, vcc, s30, v16
	v_addc_co_u32_e32 v17, vcc, v1, v17, vcc
	global_load_dwordx2 v[16:17], v[16:17], off
	v_add_co_u32_e32 v10, vcc, 0x800, v10
	v_addc_co_u32_e32 v11, vcc, 0, v11, vcc
	v_add_co_u32_e32 v12, vcc, 0x400, v12
	s_waitcnt vmcnt(1)
	v_mul_f64 v[14:15], v[8:9], v[14:15]
	v_addc_co_u32_e32 v13, vcc, 0, v13, vcc
	s_waitcnt vmcnt(0)
	v_fmac_f64_e32 v[2:3], v[14:15], v[16:17]
	s_andn2_b64 exec, exec, s[12:13]
	s_cbranch_execnz .LBB11_42
; %bb.43:
	s_or_b64 exec, exec, s[12:13]
.LBB11_44:
	s_or_b64 exec, exec, s[10:11]
	s_movk_i32 s0, 0x80
	v_lshlrev_b32_e32 v1, 3, v0
	v_cmp_gt_u32_e32 vcc, s0, v0
	ds_write_b64 v1, v[2:3]
	s_waitcnt lgkmcnt(0)
	s_barrier
	s_and_saveexec_b64 s[0:1], vcc
	s_cbranch_execz .LBB11_46
; %bb.45:
	ds_read2st64_b64 v[2:5], v1 offset1:2
	s_waitcnt lgkmcnt(0)
	v_add_f64 v[2:3], v[2:3], v[4:5]
	ds_write_b64 v1, v[2:3]
.LBB11_46:
	s_or_b64 exec, exec, s[0:1]
	v_cmp_gt_u32_e32 vcc, 64, v0
	s_waitcnt lgkmcnt(0)
	s_barrier
	s_and_saveexec_b64 s[0:1], vcc
	s_cbranch_execz .LBB11_48
; %bb.47:
	ds_read2st64_b64 v[2:5], v1 offset1:1
	s_waitcnt lgkmcnt(0)
	v_add_f64 v[2:3], v[2:3], v[4:5]
	ds_write_b64 v1, v[2:3]
.LBB11_48:
	s_or_b64 exec, exec, s[0:1]
	v_cmp_gt_u32_e32 vcc, 32, v0
	s_waitcnt lgkmcnt(0)
	s_barrier
	s_and_saveexec_b64 s[0:1], vcc
	s_cbranch_execz .LBB11_50
; %bb.49:
	ds_read2_b64 v[2:5], v1 offset1:32
	s_waitcnt lgkmcnt(0)
	v_add_f64 v[2:3], v[2:3], v[4:5]
	ds_write_b64 v1, v[2:3]
.LBB11_50:
	s_or_b64 exec, exec, s[0:1]
	v_cmp_gt_u32_e32 vcc, 16, v0
	s_waitcnt lgkmcnt(0)
	s_barrier
	s_and_saveexec_b64 s[0:1], vcc
	s_cbranch_execz .LBB11_52
; %bb.51:
	ds_read2_b64 v[2:5], v1 offset1:16
	s_waitcnt lgkmcnt(0)
	v_add_f64 v[2:3], v[2:3], v[4:5]
	ds_write_b64 v1, v[2:3]
.LBB11_52:
	;; [unrolled: 12-line block ×5, first 2 shown]
	s_or_b64 exec, exec, s[0:1]
	v_cmp_eq_u32_e32 vcc, 0, v0
	s_waitcnt lgkmcnt(0)
	s_barrier
	s_and_saveexec_b64 s[0:1], vcc
	s_cbranch_execz .LBB11_60
; %bb.59:
	v_mov_b32_e32 v1, 0
	ds_read_b128 v[2:5], v1
	s_waitcnt lgkmcnt(0)
	v_add_f64 v[2:3], v[2:3], v[4:5]
	ds_write_b64 v1, v[2:3]
.LBB11_60:
	s_or_b64 exec, exec, s[0:1]
	s_waitcnt lgkmcnt(0)
	s_barrier
	s_and_saveexec_b64 s[0:1], vcc
	s_cbranch_execz .LBB11_70
; %bb.61:
	s_cmp_eq_u32 s33, 0
	s_cbranch_scc1 .LBB11_67
; %bb.62:
	s_ashr_i32 s7, s6, 31
	s_lshl_b64 s[6:7], s[6:7], 2
	s_add_u32 s6, s8, s6
	s_addc_u32 s7, s9, s7
	v_mov_b32_e32 v1, 0
	s_branch .LBB11_64
.LBB11_63:                              ;   in Loop: Header=BB11_64 Depth=1
	s_or_b64 exec, exec, s[8:9]
	s_waitcnt vmcnt(0)
	v_readfirstlane_b32 s8, v2
	s_cmp_eq_u32 s8, s16
	s_cbranch_scc0 .LBB11_66
.LBB11_64:                              ; =>This Inner Loop Header: Depth=1
	v_mbcnt_lo_u32_b32 v2, exec_lo, 0
	v_mbcnt_hi_u32_b32 v2, exec_hi, v2
	v_cmp_eq_u32_e32 vcc, 0, v2
                                        ; implicit-def: $vgpr2
	s_and_saveexec_b64 s[8:9], vcc
	s_cbranch_execz .LBB11_63
; %bb.65:                               ;   in Loop: Header=BB11_64 Depth=1
	global_load_dword v2, v1, s[6:7] glc
	s_branch .LBB11_63
.LBB11_66:
	v_mov_b32_e32 v1, 0
	global_load_dword v2, v1, s[2:3]
	s_waitcnt vmcnt(0)
	v_xor_b32_e32 v2, 1, v2
	global_store_dword v1, v2, s[2:3]
.LBB11_67:
	s_mov_b64 s[6:7], exec
	v_mbcnt_lo_u32_b32 v1, s6, 0
	v_mbcnt_hi_u32_b32 v1, s7, v1
	v_cmp_eq_u32_e32 vcc, 0, v1
	s_and_b64 s[2:3], exec, vcc
	s_mov_b64 exec, s[2:3]
	s_cbranch_execz .LBB11_70
; %bb.68:
	s_lshl_b64 s[2:3], s[42:43], 3
	s_add_u32 s2, s34, s2
	s_addc_u32 s3, s35, s3
	v_mov_b32_e32 v1, 0
	global_load_dwordx2 v[4:5], v1, s[2:3]
	ds_read_b64 v[2:3], v1
	s_bcnt1_i32_b64 s6, s[6:7]
	v_cvt_f64_u32_e32 v[10:11], s6
	s_mov_b64 s[6:7], 0
	s_waitcnt lgkmcnt(0)
	v_mul_f64 v[10:11], v[2:3], v[10:11]
.LBB11_69:                              ; =>This Inner Loop Header: Depth=1
	s_waitcnt vmcnt(0)
	v_add_f64 v[2:3], v[4:5], v[10:11]
	global_atomic_cmpswap_x2 v[2:3], v1, v[2:5], s[2:3] glc
	s_waitcnt vmcnt(0)
	v_cmp_eq_u64_e32 vcc, v[2:3], v[4:5]
	s_or_b64 s[6:7], vcc, s[6:7]
	v_pk_mov_b32 v[4:5], v[2:3], v[2:3] op_sel:[0,1]
	s_andn2_b64 exec, exec, s[6:7]
	s_cbranch_execnz .LBB11_69
.LBB11_70:
	s_or_b64 exec, exec, s[0:1]
.LBB11_71:
	s_mov_b64 s[0:1], 0
.LBB11_72:
	s_andn2_b64 vcc, exec, s[0:1]
	s_cbranch_vccnz .LBB11_116
; %bb.73:
	s_load_dword s0, s[4:5], 0x4
	v_subrev_u32_e32 v1, s40, v0
	s_waitcnt lgkmcnt(0)
	v_add_u32_e32 v2, s41, v1
	v_add_u32_e32 v1, 0x300, v2
	v_cmp_le_i32_e32 vcc, s0, v1
	s_and_saveexec_b64 s[0:1], vcc
	s_xor_b64 s[0:1], exec, s[0:1]
	s_cbranch_execz .LBB11_78
; %bb.74:
	s_ashr_i32 s3, s37, 31
	s_mov_b32 s2, s37
	s_lshl_b64 s[2:3], s[2:3], 2
	s_add_u32 s2, s24, s2
	s_addc_u32 s3, s25, s3
	s_load_dword s2, s[2:3], 0x0
	s_waitcnt lgkmcnt(0)
	s_sub_i32 s6, s2, s40
	v_cmp_gt_i32_e32 vcc, s6, v2
	s_and_saveexec_b64 s[2:3], vcc
	s_cbranch_execz .LBB11_77
; %bb.75:
	v_lshlrev_b32_e32 v1, 3, v0
	s_mov_b64 s[4:5], 0
	v_mov_b32_e32 v4, s29
	v_mov_b32_e32 v5, s27
	;; [unrolled: 1-line block ×3, first 2 shown]
.LBB11_76:                              ; =>This Inner Loop Header: Depth=1
	v_ashrrev_i32_e32 v3, 31, v2
	v_lshlrev_b64 v[12:13], 2, v[2:3]
	v_add_co_u32_e32 v12, vcc, s26, v12
	v_addc_co_u32_e32 v13, vcc, v5, v13, vcc
	global_load_dword v11, v[12:13], off
	v_lshlrev_b64 v[12:13], 3, v[2:3]
	v_add_co_u32_e32 v12, vcc, s28, v12
	v_addc_co_u32_e32 v13, vcc, v4, v13, vcc
	global_load_dwordx2 v[12:13], v[12:13], off
	v_add_u32_e32 v2, 0x100, v2
	s_waitcnt vmcnt(1)
	v_subrev_u32_e32 v14, s40, v11
	v_ashrrev_i32_e32 v15, 31, v14
	v_lshlrev_b64 v[14:15], 3, v[14:15]
	v_add_co_u32_e32 v14, vcc, s30, v14
	v_addc_co_u32_e32 v15, vcc, v10, v15, vcc
	global_load_dwordx2 v[14:15], v[14:15], off
	s_waitcnt vmcnt(1)
	v_mul_f64 v[12:13], v[8:9], v[12:13]
	v_cmp_le_i32_e32 vcc, s6, v2
	s_or_b64 s[4:5], vcc, s[4:5]
	s_waitcnt vmcnt(0)
	v_mul_f64 v[12:13], v[12:13], v[14:15]
	ds_write_b64 v1, v[12:13]
	v_add_u32_e32 v1, 0x800, v1
	s_andn2_b64 exec, exec, s[4:5]
	s_cbranch_execnz .LBB11_76
.LBB11_77:
	s_or_b64 exec, exec, s[2:3]
                                        ; implicit-def: $vgpr2
                                        ; implicit-def: $vgpr8_vgpr9
.LBB11_78:
	s_or_saveexec_b64 s[0:1], s[0:1]
	v_lshlrev_b32_e32 v10, 3, v0
	s_xor_b64 exec, exec, s[0:1]
	s_cbranch_execz .LBB11_80
; %bb.79:
	v_ashrrev_i32_e32 v3, 31, v2
	v_lshlrev_b64 v[4:5], 2, v[2:3]
	v_mov_b32_e32 v1, s27
	v_add_co_u32_e32 v4, vcc, s26, v4
	v_addc_co_u32_e32 v5, vcc, v1, v5, vcc
	global_load_dword v1, v[4:5], off
	global_load_dword v11, v[4:5], off offset:1024
	global_load_dword v19, v[4:5], off offset:2048
	;; [unrolled: 1-line block ×3, first 2 shown]
	v_lshlrev_b64 v[2:3], 3, v[2:3]
	v_mov_b32_e32 v4, s29
	v_add_co_u32_e32 v2, vcc, s28, v2
	s_movk_i32 s2, 0x1000
	v_addc_co_u32_e32 v3, vcc, v4, v3, vcc
	global_load_dwordx2 v[4:5], v[2:3], off
	global_load_dwordx2 v[12:13], v[2:3], off offset:2048
	v_add_co_u32_e32 v2, vcc, s2, v2
	v_addc_co_u32_e32 v3, vcc, 0, v3, vcc
	global_load_dwordx2 v[14:15], v[2:3], off
	global_load_dwordx2 v[16:17], v[2:3], off offset:2048
	v_mov_b32_e32 v24, s31
	s_waitcnt vmcnt(7)
	v_subrev_u32_e32 v2, s40, v1
	v_ashrrev_i32_e32 v3, 31, v2
	s_waitcnt vmcnt(6)
	v_subrev_u32_e32 v18, s40, v11
	v_lshlrev_b64 v[2:3], 3, v[2:3]
	s_waitcnt vmcnt(5)
	v_subrev_u32_e32 v20, s40, v19
	v_ashrrev_i32_e32 v19, 31, v18
	v_add_co_u32_e32 v2, vcc, s30, v2
	v_lshlrev_b64 v[18:19], 3, v[18:19]
	v_addc_co_u32_e32 v3, vcc, v24, v3, vcc
	s_waitcnt vmcnt(4)
	v_subrev_u32_e32 v22, s40, v21
	v_ashrrev_i32_e32 v21, 31, v20
	v_add_co_u32_e32 v18, vcc, s30, v18
	v_lshlrev_b64 v[20:21], 3, v[20:21]
	v_addc_co_u32_e32 v19, vcc, v24, v19, vcc
	v_ashrrev_i32_e32 v23, 31, v22
	v_add_co_u32_e32 v20, vcc, s30, v20
	v_lshlrev_b64 v[22:23], 3, v[22:23]
	v_addc_co_u32_e32 v21, vcc, v24, v21, vcc
	v_add_co_u32_e32 v22, vcc, s30, v22
	v_addc_co_u32_e32 v23, vcc, v24, v23, vcc
	global_load_dwordx2 v[24:25], v[2:3], off
	global_load_dwordx2 v[26:27], v[18:19], off
	global_load_dwordx2 v[28:29], v[20:21], off
	global_load_dwordx2 v[30:31], v[22:23], off
	s_waitcnt vmcnt(7)
	v_mul_f64 v[2:3], v[8:9], v[4:5]
	s_waitcnt vmcnt(6)
	v_mul_f64 v[4:5], v[8:9], v[12:13]
	;; [unrolled: 2-line block ×8, first 2 shown]
	ds_write2st64_b64 v10, v[2:3], v[4:5] offset1:4
	ds_write2st64_b64 v10, v[12:13], v[8:9] offset0:8 offset1:12
.LBB11_80:
	s_or_b64 exec, exec, s[0:1]
	s_cmp_lt_i32 s33, 2
	s_mov_b64 s[0:1], -1
	s_waitcnt lgkmcnt(0)
	s_barrier
	s_cbranch_scc0 .LBB11_91
; %bb.81:
	v_add_u32_e32 v2, s36, v0
	v_cmp_gt_i32_e32 vcc, s37, v2
	s_and_saveexec_b64 s[2:3], vcc
	s_cbranch_execz .LBB11_90
; %bb.82:
	s_lshl_b32 s0, s41, 3
	s_mov_b64 s[4:5], 0
	v_cmp_neq_f64_e32 vcc, 0, v[6:7]
	s_sub_i32 s10, 0, s0
	v_mov_b32_e32 v1, s25
	v_mov_b32_e32 v11, s35
	s_branch .LBB11_84
.LBB11_83:                              ;   in Loop: Header=BB11_84 Depth=1
	s_or_b64 exec, exec, s[6:7]
	v_add_co_u32_e64 v8, s[0:1], s34, v8
	v_addc_co_u32_e64 v9, s[0:1], v11, v9, s[0:1]
	v_add_u32_e32 v2, 0x100, v2
	v_cmp_le_i32_e64 s[0:1], s37, v2
	s_or_b64 s[4:5], s[0:1], s[4:5]
	global_store_dwordx2 v[8:9], v[4:5], off
	s_andn2_b64 exec, exec, s[4:5]
	s_cbranch_execz .LBB11_90
.LBB11_84:                              ; =>This Loop Header: Depth=1
                                        ;     Child Loop BB11_86 Depth 2
	v_ashrrev_i32_e32 v3, 31, v2
	v_lshlrev_b64 v[4:5], 2, v[2:3]
	v_add_co_u32_e64 v4, s[0:1], s24, v4
	v_addc_co_u32_e64 v5, s[0:1], v1, v5, s[0:1]
	global_load_dwordx2 v[8:9], v[4:5], off
	v_pk_mov_b32 v[4:5], 0, 0
	s_waitcnt vmcnt(0)
	v_cmp_lt_i32_e64 s[0:1], v8, v9
	s_and_saveexec_b64 s[6:7], s[0:1]
	s_cbranch_execz .LBB11_88
; %bb.85:                               ;   in Loop: Header=BB11_84 Depth=1
	v_subrev_u32_e32 v9, s41, v9
	v_subrev_u32_e32 v12, s41, v8
	v_lshl_add_u32 v8, v8, 3, s10
	s_mov_b64 s[8:9], 0
	v_pk_mov_b32 v[4:5], 0, 0
.LBB11_86:                              ;   Parent Loop BB11_84 Depth=1
                                        ; =>  This Inner Loop Header: Depth=2
	ds_read_b64 v[14:15], v8
	v_add_u32_e32 v12, 1, v12
	v_cmp_ge_i32_e64 s[0:1], v12, v9
	v_add_u32_e32 v8, 8, v8
	s_or_b64 s[8:9], s[0:1], s[8:9]
	s_waitcnt lgkmcnt(0)
	v_add_f64 v[4:5], v[4:5], v[14:15]
	s_andn2_b64 exec, exec, s[8:9]
	s_cbranch_execnz .LBB11_86
; %bb.87:                               ;   in Loop: Header=BB11_84 Depth=1
	s_or_b64 exec, exec, s[8:9]
.LBB11_88:                              ;   in Loop: Header=BB11_84 Depth=1
	s_or_b64 exec, exec, s[6:7]
	v_lshlrev_b64 v[8:9], 3, v[2:3]
	s_and_saveexec_b64 s[6:7], vcc
	s_cbranch_execz .LBB11_83
; %bb.89:                               ;   in Loop: Header=BB11_84 Depth=1
	v_mov_b32_e32 v3, s35
	v_add_co_u32_e64 v12, s[0:1], s34, v8
	v_addc_co_u32_e64 v13, s[0:1], v3, v9, s[0:1]
	global_load_dwordx2 v[12:13], v[12:13], off
	s_waitcnt vmcnt(0)
	v_fmac_f64_e32 v[4:5], v[6:7], v[12:13]
	s_branch .LBB11_83
.LBB11_90:
	s_or_b64 exec, exec, s[2:3]
	s_mov_b64 s[0:1], 0
.LBB11_91:
	s_andn2_b64 vcc, exec, s[0:1]
	s_cbranch_vccnz .LBB11_116
; %bb.92:
	s_flbit_i32_b32 s0, s33
	s_xor_b32 s0, s0, 31
	v_lshrrev_b32_e32 v4, s0, v0
	v_add_u32_e32 v2, s36, v4
	s_add_i32 s0, s33, -1
	v_and_b32_e32 v3, s0, v0
	v_cmp_le_i32_e32 vcc, s37, v2
	v_cmp_gt_i32_e64 s[0:1], s37, v2
	v_pk_mov_b32 v[0:1], 0, 0
	s_and_saveexec_b64 s[2:3], s[0:1]
	s_cbranch_execz .LBB11_98
; %bb.93:
	v_lshlrev_b32_e32 v0, 2, v4
	global_load_dwordx2 v[0:1], v0, s[38:39]
	v_subrev_u32_e32 v5, s41, v3
	s_waitcnt vmcnt(0)
	v_subrev_u32_e32 v4, s41, v1
	v_add_u32_e32 v5, v0, v5
	v_cmp_lt_i32_e64 s[0:1], v5, v4
	v_pk_mov_b32 v[0:1], 0, 0
	s_and_saveexec_b64 s[4:5], s[0:1]
	s_cbranch_execz .LBB11_97
; %bb.94:
	v_lshlrev_b32_e32 v8, 3, v5
	s_lshl_b32 s8, s33, 3
	s_mov_b64 s[6:7], 0
	v_pk_mov_b32 v[0:1], 0, 0
.LBB11_95:                              ; =>This Inner Loop Header: Depth=1
	ds_read_b64 v[12:13], v8
	v_add_u32_e32 v5, s33, v5
	v_cmp_ge_i32_e64 s[0:1], v5, v4
	v_add_u32_e32 v8, s8, v8
	s_or_b64 s[6:7], s[0:1], s[6:7]
	s_waitcnt lgkmcnt(0)
	v_add_f64 v[0:1], v[0:1], v[12:13]
	s_andn2_b64 exec, exec, s[6:7]
	s_cbranch_execnz .LBB11_95
; %bb.96:
	s_or_b64 exec, exec, s[6:7]
.LBB11_97:
	s_or_b64 exec, exec, s[4:5]
.LBB11_98:
	s_or_b64 exec, exec, s[2:3]
	s_cmpk_lt_i32 s33, 0x81
	s_barrier
	ds_write_b64 v10, v[0:1]
	s_waitcnt lgkmcnt(0)
	s_barrier
	s_cbranch_scc1 .LBB11_100
; %bb.99:
	ds_read_b64 v[4:5], v10 offset:1024
	s_waitcnt lgkmcnt(0)
	s_barrier
	v_add_f64 v[0:1], v[0:1], v[4:5]
	ds_write_b64 v10, v[0:1]
.LBB11_100:
	s_cmpk_lt_i32 s33, 0x41
	s_waitcnt lgkmcnt(0)
	s_barrier
	s_cbranch_scc1 .LBB11_102
; %bb.101:
	ds_read_b64 v[4:5], v10 offset:512
	s_waitcnt lgkmcnt(0)
	s_barrier
	v_add_f64 v[0:1], v[0:1], v[4:5]
	ds_write_b64 v10, v[0:1]
.LBB11_102:
	s_cmp_lt_i32 s33, 33
	s_waitcnt lgkmcnt(0)
	s_barrier
	s_cbranch_scc1 .LBB11_104
; %bb.103:
	ds_read_b64 v[4:5], v10 offset:256
	s_waitcnt lgkmcnt(0)
	s_barrier
	v_add_f64 v[0:1], v[0:1], v[4:5]
	ds_write_b64 v10, v[0:1]
.LBB11_104:
	s_cmp_lt_i32 s33, 17
	;; [unrolled: 11-line block ×4, first 2 shown]
	s_waitcnt lgkmcnt(0)
	s_barrier
	s_cbranch_scc1 .LBB11_110
; %bb.109:
	ds_read_b64 v[4:5], v10 offset:32
	s_waitcnt lgkmcnt(0)
	s_barrier
	v_add_f64 v[0:1], v[0:1], v[4:5]
	ds_write_b64 v10, v[0:1]
.LBB11_110:
	s_cmp_eq_u32 s33, 2
	s_waitcnt lgkmcnt(0)
	s_barrier
	s_cbranch_scc1 .LBB11_112
; %bb.111:
	ds_read_b64 v[4:5], v10 offset:16
	s_waitcnt lgkmcnt(0)
	s_barrier
	v_add_f64 v[0:1], v[0:1], v[4:5]
	ds_write_b64 v10, v[0:1]
.LBB11_112:
	s_waitcnt lgkmcnt(0)
	s_barrier
	ds_read_b64 v[4:5], v10 offset:8
	v_cmp_eq_u32_e64 s[0:1], 0, v3
	s_xor_b64 s[2:3], vcc, -1
	s_and_b64 s[0:1], s[0:1], s[2:3]
	s_waitcnt lgkmcnt(0)
	v_add_f64 v[0:1], v[0:1], v[4:5]
	s_barrier
	ds_write_b64 v10, v[0:1]
	s_and_b64 exec, exec, s[0:1]
	s_cbranch_execz .LBB11_116
; %bb.113:
	v_ashrrev_i32_e32 v3, 31, v2
	v_cmp_neq_f64_e32 vcc, 0, v[6:7]
	v_lshlrev_b64 v[2:3], 3, v[2:3]
	s_and_saveexec_b64 s[0:1], vcc
	s_cbranch_execz .LBB11_115
; %bb.114:
	v_mov_b32_e32 v5, s35
	v_add_co_u32_e32 v4, vcc, s34, v2
	v_addc_co_u32_e32 v5, vcc, v5, v3, vcc
	global_load_dwordx2 v[4:5], v[4:5], off
	s_waitcnt vmcnt(0)
	v_fmac_f64_e32 v[0:1], v[6:7], v[4:5]
.LBB11_115:
	s_or_b64 exec, exec, s[0:1]
	v_mov_b32_e32 v4, s35
	v_add_co_u32_e32 v2, vcc, s34, v2
	v_addc_co_u32_e32 v3, vcc, v4, v3, vcc
	global_store_dwordx2 v[2:3], v[0:1], off
.LBB11_116:
	s_endpgm
	.section	.rodata,"a",@progbits
	.p2align	6, 0x0
	.amdhsa_kernel _ZN9rocsparseL22csrmvn_adaptive_kernelIiiddddEEvbT_PKS1_PjPKT0_NS_24const_host_device_scalarIT4_EES3_S7_PKT1_PKT2_SA_PT3_21rocsparse_index_base_b
		.amdhsa_group_segment_fixed_size 8192
		.amdhsa_private_segment_fixed_size 0
		.amdhsa_kernarg_size 96
		.amdhsa_user_sgpr_count 6
		.amdhsa_user_sgpr_private_segment_buffer 1
		.amdhsa_user_sgpr_dispatch_ptr 0
		.amdhsa_user_sgpr_queue_ptr 0
		.amdhsa_user_sgpr_kernarg_segment_ptr 1
		.amdhsa_user_sgpr_dispatch_id 0
		.amdhsa_user_sgpr_flat_scratch_init 0
		.amdhsa_user_sgpr_kernarg_preload_length 0
		.amdhsa_user_sgpr_kernarg_preload_offset 0
		.amdhsa_user_sgpr_private_segment_size 0
		.amdhsa_uses_dynamic_stack 0
		.amdhsa_system_sgpr_private_segment_wavefront_offset 0
		.amdhsa_system_sgpr_workgroup_id_x 1
		.amdhsa_system_sgpr_workgroup_id_y 0
		.amdhsa_system_sgpr_workgroup_id_z 0
		.amdhsa_system_sgpr_workgroup_info 0
		.amdhsa_system_vgpr_workitem_id 0
		.amdhsa_next_free_vgpr 32
		.amdhsa_next_free_sgpr 55
		.amdhsa_accum_offset 32
		.amdhsa_reserve_vcc 1
		.amdhsa_reserve_flat_scratch 0
		.amdhsa_float_round_mode_32 0
		.amdhsa_float_round_mode_16_64 0
		.amdhsa_float_denorm_mode_32 3
		.amdhsa_float_denorm_mode_16_64 3
		.amdhsa_dx10_clamp 1
		.amdhsa_ieee_mode 1
		.amdhsa_fp16_overflow 0
		.amdhsa_tg_split 0
		.amdhsa_exception_fp_ieee_invalid_op 0
		.amdhsa_exception_fp_denorm_src 0
		.amdhsa_exception_fp_ieee_div_zero 0
		.amdhsa_exception_fp_ieee_overflow 0
		.amdhsa_exception_fp_ieee_underflow 0
		.amdhsa_exception_fp_ieee_inexact 0
		.amdhsa_exception_int_div_zero 0
	.end_amdhsa_kernel
	.section	.text._ZN9rocsparseL22csrmvn_adaptive_kernelIiiddddEEvbT_PKS1_PjPKT0_NS_24const_host_device_scalarIT4_EES3_S7_PKT1_PKT2_SA_PT3_21rocsparse_index_base_b,"axG",@progbits,_ZN9rocsparseL22csrmvn_adaptive_kernelIiiddddEEvbT_PKS1_PjPKT0_NS_24const_host_device_scalarIT4_EES3_S7_PKT1_PKT2_SA_PT3_21rocsparse_index_base_b,comdat
.Lfunc_end11:
	.size	_ZN9rocsparseL22csrmvn_adaptive_kernelIiiddddEEvbT_PKS1_PjPKT0_NS_24const_host_device_scalarIT4_EES3_S7_PKT1_PKT2_SA_PT3_21rocsparse_index_base_b, .Lfunc_end11-_ZN9rocsparseL22csrmvn_adaptive_kernelIiiddddEEvbT_PKS1_PjPKT0_NS_24const_host_device_scalarIT4_EES3_S7_PKT1_PKT2_SA_PT3_21rocsparse_index_base_b
                                        ; -- End function
	.section	.AMDGPU.csdata,"",@progbits
; Kernel info:
; codeLenInByte = 4000
; NumSgprs: 59
; NumVgprs: 32
; NumAgprs: 0
; TotalNumVgprs: 32
; ScratchSize: 0
; MemoryBound: 0
; FloatMode: 240
; IeeeMode: 1
; LDSByteSize: 8192 bytes/workgroup (compile time only)
; SGPRBlocks: 7
; VGPRBlocks: 3
; NumSGPRsForWavesPerEU: 59
; NumVGPRsForWavesPerEU: 32
; AccumOffset: 32
; Occupancy: 8
; WaveLimiterHint : 1
; COMPUTE_PGM_RSRC2:SCRATCH_EN: 0
; COMPUTE_PGM_RSRC2:USER_SGPR: 6
; COMPUTE_PGM_RSRC2:TRAP_HANDLER: 0
; COMPUTE_PGM_RSRC2:TGID_X_EN: 1
; COMPUTE_PGM_RSRC2:TGID_Y_EN: 0
; COMPUTE_PGM_RSRC2:TGID_Z_EN: 0
; COMPUTE_PGM_RSRC2:TIDIG_COMP_CNT: 0
; COMPUTE_PGM_RSRC3_GFX90A:ACCUM_OFFSET: 7
; COMPUTE_PGM_RSRC3_GFX90A:TG_SPLIT: 0
	.section	.text._ZN9rocsparseL22partial_scale_y_kernelIiddEEvT_S1_S1_NS_24const_host_device_scalarIT1_EEPT0_b,"axG",@progbits,_ZN9rocsparseL22partial_scale_y_kernelIiddEEvT_S1_S1_NS_24const_host_device_scalarIT1_EEPT0_b,comdat
	.globl	_ZN9rocsparseL22partial_scale_y_kernelIiddEEvT_S1_S1_NS_24const_host_device_scalarIT1_EEPT0_b ; -- Begin function _ZN9rocsparseL22partial_scale_y_kernelIiddEEvT_S1_S1_NS_24const_host_device_scalarIT1_EEPT0_b
	.p2align	8
	.type	_ZN9rocsparseL22partial_scale_y_kernelIiddEEvT_S1_S1_NS_24const_host_device_scalarIT1_EEPT0_b,@function
_ZN9rocsparseL22partial_scale_y_kernelIiddEEvT_S1_S1_NS_24const_host_device_scalarIT1_EEPT0_b: ; @_ZN9rocsparseL22partial_scale_y_kernelIiddEEvT_S1_S1_NS_24const_host_device_scalarIT1_EEPT0_b
; %bb.0:
	s_load_dword s2, s[4:5], 0x20
	s_load_dwordx2 s[0:1], s[4:5], 0x10
	s_waitcnt lgkmcnt(0)
	s_bitcmp1_b32 s2, 0
	s_cselect_b64 s[2:3], -1, 0
	s_and_b64 vcc, exec, s[2:3]
	v_pk_mov_b32 v[2:3], s[0:1], s[0:1] op_sel:[0,1]
	s_cbranch_vccnz .LBB12_2
; %bb.1:
	v_pk_mov_b32 v[2:3], s[0:1], s[0:1] op_sel:[0,1]
	flat_load_dwordx2 v[2:3], v[2:3]
.LBB12_2:
	s_waitcnt vmcnt(0) lgkmcnt(0)
	v_cmp_neq_f64_e32 vcc, 1.0, v[2:3]
	s_and_saveexec_b64 s[0:1], vcc
	s_cbranch_execz .LBB12_15
; %bb.3:
	s_load_dwordx4 s[8:11], s[4:5], 0x0
	v_lshl_or_b32 v0, s6, 8, v0
	s_waitcnt lgkmcnt(0)
	s_add_i32 s0, s9, s8
	s_sub_i32 s0, s0, s10
	v_cmp_gt_i32_e32 vcc, s0, v0
	s_and_b64 exec, exec, vcc
	s_cbranch_execz .LBB12_15
; %bb.4:
	s_load_dwordx2 s[2:3], s[4:5], 0x18
	v_cmp_le_i32_e64 s[0:1], s9, v0
	v_cmp_neq_f64_e32 vcc, 0, v[2:3]
	s_and_saveexec_b64 s[4:5], s[0:1]
	s_xor_b64 s[4:5], exec, s[4:5]
	s_cbranch_execz .LBB12_10
; %bb.5:
	v_subrev_u32_e32 v0, s9, v0
	v_add_u32_e32 v0, s10, v0
	v_ashrrev_i32_e32 v1, 31, v0
	v_lshlrev_b64 v[0:1], 3, v[0:1]
	s_waitcnt lgkmcnt(0)
	v_mov_b32_e32 v4, s3
	v_add_co_u32_e64 v0, s[0:1], s2, v0
	v_addc_co_u32_e64 v1, s[0:1], v4, v1, s[0:1]
	s_and_saveexec_b64 s[0:1], vcc
	s_xor_b64 s[0:1], exec, s[0:1]
	s_cbranch_execz .LBB12_7
; %bb.6:
	global_load_dwordx2 v[4:5], v[0:1], off
	s_waitcnt vmcnt(0)
	v_mul_f64 v[2:3], v[2:3], v[4:5]
	global_store_dwordx2 v[0:1], v[2:3], off
                                        ; implicit-def: $vgpr0_vgpr1
.LBB12_7:
	s_andn2_saveexec_b64 s[0:1], s[0:1]
	s_cbranch_execz .LBB12_9
; %bb.8:
	v_mov_b32_e32 v2, 0
	v_mov_b32_e32 v3, v2
	global_store_dwordx2 v[0:1], v[2:3], off
.LBB12_9:
	s_or_b64 exec, exec, s[0:1]
                                        ; implicit-def: $vgpr0
                                        ; implicit-def: $vgpr2_vgpr3
.LBB12_10:
	s_andn2_saveexec_b64 s[0:1], s[4:5]
	s_cbranch_execz .LBB12_15
; %bb.11:
	v_ashrrev_i32_e32 v1, 31, v0
	v_lshlrev_b64 v[0:1], 3, v[0:1]
	s_waitcnt lgkmcnt(0)
	v_mov_b32_e32 v4, s3
	v_add_co_u32_e64 v0, s[0:1], s2, v0
	v_addc_co_u32_e64 v1, s[0:1], v4, v1, s[0:1]
	s_and_saveexec_b64 s[0:1], vcc
	s_xor_b64 s[0:1], exec, s[0:1]
	s_cbranch_execz .LBB12_13
; %bb.12:
	global_load_dwordx2 v[4:5], v[0:1], off
	s_waitcnt vmcnt(0)
	v_mul_f64 v[2:3], v[2:3], v[4:5]
	global_store_dwordx2 v[0:1], v[2:3], off
                                        ; implicit-def: $vgpr0_vgpr1
.LBB12_13:
	s_andn2_saveexec_b64 s[0:1], s[0:1]
	s_cbranch_execz .LBB12_15
; %bb.14:
	v_mov_b32_e32 v2, 0
	v_mov_b32_e32 v3, v2
	global_store_dwordx2 v[0:1], v[2:3], off
.LBB12_15:
	s_endpgm
	.section	.rodata,"a",@progbits
	.p2align	6, 0x0
	.amdhsa_kernel _ZN9rocsparseL22partial_scale_y_kernelIiddEEvT_S1_S1_NS_24const_host_device_scalarIT1_EEPT0_b
		.amdhsa_group_segment_fixed_size 0
		.amdhsa_private_segment_fixed_size 0
		.amdhsa_kernarg_size 36
		.amdhsa_user_sgpr_count 6
		.amdhsa_user_sgpr_private_segment_buffer 1
		.amdhsa_user_sgpr_dispatch_ptr 0
		.amdhsa_user_sgpr_queue_ptr 0
		.amdhsa_user_sgpr_kernarg_segment_ptr 1
		.amdhsa_user_sgpr_dispatch_id 0
		.amdhsa_user_sgpr_flat_scratch_init 0
		.amdhsa_user_sgpr_kernarg_preload_length 0
		.amdhsa_user_sgpr_kernarg_preload_offset 0
		.amdhsa_user_sgpr_private_segment_size 0
		.amdhsa_uses_dynamic_stack 0
		.amdhsa_system_sgpr_private_segment_wavefront_offset 0
		.amdhsa_system_sgpr_workgroup_id_x 1
		.amdhsa_system_sgpr_workgroup_id_y 0
		.amdhsa_system_sgpr_workgroup_id_z 0
		.amdhsa_system_sgpr_workgroup_info 0
		.amdhsa_system_vgpr_workitem_id 0
		.amdhsa_next_free_vgpr 6
		.amdhsa_next_free_sgpr 12
		.amdhsa_accum_offset 8
		.amdhsa_reserve_vcc 1
		.amdhsa_reserve_flat_scratch 0
		.amdhsa_float_round_mode_32 0
		.amdhsa_float_round_mode_16_64 0
		.amdhsa_float_denorm_mode_32 3
		.amdhsa_float_denorm_mode_16_64 3
		.amdhsa_dx10_clamp 1
		.amdhsa_ieee_mode 1
		.amdhsa_fp16_overflow 0
		.amdhsa_tg_split 0
		.amdhsa_exception_fp_ieee_invalid_op 0
		.amdhsa_exception_fp_denorm_src 0
		.amdhsa_exception_fp_ieee_div_zero 0
		.amdhsa_exception_fp_ieee_overflow 0
		.amdhsa_exception_fp_ieee_underflow 0
		.amdhsa_exception_fp_ieee_inexact 0
		.amdhsa_exception_int_div_zero 0
	.end_amdhsa_kernel
	.section	.text._ZN9rocsparseL22partial_scale_y_kernelIiddEEvT_S1_S1_NS_24const_host_device_scalarIT1_EEPT0_b,"axG",@progbits,_ZN9rocsparseL22partial_scale_y_kernelIiddEEvT_S1_S1_NS_24const_host_device_scalarIT1_EEPT0_b,comdat
.Lfunc_end12:
	.size	_ZN9rocsparseL22partial_scale_y_kernelIiddEEvT_S1_S1_NS_24const_host_device_scalarIT1_EEPT0_b, .Lfunc_end12-_ZN9rocsparseL22partial_scale_y_kernelIiddEEvT_S1_S1_NS_24const_host_device_scalarIT1_EEPT0_b
                                        ; -- End function
	.section	.AMDGPU.csdata,"",@progbits
; Kernel info:
; codeLenInByte = 372
; NumSgprs: 16
; NumVgprs: 6
; NumAgprs: 0
; TotalNumVgprs: 6
; ScratchSize: 0
; MemoryBound: 0
; FloatMode: 240
; IeeeMode: 1
; LDSByteSize: 0 bytes/workgroup (compile time only)
; SGPRBlocks: 1
; VGPRBlocks: 0
; NumSGPRsForWavesPerEU: 16
; NumVGPRsForWavesPerEU: 6
; AccumOffset: 8
; Occupancy: 8
; WaveLimiterHint : 0
; COMPUTE_PGM_RSRC2:SCRATCH_EN: 0
; COMPUTE_PGM_RSRC2:USER_SGPR: 6
; COMPUTE_PGM_RSRC2:TRAP_HANDLER: 0
; COMPUTE_PGM_RSRC2:TGID_X_EN: 1
; COMPUTE_PGM_RSRC2:TGID_Y_EN: 0
; COMPUTE_PGM_RSRC2:TGID_Z_EN: 0
; COMPUTE_PGM_RSRC2:TIDIG_COMP_CNT: 0
; COMPUTE_PGM_RSRC3_GFX90A:ACCUM_OFFSET: 1
; COMPUTE_PGM_RSRC3_GFX90A:TG_SPLIT: 0
	.section	.text._ZN9rocsparseL27csrmvn_symm_adaptive_kernelIiiddddEEvbT_S1_PKS1_NS_24const_host_device_scalarIT4_EES3_PKT0_PKT1_PKT2_S6_PT3_21rocsparse_index_base_b,"axG",@progbits,_ZN9rocsparseL27csrmvn_symm_adaptive_kernelIiiddddEEvbT_S1_PKS1_NS_24const_host_device_scalarIT4_EES3_PKT0_PKT1_PKT2_S6_PT3_21rocsparse_index_base_b,comdat
	.globl	_ZN9rocsparseL27csrmvn_symm_adaptive_kernelIiiddddEEvbT_S1_PKS1_NS_24const_host_device_scalarIT4_EES3_PKT0_PKT1_PKT2_S6_PT3_21rocsparse_index_base_b ; -- Begin function _ZN9rocsparseL27csrmvn_symm_adaptive_kernelIiiddddEEvbT_S1_PKS1_NS_24const_host_device_scalarIT4_EES3_PKT0_PKT1_PKT2_S6_PT3_21rocsparse_index_base_b
	.p2align	8
	.type	_ZN9rocsparseL27csrmvn_symm_adaptive_kernelIiiddddEEvbT_S1_PKS1_NS_24const_host_device_scalarIT4_EES3_PKT0_PKT1_PKT2_S6_PT3_21rocsparse_index_base_b,@function
_ZN9rocsparseL27csrmvn_symm_adaptive_kernelIiiddddEEvbT_S1_PKS1_NS_24const_host_device_scalarIT4_EES3_PKT0_PKT1_PKT2_S6_PT3_21rocsparse_index_base_b: ; @_ZN9rocsparseL27csrmvn_symm_adaptive_kernelIiiddddEEvbT_S1_PKS1_NS_24const_host_device_scalarIT4_EES3_PKT0_PKT1_PKT2_S6_PT3_21rocsparse_index_base_b
; %bb.0:
	s_load_dwordx2 s[26:27], s[4:5], 0x50
	s_load_dwordx2 s[8:9], s[4:5], 0x18
	;; [unrolled: 1-line block ×3, first 2 shown]
	s_waitcnt lgkmcnt(0)
	s_bitcmp1_b32 s27, 0
	s_cselect_b64 s[10:11], -1, 0
	s_xor_b64 s[2:3], s[10:11], -1
	s_and_b64 vcc, exec, s[10:11]
	v_pk_mov_b32 v[8:9], s[8:9], s[8:9] op_sel:[0,1]
	s_cbranch_vccnz .LBB13_2
; %bb.1:
	v_pk_mov_b32 v[2:3], s[8:9], s[8:9] op_sel:[0,1]
	flat_load_dwordx2 v[8:9], v[2:3]
.LBB13_2:
	s_andn2_b64 vcc, exec, s[2:3]
	v_pk_mov_b32 v[2:3], s[0:1], s[0:1] op_sel:[0,1]
	s_cbranch_vccnz .LBB13_4
; %bb.3:
	v_pk_mov_b32 v[2:3], s[0:1], s[0:1] op_sel:[0,1]
	flat_load_dwordx2 v[2:3], v[2:3]
.LBB13_4:
	s_waitcnt vmcnt(0) lgkmcnt(0)
	v_cmp_neq_f64_e32 vcc, 0, v[8:9]
	v_cmp_neq_f64_e64 s[0:1], 1.0, v[2:3]
	s_or_b64 s[0:1], vcc, s[0:1]
	s_and_saveexec_b64 s[2:3], s[0:1]
	s_cbranch_execz .LBB13_180
; %bb.5:
	s_load_dwordx2 s[0:1], s[4:5], 0x10
	s_mov_b32 s2, 0
	s_mov_b32 s3, s2
	s_ashr_i32 s7, s6, 31
	v_pk_mov_b32 v[2:3], s[2:3], s[2:3] op_sel:[0,1]
	s_lshl_b64 s[2:3], s[6:7], 2
	s_waitcnt lgkmcnt(0)
	s_add_u32 s0, s0, s2
	v_lshlrev_b32_e32 v1, 3, v0
	s_addc_u32 s1, s1, s3
	ds_write2st64_b64 v1, v[2:3], v[2:3] offset1:4
	ds_write2st64_b64 v1, v[2:3], v[2:3] offset0:8 offset1:12
	s_waitcnt lgkmcnt(0)
	s_barrier
	s_load_dwordx2 s[24:25], s[0:1], 0x0
	s_load_dwordx8 s[16:23], s[4:5], 0x20
	s_load_dwordx2 s[14:15], s[4:5], 0x48
	s_mov_b64 s[0:1], -1
	v_subrev_u32_e32 v14, s26, v0
	s_waitcnt lgkmcnt(0)
	s_sub_i32 s27, s25, s24
	s_cmp_gt_i32 s27, 2
	s_cbranch_scc1 .LBB13_43
; %bb.6:
	s_cmp_gt_i32 s25, s24
	s_cbranch_scc1 .LBB13_8
; %bb.7:
	s_ashr_i32 s1, s24, 31
	s_mov_b32 s0, s24
	s_lshl_b64 s[0:1], s[0:1], 2
	s_add_u32 s0, s16, s0
	s_addc_u32 s1, s17, s1
	s_load_dword s33, s[0:1], 0x0
	s_cbranch_execz .LBB13_9
	s_branch .LBB13_32
.LBB13_8:
                                        ; implicit-def: $sgpr33
	s_andn2_b64 vcc, exec, s[0:1]
	s_cbranch_vccnz .LBB13_32
.LBB13_9:
	s_ashr_i32 s13, s24, 31
	s_mov_b32 s12, s24
	s_lshl_b64 s[12:13], s[12:13], 2
	s_add_u32 s12, s16, s12
	s_addc_u32 s13, s17, s13
	s_waitcnt lgkmcnt(0)
	s_load_dword s33, s[12:13], 0x0
	s_movk_i32 s0, 0x100
	s_add_u32 s36, s16, 4
	v_cmp_gt_u32_e64 s[0:1], s0, v0
	v_cmp_gt_u32_e64 s[2:3], 64, v0
	;; [unrolled: 1-line block ×4, first 2 shown]
	v_cmp_eq_u32_e64 s[10:11], 0, v0
	s_addc_u32 s37, s17, 0
	v_mov_b32_e32 v12, s23
	v_mov_b32_e32 v13, 0
	s_waitcnt lgkmcnt(0)
	s_mov_b32 s38, s33
	s_mov_b32 s28, s24
	s_branch .LBB13_11
.LBB13_10:                              ;   in Loop: Header=BB13_11 Depth=1
	s_or_b64 exec, exec, s[12:13]
	s_add_i32 s28, s28, 1
	s_cmp_ge_i32 s28, s25
	s_cbranch_scc1 .LBB13_32
.LBB13_11:                              ; =>This Loop Header: Depth=1
                                        ;     Child Loop BB13_13 Depth 2
                                        ;     Child Loop BB13_27 Depth 2
	;; [unrolled: 1-line block ×3, first 2 shown]
	s_ashr_i32 s29, s28, 31
	s_lshl_b64 s[12:13], s[28:29], 2
	s_add_u32 s12, s36, s12
	s_addc_u32 s13, s37, s13
	s_mov_b32 s30, s38
	s_load_dword s38, s[12:13], 0x0
	v_add_u32_e32 v2, s30, v14
	v_pk_mov_b32 v[4:5], 0, 0
	s_waitcnt lgkmcnt(0)
	s_sub_i32 s39, s38, s26
	v_cmp_gt_i32_e32 vcc, s39, v2
	s_and_saveexec_b64 s[30:31], vcc
	s_cbranch_execz .LBB13_15
; %bb.12:                               ;   in Loop: Header=BB13_11 Depth=1
	v_ashrrev_i32_e32 v3, 31, v2
	v_lshlrev_b64 v[4:5], 2, v[2:3]
	v_mov_b32_e32 v7, s19
	v_add_co_u32_e32 v6, vcc, s18, v4
	v_addc_co_u32_e32 v7, vcc, v7, v5, vcc
	v_lshlrev_b64 v[4:5], 3, v[2:3]
	v_mov_b32_e32 v3, s21
	v_add_co_u32_e32 v10, vcc, s20, v4
	v_addc_co_u32_e32 v11, vcc, v3, v5, vcc
	s_mov_b64 s[34:35], 0
	v_pk_mov_b32 v[4:5], 0, 0
.LBB13_13:                              ;   Parent Loop BB13_11 Depth=1
                                        ; =>  This Inner Loop Header: Depth=2
	global_load_dword v3, v[6:7], off
	global_load_dwordx2 v[16:17], v[10:11], off
	v_add_u32_e32 v2, 0x100, v2
	v_cmp_le_i32_e64 s[12:13], s39, v2
	s_or_b64 s[34:35], s[12:13], s[34:35]
	s_waitcnt vmcnt(1)
	v_subrev_u32_e32 v18, s26, v3
	v_ashrrev_i32_e32 v19, 31, v18
	v_lshlrev_b64 v[18:19], 3, v[18:19]
	v_add_co_u32_e32 v18, vcc, s22, v18
	v_addc_co_u32_e32 v19, vcc, v12, v19, vcc
	global_load_dwordx2 v[18:19], v[18:19], off
	v_add_co_u32_e32 v6, vcc, 0x400, v6
	v_addc_co_u32_e32 v7, vcc, 0, v7, vcc
	v_add_co_u32_e32 v10, vcc, 0x800, v10
	v_addc_co_u32_e32 v11, vcc, 0, v11, vcc
	s_waitcnt vmcnt(0)
	v_fmac_f64_e32 v[4:5], v[16:17], v[18:19]
	s_andn2_b64 exec, exec, s[34:35]
	s_cbranch_execnz .LBB13_13
; %bb.14:                               ;   in Loop: Header=BB13_11 Depth=1
	s_or_b64 exec, exec, s[34:35]
.LBB13_15:                              ;   in Loop: Header=BB13_11 Depth=1
	s_or_b64 exec, exec, s[30:31]
	ds_write_b64 v1, v[4:5]
	s_waitcnt lgkmcnt(0)
	s_barrier
	s_and_saveexec_b64 s[12:13], s[0:1]
	s_cbranch_execz .LBB13_17
; %bb.16:                               ;   in Loop: Header=BB13_11 Depth=1
	ds_read2st64_b64 v[2:5], v1 offset1:4
	ds_read2st64_b64 v[16:19], v1 offset0:8 offset1:12
	s_waitcnt lgkmcnt(0)
	v_add_f64 v[4:5], v[4:5], v[16:17]
	v_add_f64 v[4:5], v[4:5], v[18:19]
	;; [unrolled: 1-line block ×3, first 2 shown]
	ds_write_b64 v1, v[2:3]
.LBB13_17:                              ;   in Loop: Header=BB13_11 Depth=1
	s_or_b64 exec, exec, s[12:13]
	s_waitcnt lgkmcnt(0)
	s_barrier
	s_and_saveexec_b64 s[12:13], s[2:3]
	s_cbranch_execz .LBB13_19
; %bb.18:                               ;   in Loop: Header=BB13_11 Depth=1
	ds_read2st64_b64 v[2:5], v1 offset1:1
	ds_read2st64_b64 v[16:19], v1 offset0:2 offset1:3
	s_waitcnt lgkmcnt(0)
	v_add_f64 v[4:5], v[4:5], v[16:17]
	v_add_f64 v[4:5], v[4:5], v[18:19]
	;; [unrolled: 1-line block ×3, first 2 shown]
	ds_write_b64 v1, v[2:3]
.LBB13_19:                              ;   in Loop: Header=BB13_11 Depth=1
	s_or_b64 exec, exec, s[12:13]
	s_waitcnt lgkmcnt(0)
	s_barrier
	s_and_saveexec_b64 s[12:13], s[6:7]
	s_cbranch_execz .LBB13_21
; %bb.20:                               ;   in Loop: Header=BB13_11 Depth=1
	ds_read2_b64 v[2:5], v1 offset1:16
	ds_read2_b64 v[16:19], v1 offset0:32 offset1:48
	s_waitcnt lgkmcnt(0)
	v_add_f64 v[4:5], v[4:5], v[16:17]
	v_add_f64 v[4:5], v[4:5], v[18:19]
	v_add_f64 v[2:3], v[2:3], v[4:5]
	ds_write_b64 v1, v[2:3]
.LBB13_21:                              ;   in Loop: Header=BB13_11 Depth=1
	s_or_b64 exec, exec, s[12:13]
	s_waitcnt lgkmcnt(0)
	s_barrier
	s_and_saveexec_b64 s[12:13], s[8:9]
	s_cbranch_execz .LBB13_23
; %bb.22:                               ;   in Loop: Header=BB13_11 Depth=1
	ds_read2_b64 v[2:5], v1 offset1:4
	ds_read2_b64 v[16:19], v1 offset0:8 offset1:12
	s_waitcnt lgkmcnt(0)
	v_add_f64 v[4:5], v[4:5], v[16:17]
	v_add_f64 v[4:5], v[4:5], v[18:19]
	;; [unrolled: 1-line block ×3, first 2 shown]
	ds_write_b64 v1, v[2:3]
.LBB13_23:                              ;   in Loop: Header=BB13_11 Depth=1
	s_or_b64 exec, exec, s[12:13]
	s_waitcnt lgkmcnt(0)
	s_barrier
	s_and_saveexec_b64 s[12:13], s[10:11]
	s_cbranch_execz .LBB13_25
; %bb.24:                               ;   in Loop: Header=BB13_11 Depth=1
	ds_read2_b64 v[2:5], v13 offset0:1 offset1:2
	ds_read_b64 v[6:7], v13 offset:24
	ds_read_b64 v[10:11], v1
	s_waitcnt lgkmcnt(2)
	v_add_f64 v[2:3], v[2:3], v[4:5]
	s_waitcnt lgkmcnt(1)
	v_add_f64 v[2:3], v[2:3], v[6:7]
	;; [unrolled: 2-line block ×3, first 2 shown]
	ds_write_b64 v1, v[2:3]
.LBB13_25:                              ;   in Loop: Header=BB13_11 Depth=1
	s_or_b64 exec, exec, s[12:13]
	s_waitcnt lgkmcnt(0)
	s_barrier
	s_and_saveexec_b64 s[12:13], s[10:11]
	s_cbranch_execz .LBB13_10
; %bb.26:                               ;   in Loop: Header=BB13_11 Depth=1
	ds_read_b64 v[2:3], v13
	v_mov_b32_e32 v6, 0
	s_mov_b64 s[30:31], exec
	v_bfrev_b32_e32 v7, 1
	s_waitcnt lgkmcnt(0)
	v_mul_f64 v[2:3], v[8:9], v[2:3]
.LBB13_27:                              ;   Parent Loop BB13_11 Depth=1
                                        ; =>  This Inner Loop Header: Depth=2
	s_ff1_i32_b64 s39, s[30:31]
	s_lshl_b64 s[40:41], 1, s39
	v_readlane_b32 s35, v3, s39
	v_readlane_b32 s34, v2, s39
	s_andn2_b64 s[30:31], s[30:31], s[40:41]
	s_cmp_lg_u64 s[30:31], 0
	v_add_f64 v[6:7], v[6:7], s[34:35]
	s_cbranch_scc1 .LBB13_27
; %bb.28:                               ;   in Loop: Header=BB13_11 Depth=1
	v_mbcnt_lo_u32_b32 v2, exec_lo, 0
	v_mbcnt_hi_u32_b32 v2, exec_hi, v2
	v_cmp_eq_u32_e32 vcc, 0, v2
	s_and_saveexec_b64 s[30:31], vcc
	s_xor_b64 s[30:31], exec, s[30:31]
	s_cbranch_execz .LBB13_10
; %bb.29:                               ;   in Loop: Header=BB13_11 Depth=1
	s_lshl_b64 s[30:31], s[28:29], 3
	s_add_u32 s30, s14, s30
	s_addc_u32 s31, s15, s31
	global_load_dwordx2 v[4:5], v13, s[30:31]
	s_mov_b64 s[34:35], 0
.LBB13_30:                              ;   Parent Loop BB13_11 Depth=1
                                        ; =>  This Inner Loop Header: Depth=2
	s_waitcnt vmcnt(0)
	v_add_f64 v[2:3], v[4:5], v[6:7]
	global_atomic_cmpswap_x2 v[2:3], v13, v[2:5], s[30:31] glc
	s_waitcnt vmcnt(0)
	v_cmp_eq_u64_e32 vcc, v[2:3], v[4:5]
	s_or_b64 s[34:35], vcc, s[34:35]
	v_pk_mov_b32 v[4:5], v[2:3], v[2:3] op_sel:[0,1]
	s_andn2_b64 exec, exec, s[34:35]
	s_cbranch_execnz .LBB13_30
; %bb.31:                               ;   in Loop: Header=BB13_11 Depth=1
	s_or_b64 exec, exec, s[34:35]
	s_branch .LBB13_10
.LBB13_32:
	s_ashr_i32 s1, s25, 31
	s_mov_b32 s0, s25
	s_lshl_b64 s[0:1], s[0:1], 2
	s_add_u32 s0, s16, s0
	s_addc_u32 s1, s17, s1
	s_load_dword s0, s[0:1], 0x0
	s_waitcnt lgkmcnt(0)
	v_add_u32_e32 v6, s33, v14
	s_sub_i32 s12, s0, s26
	v_cmp_gt_i32_e32 vcc, s12, v6
	s_and_saveexec_b64 s[6:7], vcc
	s_cbranch_execz .LBB13_42
; %bb.33:
	s_add_i32 s13, s25, -1
	s_cmp_gt_i32 s13, s24
	s_cselect_b64 s[0:1], -1, 0
	s_add_i32 s2, s25, -2
	s_cmp_lg_u32 s2, s24
	s_cselect_b64 s[2:3], -1, 0
	s_and_b64 s[0:1], s[0:1], s[2:3]
	v_cndmask_b32_e64 v2, 0, 1, s[0:1]
	s_mov_b64 s[8:9], 0
	v_cmp_ne_u32_e64 s[0:1], 1, v2
	v_mov_b32_e32 v15, s17
	v_mov_b32_e32 v16, s19
	s_branch .LBB13_35
.LBB13_34:                              ;   in Loop: Header=BB13_35 Depth=1
	s_or_b64 exec, exec, s[2:3]
	v_add_u32_e32 v6, 0x100, v6
	v_cmp_le_i32_e32 vcc, s12, v6
	s_or_b64 s[8:9], vcc, s[8:9]
	s_andn2_b64 exec, exec, s[8:9]
	s_cbranch_execz .LBB13_42
.LBB13_35:                              ; =>This Loop Header: Depth=1
                                        ;     Child Loop BB13_37 Depth 2
                                        ;     Child Loop BB13_41 Depth 2
	s_and_b64 vcc, exec, s[0:1]
	v_mov_b32_e32 v4, s24
	v_mov_b32_e32 v2, s13
	s_cbranch_vccnz .LBB13_39
; %bb.36:                               ;   in Loop: Header=BB13_35 Depth=1
	s_mov_b64 s[10:11], 0
	v_mov_b32_e32 v4, s24
	v_mov_b32_e32 v2, s13
.LBB13_37:                              ;   Parent Loop BB13_35 Depth=1
                                        ; =>  This Inner Loop Header: Depth=2
	v_add_u32_e32 v3, v2, v4
	v_lshrrev_b32_e32 v7, 31, v3
	v_add_u32_e32 v3, v3, v7
	v_ashrrev_i32_e32 v10, 1, v3
	v_ashrrev_i32_e32 v11, 31, v10
	v_lshlrev_b64 v[12:13], 2, v[10:11]
	v_mov_b32_e32 v5, s17
	v_add_co_u32_e32 v12, vcc, s16, v12
	v_addc_co_u32_e32 v13, vcc, v5, v13, vcc
	global_load_dword v3, v[12:13], off
	s_waitcnt vmcnt(0)
	v_subrev_u32_e32 v3, s26, v3
	v_cmp_gt_i32_e32 vcc, v3, v6
	v_cndmask_b32_e32 v2, v2, v10, vcc
	v_cndmask_b32_e32 v4, v10, v4, vcc
	v_add_u32_e32 v3, -1, v2
	v_cmp_ge_i32_e32 vcc, v4, v2
	v_cmp_eq_u32_e64 s[2:3], v4, v3
	s_or_b64 s[2:3], vcc, s[2:3]
	s_and_b64 s[2:3], exec, s[2:3]
	s_or_b64 s[10:11], s[2:3], s[10:11]
	s_andn2_b64 exec, exec, s[10:11]
	s_cbranch_execnz .LBB13_37
; %bb.38:                               ;   in Loop: Header=BB13_35 Depth=1
	s_or_b64 exec, exec, s[10:11]
.LBB13_39:                              ;   in Loop: Header=BB13_35 Depth=1
	v_ashrrev_i32_e32 v3, 31, v2
	v_lshlrev_b64 v[10:11], 2, v[2:3]
	v_add_co_u32_e32 v10, vcc, s16, v10
	v_addc_co_u32_e32 v11, vcc, v15, v11, vcc
	v_ashrrev_i32_e32 v7, 31, v6
	global_load_dword v3, v[10:11], off
	v_lshlrev_b64 v[10:11], 2, v[6:7]
	v_add_co_u32_e32 v10, vcc, s18, v10
	v_addc_co_u32_e32 v11, vcc, v16, v11, vcc
	global_load_dword v5, v[10:11], off
	s_waitcnt vmcnt(1)
	v_subrev_u32_e32 v3, s26, v3
	v_cmp_gt_i32_e32 vcc, v3, v6
	v_cndmask_b32_e32 v2, v2, v4, vcc
	s_waitcnt vmcnt(0)
	v_subrev_u32_e32 v4, s26, v5
	v_cmp_ne_u32_e32 vcc, v4, v2
	s_and_saveexec_b64 s[2:3], vcc
	s_cbranch_execz .LBB13_34
; %bb.40:                               ;   in Loop: Header=BB13_35 Depth=1
	v_lshlrev_b64 v[10:11], 3, v[6:7]
	v_mov_b32_e32 v3, s21
	v_add_co_u32_e32 v10, vcc, s20, v10
	v_addc_co_u32_e32 v11, vcc, v3, v11, vcc
	v_ashrrev_i32_e32 v3, 31, v2
	v_lshlrev_b64 v[2:3], 3, v[2:3]
	v_ashrrev_i32_e32 v5, 31, v4
	v_mov_b32_e32 v7, s23
	v_add_co_u32_e32 v2, vcc, s22, v2
	v_lshlrev_b64 v[4:5], 3, v[4:5]
	v_addc_co_u32_e32 v3, vcc, v7, v3, vcc
	v_mov_b32_e32 v17, s15
	global_load_dwordx2 v[12:13], v[10:11], off
	v_add_co_u32_e32 v10, vcc, s14, v4
	global_load_dwordx2 v[2:3], v[2:3], off
	v_addc_co_u32_e32 v11, vcc, v17, v5, vcc
	global_load_dwordx2 v[4:5], v[10:11], off
	s_mov_b64 s[10:11], 0
	s_waitcnt vmcnt(2)
	v_mul_f64 v[12:13], v[8:9], v[12:13]
	s_waitcnt vmcnt(1)
	v_mul_f64 v[12:13], v[12:13], v[2:3]
.LBB13_41:                              ;   Parent Loop BB13_35 Depth=1
                                        ; =>  This Inner Loop Header: Depth=2
	s_waitcnt vmcnt(0)
	v_add_f64 v[2:3], v[4:5], v[12:13]
	global_atomic_cmpswap_x2 v[2:3], v[10:11], v[2:5], off glc
	s_waitcnt vmcnt(0)
	v_cmp_eq_u64_e32 vcc, v[2:3], v[4:5]
	s_or_b64 s[10:11], vcc, s[10:11]
	v_pk_mov_b32 v[4:5], v[2:3], v[2:3] op_sel:[0,1]
	s_andn2_b64 exec, exec, s[10:11]
	s_cbranch_execnz .LBB13_41
	s_branch .LBB13_34
.LBB13_42:
	s_or_b64 exec, exec, s[6:7]
	s_mov_b64 s[0:1], 0
.LBB13_43:
	s_and_b64 vcc, exec, s[0:1]
	s_cbranch_vccz .LBB13_180
; %bb.44:
	v_cvt_f32_u32_e32 v2, s27
	s_ashr_i32 s1, s24, 31
	s_mov_b32 s0, s24
	s_sub_i32 s2, 0, s27
	v_rcp_iflag_f32_e32 v2, v2
	s_lshl_b64 s[0:1], s[0:1], 2
	s_add_u32 s6, s16, s0
	s_addc_u32 s7, s17, s1
	v_mul_f32_e32 v2, 0x4f7ffffe, v2
	v_cvt_u32_f32_e32 v2, v2
	s_load_dword s30, s[6:7], 0x0
	s_load_dwordx2 s[8:9], s[4:5], 0x4
	s_load_dword s12, s[4:5], 0x64
	s_waitcnt lgkmcnt(0)
	v_add_u32_e32 v6, s30, v14
	v_readfirstlane_b32 s13, v2
	s_mul_i32 s2, s2, s13
	v_add_u32_e32 v18, 0x300, v6
	s_mul_hi_u32 s28, s13, s2
	v_cmp_le_i32_e64 s[0:1], s8, v18
	s_and_saveexec_b64 s[2:3], s[0:1]
	s_xor_b64 s[2:3], exec, s[2:3]
	s_cbranch_execz .LBB13_49
; %bb.45:
	s_ashr_i32 s5, s25, 31
	s_mov_b32 s4, s25
	s_lshl_b64 s[4:5], s[4:5], 2
	s_add_u32 s4, s16, s4
	s_addc_u32 s5, s17, s5
	s_load_dword s4, s[4:5], 0x0
	s_waitcnt lgkmcnt(0)
	s_sub_i32 s8, s4, s30
	v_cmp_gt_i32_e32 vcc, s8, v0
	s_and_saveexec_b64 s[4:5], vcc
	s_cbranch_execz .LBB13_48
; %bb.46:
	s_sub_i32 s29, s30, s26
	s_mov_b64 s[10:11], 0
	v_mov_b32_e32 v2, s21
	v_mov_b32_e32 v3, v0
	;; [unrolled: 1-line block ×3, first 2 shown]
.LBB13_47:                              ; =>This Inner Loop Header: Depth=1
	v_add_u32_e32 v10, s29, v3
	v_ashrrev_i32_e32 v11, 31, v10
	v_lshlrev_b64 v[10:11], 3, v[10:11]
	v_add_co_u32_e32 v10, vcc, s20, v10
	v_addc_co_u32_e32 v11, vcc, v2, v11, vcc
	global_load_dwordx2 v[10:11], v[10:11], off
	v_add_u32_e32 v3, 0x100, v3
	v_cmp_le_i32_e32 vcc, s8, v3
	s_or_b64 s[10:11], vcc, s[10:11]
	s_waitcnt vmcnt(0)
	v_mul_f64 v[10:11], v[8:9], v[10:11]
	ds_write_b64 v4, v[10:11]
	v_add_u32_e32 v4, 0x800, v4
	s_andn2_b64 exec, exec, s[10:11]
	s_cbranch_execnz .LBB13_47
.LBB13_48:
	s_or_b64 exec, exec, s[4:5]
                                        ; implicit-def: $vgpr8_vgpr9
.LBB13_49:
	s_or_saveexec_b64 s[2:3], s[2:3]
	s_and_b32 s31, s12, 0xffff
	s_add_i32 s13, s13, s28
	v_ashrrev_i32_e32 v7, 31, v6
	s_xor_b64 exec, exec, s[2:3]
	s_cbranch_execz .LBB13_51
; %bb.50:
	v_lshlrev_b64 v[2:3], 3, v[6:7]
	v_mov_b32_e32 v4, s21
	v_add_co_u32_e32 v2, vcc, s20, v2
	v_addc_co_u32_e32 v3, vcc, v4, v3, vcc
	global_load_dwordx2 v[4:5], v[2:3], off
	global_load_dwordx2 v[10:11], v[2:3], off offset:2048
	v_add_co_u32_e32 v2, vcc, 0x1000, v2
	v_addc_co_u32_e32 v3, vcc, 0, v3, vcc
	global_load_dwordx2 v[12:13], v[2:3], off
	global_load_dwordx2 v[14:15], v[2:3], off offset:2048
	s_waitcnt vmcnt(3)
	v_mul_f64 v[2:3], v[8:9], v[4:5]
	s_waitcnt vmcnt(2)
	v_mul_f64 v[4:5], v[8:9], v[10:11]
	ds_write2st64_b64 v1, v[2:3], v[4:5] offset1:4
	s_waitcnt vmcnt(1)
	v_mul_f64 v[2:3], v[8:9], v[12:13]
	s_waitcnt vmcnt(0)
	v_mul_f64 v[4:5], v[8:9], v[14:15]
	ds_write2st64_b64 v1, v[2:3], v[4:5] offset0:8 offset1:12
.LBB13_51:
	s_or_b64 exec, exec, s[2:3]
	s_mul_hi_u32 s8, s31, s13
	v_cmp_gt_i32_e32 vcc, s9, v0
	s_and_saveexec_b64 s[2:3], vcc
	s_cbranch_execz .LBB13_54
; %bb.52:
	v_mov_b32_e32 v2, 0x2000
	v_lshl_add_u32 v4, v0, 3, v2
	v_mov_b32_e32 v2, 0
	s_mov_b64 s[4:5], 0
	v_mov_b32_e32 v3, v2
	v_mov_b32_e32 v5, v0
.LBB13_53:                              ; =>This Inner Loop Header: Depth=1
	v_add_u32_e32 v5, 0x100, v5
	v_cmp_le_i32_e32 vcc, s9, v5
	ds_write_b64 v4, v[2:3]
	s_or_b64 s[4:5], vcc, s[4:5]
	v_add_u32_e32 v4, 0x800, v4
	s_andn2_b64 exec, exec, s[4:5]
	s_cbranch_execnz .LBB13_53
.LBB13_54:
	s_or_b64 exec, exec, s[2:3]
	s_sub_i32 s2, s25, s9
	s_cmp_ge_i32 s25, s9
	s_cselect_b32 s33, s2, 0
	s_waitcnt lgkmcnt(0)
	s_barrier
	s_and_saveexec_b64 s[2:3], s[0:1]
	s_xor_b64 s[4:5], exec, s[2:3]
	s_cbranch_execz .LBB13_73
; %bb.55:
	s_ashr_i32 s1, s25, 31
	s_mov_b32 s0, s25
	s_lshl_b64 s[0:1], s[0:1], 2
	s_add_u32 s0, s16, s0
	s_addc_u32 s1, s17, s1
	s_load_dword s0, s[0:1], 0x0
	s_waitcnt lgkmcnt(0)
	s_sub_i32 s34, s0, s30
	v_cmp_gt_i32_e32 vcc, s34, v0
	s_and_saveexec_b64 s[10:11], vcc
	s_cbranch_execz .LBB13_72
; %bb.56:
	s_add_i32 s35, s25, -1
	s_cmp_gt_i32 s35, s24
	s_cselect_b64 s[2:3], -1, 0
	s_add_i32 s1, s25, -2
	s_cmp_lg_u32 s1, s24
	s_cselect_b64 s[20:21], -1, 0
	s_sub_i32 s36, s0, s26
	s_and_b64 s[0:1], s[2:3], s[20:21]
	v_cndmask_b32_e64 v2, 0, 1, s[0:1]
	s_mov_b32 s37, 0
	s_mov_b64 s[12:13], 0
	v_cmp_ne_u32_e64 s[0:1], 1, v2
	v_mov_b32_e32 v7, s17
	v_mov_b32_e32 v16, s19
	;; [unrolled: 1-line block ×3, first 2 shown]
	s_branch .LBB13_59
.LBB13_57:                              ;   in Loop: Header=BB13_59 Depth=1
	s_or_b64 exec, exec, s[2:3]
.LBB13_58:                              ;   in Loop: Header=BB13_59 Depth=1
	s_or_b64 exec, exec, s[20:21]
	v_ashrrev_i32_e32 v9, 31, v8
	v_lshlrev_b64 v[2:3], 3, v[8:9]
	v_mov_b32_e32 v4, s23
	v_add_co_u32_e32 v2, vcc, s22, v2
	v_addc_co_u32_e32 v3, vcc, v4, v3, vcc
	global_load_dwordx2 v[2:3], v[2:3], off
	s_addk_i32 s37, 0x100
	v_add_u32_e32 v4, s37, v0
	v_cmp_le_i32_e32 vcc, s34, v4
	s_or_b64 s[12:13], vcc, s[12:13]
	s_waitcnt vmcnt(0) lgkmcnt(0)
	v_mul_f64 v[2:3], v[2:3], v[10:11]
	ds_write_b64 v18, v[2:3]
	s_andn2_b64 exec, exec, s[12:13]
	s_cbranch_execz .LBB13_72
.LBB13_59:                              ; =>This Loop Header: Depth=1
                                        ;     Child Loop BB13_61 Depth 2
                                        ;     Child Loop BB13_68 Depth 2
	v_add_u32_e32 v2, s37, v6
	s_and_b64 vcc, exec, s[0:1]
	v_mov_b32_e32 v9, s24
	v_mov_b32_e32 v4, s35
	s_cbranch_vccnz .LBB13_63
; %bb.60:                               ;   in Loop: Header=BB13_59 Depth=1
	s_mov_b64 s[20:21], 0
	v_mov_b32_e32 v9, s24
	v_mov_b32_e32 v4, s35
.LBB13_61:                              ;   Parent Loop BB13_59 Depth=1
                                        ; =>  This Inner Loop Header: Depth=2
	v_add_u32_e32 v3, v4, v9
	v_lshrrev_b32_e32 v8, 31, v3
	v_add_u32_e32 v3, v3, v8
	v_ashrrev_i32_e32 v10, 1, v3
	v_ashrrev_i32_e32 v11, 31, v10
	v_lshlrev_b64 v[12:13], 2, v[10:11]
	v_mov_b32_e32 v5, s17
	v_add_co_u32_e32 v12, vcc, s16, v12
	v_addc_co_u32_e32 v13, vcc, v5, v13, vcc
	global_load_dword v3, v[12:13], off
	s_waitcnt vmcnt(0)
	v_subrev_u32_e32 v3, s26, v3
	v_cmp_gt_i32_e32 vcc, v3, v2
	v_cndmask_b32_e32 v4, v4, v10, vcc
	v_cndmask_b32_e32 v9, v10, v9, vcc
	v_add_u32_e32 v3, -1, v4
	v_cmp_ge_i32_e32 vcc, v9, v4
	v_cmp_eq_u32_e64 s[2:3], v9, v3
	s_or_b64 s[2:3], vcc, s[2:3]
	s_and_b64 s[2:3], exec, s[2:3]
	s_or_b64 s[20:21], s[2:3], s[20:21]
	s_andn2_b64 exec, exec, s[20:21]
	s_cbranch_execnz .LBB13_61
; %bb.62:                               ;   in Loop: Header=BB13_59 Depth=1
	s_or_b64 exec, exec, s[20:21]
.LBB13_63:                              ;   in Loop: Header=BB13_59 Depth=1
	v_ashrrev_i32_e32 v5, 31, v4
	v_lshlrev_b64 v[10:11], 2, v[4:5]
	v_add_co_u32_e32 v10, vcc, s16, v10
	v_addc_co_u32_e32 v11, vcc, v7, v11, vcc
	v_ashrrev_i32_e32 v3, 31, v2
	global_load_dword v5, v[10:11], off
	v_lshlrev_b64 v[10:11], 2, v[2:3]
	v_add_co_u32_e32 v10, vcc, s18, v10
	v_addc_co_u32_e32 v11, vcc, v16, v11, vcc
	global_load_dword v3, v[10:11], off
	v_cmp_le_i32_e32 vcc, s36, v2
	v_lshl_add_u32 v18, s37, 3, v1
                                        ; implicit-def: $vgpr10_vgpr11
	s_waitcnt vmcnt(1)
	v_subrev_u32_e32 v5, s26, v5
	v_cmp_gt_i32_e64 s[2:3], v5, v2
	v_cndmask_b32_e64 v2, v4, v9, s[2:3]
	s_waitcnt vmcnt(0)
	v_subrev_u32_e32 v8, s26, v3
	v_cmp_eq_u32_e64 s[2:3], v8, v2
	s_or_b64 s[2:3], s[2:3], vcc
	s_and_saveexec_b64 s[20:21], s[2:3]
	s_xor_b64 s[2:3], exec, s[20:21]
	s_cbranch_execz .LBB13_65
; %bb.64:                               ;   in Loop: Header=BB13_59 Depth=1
	ds_read_b64 v[10:11], v18
                                        ; implicit-def: $vgpr2
.LBB13_65:                              ;   in Loop: Header=BB13_59 Depth=1
	s_andn2_saveexec_b64 s[20:21], s[2:3]
	s_cbranch_execz .LBB13_58
; %bb.66:                               ;   in Loop: Header=BB13_59 Depth=1
	v_ashrrev_i32_e32 v3, 31, v2
	v_lshlrev_b64 v[2:3], 3, v[2:3]
	v_mov_b32_e32 v4, s23
	v_add_co_u32_e32 v2, vcc, s22, v2
	v_addc_co_u32_e32 v3, vcc, v4, v3, vcc
	global_load_dwordx2 v[2:3], v[2:3], off
	s_waitcnt lgkmcnt(0)
	ds_read_b64 v[10:11], v18
	v_cmp_gt_i32_e32 vcc, s33, v8
	v_cmp_le_i32_e64 s[2:3], s25, v8
	s_or_b64 s[2:3], vcc, s[2:3]
	s_waitcnt vmcnt(0) lgkmcnt(0)
	v_mul_f64 v[12:13], v[10:11], v[2:3]
	s_and_saveexec_b64 s[28:29], s[2:3]
	s_xor_b64 s[2:3], exec, s[28:29]
	s_cbranch_execz .LBB13_70
; %bb.67:                               ;   in Loop: Header=BB13_59 Depth=1
	v_ashrrev_i32_e32 v9, 31, v8
	v_lshlrev_b64 v[2:3], 3, v[8:9]
	v_mov_b32_e32 v4, s15
	v_add_co_u32_e32 v14, vcc, s14, v2
	v_addc_co_u32_e32 v15, vcc, v4, v3, vcc
	global_load_dwordx2 v[4:5], v[14:15], off
	s_mov_b64 s[28:29], 0
.LBB13_68:                              ;   Parent Loop BB13_59 Depth=1
                                        ; =>  This Inner Loop Header: Depth=2
	s_waitcnt vmcnt(0)
	v_add_f64 v[2:3], v[4:5], v[12:13]
	global_atomic_cmpswap_x2 v[2:3], v[14:15], v[2:5], off glc
	s_waitcnt vmcnt(0)
	v_cmp_eq_u64_e32 vcc, v[2:3], v[4:5]
	s_or_b64 s[28:29], vcc, s[28:29]
	v_pk_mov_b32 v[4:5], v[2:3], v[2:3] op_sel:[0,1]
	s_andn2_b64 exec, exec, s[28:29]
	s_cbranch_execnz .LBB13_68
; %bb.69:                               ;   in Loop: Header=BB13_59 Depth=1
	s_or_b64 exec, exec, s[28:29]
                                        ; implicit-def: $vgpr12_vgpr13
.LBB13_70:                              ;   in Loop: Header=BB13_59 Depth=1
	s_andn2_saveexec_b64 s[2:3], s[2:3]
	s_cbranch_execz .LBB13_57
; %bb.71:                               ;   in Loop: Header=BB13_59 Depth=1
	v_subrev_u32_e32 v2, s33, v8
	v_lshl_add_u32 v2, v2, 3, v17
	ds_add_f64 v2, v[12:13]
	s_branch .LBB13_57
.LBB13_72:
	s_or_b64 exec, exec, s[10:11]
                                        ; implicit-def: $vgpr18
                                        ; implicit-def: $vgpr6
.LBB13_73:
	s_andn2_saveexec_b64 s[4:5], s[4:5]
	s_cbranch_execz .LBB13_139
; %bb.74:
	s_add_i32 s28, s25, -1
	s_cmp_le_i32 s28, s24
	s_cselect_b64 s[0:1], -1, 0
	s_add_i32 s2, s25, -2
	s_cmp_eq_u32 s2, s24
	s_cselect_b64 s[2:3], -1, 0
	s_or_b64 s[2:3], s[0:1], s[2:3]
	s_and_b64 vcc, exec, s[2:3]
	v_mov_b32_e32 v4, s24
	v_mov_b32_e32 v2, s28
	s_cbranch_vccnz .LBB13_78
; %bb.75:
	s_mov_b64 s[10:11], 0
	v_mov_b32_e32 v4, s24
	v_mov_b32_e32 v2, s28
	;; [unrolled: 1-line block ×3, first 2 shown]
.LBB13_76:                              ; =>This Inner Loop Header: Depth=1
	v_add_u32_e32 v5, v2, v4
	v_lshrrev_b32_e32 v8, 31, v5
	v_add_u32_e32 v5, v5, v8
	v_ashrrev_i32_e32 v8, 1, v5
	v_ashrrev_i32_e32 v9, 31, v8
	v_lshlrev_b64 v[10:11], 2, v[8:9]
	v_add_co_u32_e32 v10, vcc, s16, v10
	v_addc_co_u32_e32 v11, vcc, v3, v11, vcc
	global_load_dword v5, v[10:11], off
	s_waitcnt vmcnt(0)
	v_subrev_u32_e32 v5, s26, v5
	v_cmp_gt_i32_e32 vcc, v5, v6
	v_cndmask_b32_e32 v2, v2, v8, vcc
	v_cndmask_b32_e32 v4, v8, v4, vcc
	v_add_u32_e32 v5, -1, v2
	v_cmp_ge_i32_e32 vcc, v4, v2
	v_cmp_eq_u32_e64 s[0:1], v4, v5
	s_or_b64 s[0:1], vcc, s[0:1]
	s_and_b64 s[0:1], exec, s[0:1]
	s_or_b64 s[10:11], s[0:1], s[10:11]
	s_andn2_b64 exec, exec, s[10:11]
	s_cbranch_execnz .LBB13_76
; %bb.77:
	s_or_b64 exec, exec, s[10:11]
.LBB13_78:
	v_ashrrev_i32_e32 v3, 31, v2
	v_lshlrev_b64 v[8:9], 2, v[2:3]
	v_mov_b32_e32 v3, s17
	v_add_co_u32_e32 v8, vcc, s16, v8
	v_addc_co_u32_e32 v9, vcc, v3, v9, vcc
	global_load_dword v3, v[8:9], off
	v_lshlrev_b64 v[8:9], 2, v[6:7]
	v_mov_b32_e32 v5, s19
	v_add_co_u32_e32 v8, vcc, s18, v8
	v_addc_co_u32_e32 v9, vcc, v5, v9, vcc
	global_load_dword v5, v[8:9], off
	s_ashr_i32 s1, s25, 31
	s_mov_b32 s0, s25
	s_xor_b64 s[2:3], s[2:3], -1
	s_lshl_b64 s[0:1], s[0:1], 2
	s_add_u32 s10, s16, s0
	s_addc_u32 s11, s17, s1
                                        ; implicit-def: $vgpr10_vgpr11
	s_waitcnt vmcnt(1)
	v_subrev_u32_e32 v3, s26, v3
	v_cmp_gt_i32_e32 vcc, v3, v6
	v_cndmask_b32_e32 v2, v2, v4, vcc
	s_waitcnt vmcnt(0)
	v_subrev_u32_e32 v12, s26, v5
	v_cmp_ne_u32_e32 vcc, v12, v2
	s_and_saveexec_b64 s[0:1], vcc
	s_xor_b64 s[12:13], exec, s[0:1]
	s_cbranch_execz .LBB13_88
; %bb.79:
	s_load_dword s0, s[10:11], 0x0
	ds_read_b64 v[10:11], v1
	s_waitcnt lgkmcnt(0)
	s_sub_i32 s0, s0, s26
	v_cmp_gt_i32_e32 vcc, s0, v6
	s_and_saveexec_b64 s[18:19], vcc
	s_cbranch_execz .LBB13_87
; %bb.80:
	v_ashrrev_i32_e32 v3, 31, v2
	v_lshlrev_b64 v[2:3], 3, v[2:3]
	v_mov_b32_e32 v4, s23
	v_add_co_u32_e32 v2, vcc, s22, v2
	v_addc_co_u32_e32 v3, vcc, v4, v3, vcc
	global_load_dwordx2 v[2:3], v[2:3], off
	v_cmp_gt_i32_e32 vcc, s33, v12
	v_cmp_le_i32_e64 s[0:1], s25, v12
	s_or_b64 s[0:1], vcc, s[0:1]
	s_waitcnt vmcnt(0)
	v_mul_f64 v[14:15], v[10:11], v[2:3]
	s_and_saveexec_b64 s[20:21], s[0:1]
	s_xor_b64 s[0:1], exec, s[20:21]
	s_cbranch_execz .LBB13_84
; %bb.81:
	v_ashrrev_i32_e32 v13, 31, v12
	v_lshlrev_b64 v[2:3], 3, v[12:13]
	v_mov_b32_e32 v4, s15
	v_add_co_u32_e32 v16, vcc, s14, v2
	v_addc_co_u32_e32 v17, vcc, v4, v3, vcc
	global_load_dwordx2 v[4:5], v[16:17], off
	s_mov_b64 s[20:21], 0
.LBB13_82:                              ; =>This Inner Loop Header: Depth=1
	s_waitcnt vmcnt(0)
	v_add_f64 v[2:3], v[4:5], v[14:15]
	global_atomic_cmpswap_x2 v[2:3], v[16:17], v[2:5], off glc
	s_waitcnt vmcnt(0)
	v_cmp_eq_u64_e32 vcc, v[2:3], v[4:5]
	s_or_b64 s[20:21], vcc, s[20:21]
	v_pk_mov_b32 v[4:5], v[2:3], v[2:3] op_sel:[0,1]
	s_andn2_b64 exec, exec, s[20:21]
	s_cbranch_execnz .LBB13_82
; %bb.83:
	s_or_b64 exec, exec, s[20:21]
                                        ; implicit-def: $vgpr14_vgpr15
.LBB13_84:
	s_andn2_saveexec_b64 s[0:1], s[0:1]
	s_cbranch_execz .LBB13_86
; %bb.85:
	v_subrev_u32_e32 v2, s33, v12
	v_mov_b32_e32 v3, 0x2000
	v_lshl_add_u32 v2, v2, 3, v3
	ds_add_f64 v2, v[14:15]
.LBB13_86:
	s_or_b64 exec, exec, s[0:1]
.LBB13_87:
	s_or_b64 exec, exec, s[18:19]
.LBB13_88:
	s_andn2_saveexec_b64 s[0:1], s[12:13]
	s_cbranch_execz .LBB13_90
; %bb.89:
	ds_read_b64 v[10:11], v1
.LBB13_90:
	s_or_b64 exec, exec, s[0:1]
	v_ashrrev_i32_e32 v13, 31, v12
	v_lshlrev_b64 v[2:3], 3, v[12:13]
	v_mov_b32_e32 v4, s23
	v_add_co_u32_e32 v2, vcc, s22, v2
	v_addc_co_u32_e32 v3, vcc, v4, v3, vcc
	global_load_dwordx2 v[2:3], v[2:3], off
	v_cndmask_b32_e64 v7, 0, 1, s[2:3]
	v_add_u32_e32 v4, 0x100, v6
	v_mov_b32_e32 v5, s24
	v_cmp_ne_u32_e64 s[0:1], 1, v7
	s_andn2_b64 vcc, exec, s[2:3]
	s_waitcnt vmcnt(0) lgkmcnt(0)
	v_mul_f64 v[2:3], v[2:3], v[10:11]
	ds_write_b64 v1, v[2:3]
	v_mov_b32_e32 v2, s28
	s_cbranch_vccnz .LBB13_94
; %bb.91:
	s_mov_b64 s[12:13], 0
	v_mov_b32_e32 v5, s24
	v_mov_b32_e32 v2, s28
	;; [unrolled: 1-line block ×3, first 2 shown]
.LBB13_92:                              ; =>This Inner Loop Header: Depth=1
	v_add_u32_e32 v7, v2, v5
	v_lshrrev_b32_e32 v10, 31, v7
	v_add_u32_e32 v7, v7, v10
	v_ashrrev_i32_e32 v10, 1, v7
	v_ashrrev_i32_e32 v11, 31, v10
	v_lshlrev_b64 v[12:13], 2, v[10:11]
	v_add_co_u32_e32 v12, vcc, s16, v12
	v_addc_co_u32_e32 v13, vcc, v3, v13, vcc
	global_load_dword v7, v[12:13], off
	s_waitcnt vmcnt(0)
	v_subrev_u32_e32 v7, s26, v7
	v_cmp_gt_i32_e32 vcc, v7, v4
	v_cndmask_b32_e32 v2, v2, v10, vcc
	v_cndmask_b32_e32 v5, v10, v5, vcc
	v_add_u32_e32 v7, -1, v2
	v_cmp_ge_i32_e32 vcc, v5, v2
	v_cmp_eq_u32_e64 s[2:3], v5, v7
	s_or_b64 s[2:3], vcc, s[2:3]
	s_and_b64 s[2:3], exec, s[2:3]
	s_or_b64 s[12:13], s[2:3], s[12:13]
	s_andn2_b64 exec, exec, s[12:13]
	s_cbranch_execnz .LBB13_92
; %bb.93:
	s_or_b64 exec, exec, s[12:13]
.LBB13_94:
	v_ashrrev_i32_e32 v3, 31, v2
	v_lshlrev_b64 v[10:11], 2, v[2:3]
	v_mov_b32_e32 v3, s17
	v_add_co_u32_e32 v10, vcc, s16, v10
	v_addc_co_u32_e32 v11, vcc, v3, v11, vcc
	global_load_dword v3, v[10:11], off
	global_load_dword v7, v[8:9], off offset:1024
                                        ; implicit-def: $vgpr10_vgpr11
	s_waitcnt vmcnt(1)
	v_subrev_u32_e32 v3, s26, v3
	v_cmp_gt_i32_e32 vcc, v3, v4
	v_cndmask_b32_e32 v2, v2, v5, vcc
	s_waitcnt vmcnt(0)
	v_subrev_u32_e32 v12, s26, v7
	v_cmp_ne_u32_e32 vcc, v12, v2
	s_and_saveexec_b64 s[2:3], vcc
	s_xor_b64 s[12:13], exec, s[2:3]
	s_cbranch_execz .LBB13_104
; %bb.95:
	s_load_dword s2, s[10:11], 0x0
	ds_read_b64 v[10:11], v1 offset:2048
	s_waitcnt lgkmcnt(0)
	s_sub_i32 s2, s2, s26
	v_cmp_gt_i32_e32 vcc, s2, v4
	s_and_saveexec_b64 s[18:19], vcc
	s_cbranch_execz .LBB13_103
; %bb.96:
	v_ashrrev_i32_e32 v3, 31, v2
	v_lshlrev_b64 v[2:3], 3, v[2:3]
	v_mov_b32_e32 v4, s23
	v_add_co_u32_e32 v2, vcc, s22, v2
	v_addc_co_u32_e32 v3, vcc, v4, v3, vcc
	global_load_dwordx2 v[2:3], v[2:3], off
	v_cmp_gt_i32_e32 vcc, s33, v12
	v_cmp_le_i32_e64 s[2:3], s25, v12
	s_or_b64 s[2:3], vcc, s[2:3]
	s_waitcnt vmcnt(0)
	v_mul_f64 v[14:15], v[10:11], v[2:3]
	s_and_saveexec_b64 s[20:21], s[2:3]
	s_xor_b64 s[2:3], exec, s[20:21]
	s_cbranch_execz .LBB13_100
; %bb.97:
	v_ashrrev_i32_e32 v13, 31, v12
	v_lshlrev_b64 v[2:3], 3, v[12:13]
	v_mov_b32_e32 v4, s15
	v_add_co_u32_e32 v16, vcc, s14, v2
	v_addc_co_u32_e32 v17, vcc, v4, v3, vcc
	global_load_dwordx2 v[4:5], v[16:17], off
	s_mov_b64 s[20:21], 0
.LBB13_98:                              ; =>This Inner Loop Header: Depth=1
	s_waitcnt vmcnt(0)
	v_add_f64 v[2:3], v[4:5], v[14:15]
	global_atomic_cmpswap_x2 v[2:3], v[16:17], v[2:5], off glc
	s_waitcnt vmcnt(0)
	v_cmp_eq_u64_e32 vcc, v[2:3], v[4:5]
	s_or_b64 s[20:21], vcc, s[20:21]
	v_pk_mov_b32 v[4:5], v[2:3], v[2:3] op_sel:[0,1]
	s_andn2_b64 exec, exec, s[20:21]
	s_cbranch_execnz .LBB13_98
; %bb.99:
	s_or_b64 exec, exec, s[20:21]
                                        ; implicit-def: $vgpr14_vgpr15
.LBB13_100:
	s_andn2_saveexec_b64 s[2:3], s[2:3]
	s_cbranch_execz .LBB13_102
; %bb.101:
	v_subrev_u32_e32 v2, s33, v12
	v_mov_b32_e32 v3, 0x2000
	v_lshl_add_u32 v2, v2, 3, v3
	ds_add_f64 v2, v[14:15]
.LBB13_102:
	s_or_b64 exec, exec, s[2:3]
.LBB13_103:
	s_or_b64 exec, exec, s[18:19]
.LBB13_104:
	s_andn2_saveexec_b64 s[2:3], s[12:13]
	s_cbranch_execz .LBB13_106
; %bb.105:
	ds_read_b64 v[10:11], v1 offset:2048
.LBB13_106:
	s_or_b64 exec, exec, s[2:3]
	v_ashrrev_i32_e32 v13, 31, v12
	v_lshlrev_b64 v[2:3], 3, v[12:13]
	v_mov_b32_e32 v4, s23
	v_add_co_u32_e32 v2, vcc, s22, v2
	v_addc_co_u32_e32 v3, vcc, v4, v3, vcc
	global_load_dwordx2 v[2:3], v[2:3], off
	v_add_u32_e32 v4, 0x200, v6
	s_and_b64 vcc, exec, s[0:1]
	v_mov_b32_e32 v5, s24
	s_waitcnt vmcnt(0) lgkmcnt(0)
	v_mul_f64 v[2:3], v[2:3], v[10:11]
	ds_write_b64 v1, v[2:3] offset:2048
	v_mov_b32_e32 v2, s28
	s_cbranch_vccnz .LBB13_110
; %bb.107:
	s_mov_b64 s[12:13], 0
	v_mov_b32_e32 v5, s24
	v_mov_b32_e32 v2, s28
	v_mov_b32_e32 v3, s17
.LBB13_108:                             ; =>This Inner Loop Header: Depth=1
	v_add_u32_e32 v6, v2, v5
	v_lshrrev_b32_e32 v7, 31, v6
	v_add_u32_e32 v6, v6, v7
	v_ashrrev_i32_e32 v6, 1, v6
	v_ashrrev_i32_e32 v7, 31, v6
	v_lshlrev_b64 v[10:11], 2, v[6:7]
	v_add_co_u32_e32 v10, vcc, s16, v10
	v_addc_co_u32_e32 v11, vcc, v3, v11, vcc
	global_load_dword v7, v[10:11], off
	s_waitcnt vmcnt(0)
	v_subrev_u32_e32 v7, s26, v7
	v_cmp_gt_i32_e32 vcc, v7, v4
	v_cndmask_b32_e32 v2, v2, v6, vcc
	v_cndmask_b32_e32 v5, v6, v5, vcc
	v_add_u32_e32 v6, -1, v2
	v_cmp_ge_i32_e32 vcc, v5, v2
	v_cmp_eq_u32_e64 s[2:3], v5, v6
	s_or_b64 s[2:3], vcc, s[2:3]
	s_and_b64 s[2:3], exec, s[2:3]
	s_or_b64 s[12:13], s[2:3], s[12:13]
	s_andn2_b64 exec, exec, s[12:13]
	s_cbranch_execnz .LBB13_108
; %bb.109:
	s_or_b64 exec, exec, s[12:13]
.LBB13_110:
	v_ashrrev_i32_e32 v3, 31, v2
	v_lshlrev_b64 v[6:7], 2, v[2:3]
	v_mov_b32_e32 v3, s17
	v_add_co_u32_e32 v6, vcc, s16, v6
	v_addc_co_u32_e32 v7, vcc, v3, v7, vcc
	global_load_dword v3, v[6:7], off
	global_load_dword v10, v[8:9], off offset:2048
                                        ; implicit-def: $vgpr6_vgpr7
	s_waitcnt vmcnt(1)
	v_subrev_u32_e32 v3, s26, v3
	v_cmp_gt_i32_e32 vcc, v3, v4
	v_cndmask_b32_e32 v2, v2, v5, vcc
	s_waitcnt vmcnt(0)
	v_subrev_u32_e32 v10, s26, v10
	v_cmp_ne_u32_e32 vcc, v10, v2
	s_and_saveexec_b64 s[2:3], vcc
	s_xor_b64 s[12:13], exec, s[2:3]
	s_cbranch_execz .LBB13_120
; %bb.111:
	s_load_dword s2, s[10:11], 0x0
	ds_read_b64 v[6:7], v1 offset:4096
	s_waitcnt lgkmcnt(0)
	s_sub_i32 s2, s2, s26
	v_cmp_gt_i32_e32 vcc, s2, v4
	s_and_saveexec_b64 s[18:19], vcc
	s_cbranch_execz .LBB13_119
; %bb.112:
	v_ashrrev_i32_e32 v3, 31, v2
	v_lshlrev_b64 v[2:3], 3, v[2:3]
	v_mov_b32_e32 v4, s23
	v_add_co_u32_e32 v2, vcc, s22, v2
	v_addc_co_u32_e32 v3, vcc, v4, v3, vcc
	global_load_dwordx2 v[2:3], v[2:3], off
	v_cmp_gt_i32_e32 vcc, s33, v10
	v_cmp_le_i32_e64 s[2:3], s25, v10
	s_or_b64 s[2:3], vcc, s[2:3]
	s_waitcnt vmcnt(0)
	v_mul_f64 v[12:13], v[6:7], v[2:3]
	s_and_saveexec_b64 s[20:21], s[2:3]
	s_xor_b64 s[2:3], exec, s[20:21]
	s_cbranch_execz .LBB13_116
; %bb.113:
	v_ashrrev_i32_e32 v11, 31, v10
	v_lshlrev_b64 v[2:3], 3, v[10:11]
	v_mov_b32_e32 v4, s15
	v_add_co_u32_e32 v14, vcc, s14, v2
	v_addc_co_u32_e32 v15, vcc, v4, v3, vcc
	global_load_dwordx2 v[4:5], v[14:15], off
	s_mov_b64 s[20:21], 0
.LBB13_114:                             ; =>This Inner Loop Header: Depth=1
	s_waitcnt vmcnt(0)
	v_add_f64 v[2:3], v[4:5], v[12:13]
	global_atomic_cmpswap_x2 v[2:3], v[14:15], v[2:5], off glc
	s_waitcnt vmcnt(0)
	v_cmp_eq_u64_e32 vcc, v[2:3], v[4:5]
	s_or_b64 s[20:21], vcc, s[20:21]
	v_pk_mov_b32 v[4:5], v[2:3], v[2:3] op_sel:[0,1]
	s_andn2_b64 exec, exec, s[20:21]
	s_cbranch_execnz .LBB13_114
; %bb.115:
	s_or_b64 exec, exec, s[20:21]
                                        ; implicit-def: $vgpr12_vgpr13
.LBB13_116:
	s_andn2_saveexec_b64 s[2:3], s[2:3]
	s_cbranch_execz .LBB13_118
; %bb.117:
	v_subrev_u32_e32 v2, s33, v10
	v_mov_b32_e32 v3, 0x2000
	v_lshl_add_u32 v2, v2, 3, v3
	ds_add_f64 v2, v[12:13]
.LBB13_118:
	s_or_b64 exec, exec, s[2:3]
.LBB13_119:
	s_or_b64 exec, exec, s[18:19]
.LBB13_120:
	s_andn2_saveexec_b64 s[2:3], s[12:13]
	s_cbranch_execz .LBB13_122
; %bb.121:
	ds_read_b64 v[6:7], v1 offset:4096
.LBB13_122:
	s_or_b64 exec, exec, s[2:3]
	v_ashrrev_i32_e32 v11, 31, v10
	v_lshlrev_b64 v[2:3], 3, v[10:11]
	v_mov_b32_e32 v4, s23
	v_add_co_u32_e32 v2, vcc, s22, v2
	v_addc_co_u32_e32 v3, vcc, v4, v3, vcc
	global_load_dwordx2 v[2:3], v[2:3], off
	s_and_b64 vcc, exec, s[0:1]
	v_mov_b32_e32 v4, s24
	s_waitcnt vmcnt(0) lgkmcnt(0)
	v_mul_f64 v[2:3], v[2:3], v[6:7]
	ds_write_b64 v1, v[2:3] offset:4096
	v_mov_b32_e32 v2, s28
	s_cbranch_vccnz .LBB13_126
; %bb.123:
	s_mov_b64 s[2:3], 0
	v_mov_b32_e32 v4, s24
	v_mov_b32_e32 v2, s28
	;; [unrolled: 1-line block ×3, first 2 shown]
.LBB13_124:                             ; =>This Inner Loop Header: Depth=1
	v_add_u32_e32 v5, v2, v4
	v_lshrrev_b32_e32 v6, 31, v5
	v_add_u32_e32 v5, v5, v6
	v_ashrrev_i32_e32 v6, 1, v5
	v_ashrrev_i32_e32 v7, 31, v6
	v_lshlrev_b64 v[10:11], 2, v[6:7]
	v_add_co_u32_e32 v10, vcc, s16, v10
	v_addc_co_u32_e32 v11, vcc, v3, v11, vcc
	global_load_dword v5, v[10:11], off
	s_waitcnt vmcnt(0)
	v_subrev_u32_e32 v5, s26, v5
	v_cmp_gt_i32_e32 vcc, v5, v18
	v_cndmask_b32_e32 v2, v2, v6, vcc
	v_cndmask_b32_e32 v4, v6, v4, vcc
	v_add_u32_e32 v5, -1, v2
	v_cmp_ge_i32_e32 vcc, v4, v2
	v_cmp_eq_u32_e64 s[0:1], v4, v5
	s_or_b64 s[0:1], vcc, s[0:1]
	s_and_b64 s[0:1], exec, s[0:1]
	s_or_b64 s[2:3], s[0:1], s[2:3]
	s_andn2_b64 exec, exec, s[2:3]
	s_cbranch_execnz .LBB13_124
; %bb.125:
	s_or_b64 exec, exec, s[2:3]
.LBB13_126:
	v_ashrrev_i32_e32 v3, 31, v2
	v_lshlrev_b64 v[6:7], 2, v[2:3]
	v_mov_b32_e32 v3, s17
	v_add_co_u32_e32 v6, vcc, s16, v6
	v_addc_co_u32_e32 v7, vcc, v3, v7, vcc
	global_load_dword v3, v[6:7], off
	global_load_dword v5, v[8:9], off offset:3072
                                        ; implicit-def: $vgpr6_vgpr7
	s_waitcnt vmcnt(1)
	v_subrev_u32_e32 v3, s26, v3
	v_cmp_gt_i32_e32 vcc, v3, v18
	v_cndmask_b32_e32 v2, v2, v4, vcc
	s_waitcnt vmcnt(0)
	v_subrev_u32_e32 v8, s26, v5
	v_cmp_ne_u32_e32 vcc, v8, v2
	s_and_saveexec_b64 s[0:1], vcc
	s_xor_b64 s[2:3], exec, s[0:1]
	s_cbranch_execz .LBB13_136
; %bb.127:
	s_load_dword s0, s[10:11], 0x0
	ds_read_b64 v[6:7], v1 offset:6144
	s_waitcnt lgkmcnt(0)
	s_sub_i32 s0, s0, s26
	v_cmp_gt_i32_e32 vcc, s0, v18
	s_and_saveexec_b64 s[10:11], vcc
	s_cbranch_execz .LBB13_135
; %bb.128:
	v_ashrrev_i32_e32 v3, 31, v2
	v_lshlrev_b64 v[2:3], 3, v[2:3]
	v_mov_b32_e32 v4, s23
	v_add_co_u32_e32 v2, vcc, s22, v2
	v_addc_co_u32_e32 v3, vcc, v4, v3, vcc
	global_load_dwordx2 v[2:3], v[2:3], off
	v_cmp_gt_i32_e32 vcc, s33, v8
	v_cmp_le_i32_e64 s[0:1], s25, v8
	s_or_b64 s[0:1], vcc, s[0:1]
	s_waitcnt vmcnt(0)
	v_mul_f64 v[10:11], v[6:7], v[2:3]
	s_and_saveexec_b64 s[12:13], s[0:1]
	s_xor_b64 s[0:1], exec, s[12:13]
	s_cbranch_execz .LBB13_132
; %bb.129:
	v_ashrrev_i32_e32 v9, 31, v8
	v_lshlrev_b64 v[2:3], 3, v[8:9]
	v_mov_b32_e32 v4, s15
	v_add_co_u32_e32 v12, vcc, s14, v2
	v_addc_co_u32_e32 v13, vcc, v4, v3, vcc
	global_load_dwordx2 v[4:5], v[12:13], off
	s_mov_b64 s[12:13], 0
.LBB13_130:                             ; =>This Inner Loop Header: Depth=1
	s_waitcnt vmcnt(0)
	v_add_f64 v[2:3], v[4:5], v[10:11]
	global_atomic_cmpswap_x2 v[2:3], v[12:13], v[2:5], off glc
	s_waitcnt vmcnt(0)
	v_cmp_eq_u64_e32 vcc, v[2:3], v[4:5]
	s_or_b64 s[12:13], vcc, s[12:13]
	v_pk_mov_b32 v[4:5], v[2:3], v[2:3] op_sel:[0,1]
	s_andn2_b64 exec, exec, s[12:13]
	s_cbranch_execnz .LBB13_130
; %bb.131:
	s_or_b64 exec, exec, s[12:13]
                                        ; implicit-def: $vgpr10_vgpr11
.LBB13_132:
	s_andn2_saveexec_b64 s[0:1], s[0:1]
	s_cbranch_execz .LBB13_134
; %bb.133:
	v_subrev_u32_e32 v2, s33, v8
	v_mov_b32_e32 v3, 0x2000
	v_lshl_add_u32 v2, v2, 3, v3
	ds_add_f64 v2, v[10:11]
.LBB13_134:
	s_or_b64 exec, exec, s[0:1]
.LBB13_135:
	s_or_b64 exec, exec, s[10:11]
.LBB13_136:
	s_andn2_saveexec_b64 s[0:1], s[2:3]
	s_cbranch_execz .LBB13_138
; %bb.137:
	ds_read_b64 v[6:7], v1 offset:6144
.LBB13_138:
	s_or_b64 exec, exec, s[0:1]
	v_ashrrev_i32_e32 v9, 31, v8
	v_lshlrev_b64 v[2:3], 3, v[8:9]
	v_mov_b32_e32 v4, s23
	v_add_co_u32_e32 v2, vcc, s22, v2
	v_addc_co_u32_e32 v3, vcc, v4, v3, vcc
	global_load_dwordx2 v[2:3], v[2:3], off
	s_waitcnt vmcnt(0) lgkmcnt(0)
	v_mul_f64 v[2:3], v[2:3], v[6:7]
	ds_write_b64 v1, v[2:3] offset:6144
.LBB13_139:
	s_or_b64 exec, exec, s[4:5]
	s_min_i32 s9, s25, s9
	s_sub_i32 s10, s9, s27
	v_cmp_gt_i32_e32 vcc, s10, v0
	s_waitcnt lgkmcnt(0)
	s_barrier
	s_and_saveexec_b64 s[0:1], vcc
	s_cbranch_execz .LBB13_144
; %bb.140:
	s_mov_b64 s[2:3], 0
	v_mov_b32_e32 v10, s15
	v_mov_b32_e32 v11, 0x2000
	;; [unrolled: 1-line block ×3, first 2 shown]
.LBB13_141:                             ; =>This Loop Header: Depth=1
                                        ;     Child Loop BB13_142 Depth 2
	v_add_u32_e32 v2, s33, v12
	v_ashrrev_i32_e32 v3, 31, v2
	v_lshlrev_b64 v[2:3], 3, v[2:3]
	v_add_co_u32_e32 v6, vcc, s14, v2
	v_addc_co_u32_e32 v7, vcc, v10, v3, vcc
	global_load_dwordx2 v[4:5], v[6:7], off
	v_lshl_add_u32 v2, v12, 3, v11
	ds_read_b64 v[8:9], v2
	s_mov_b64 s[4:5], 0
.LBB13_142:                             ;   Parent Loop BB13_141 Depth=1
                                        ; =>  This Inner Loop Header: Depth=2
	s_waitcnt vmcnt(0) lgkmcnt(0)
	v_add_f64 v[2:3], v[4:5], v[8:9]
	global_atomic_cmpswap_x2 v[2:3], v[6:7], v[2:5], off glc
	s_waitcnt vmcnt(0)
	v_cmp_eq_u64_e32 vcc, v[2:3], v[4:5]
	s_or_b64 s[4:5], vcc, s[4:5]
	v_pk_mov_b32 v[4:5], v[2:3], v[2:3] op_sel:[0,1]
	s_andn2_b64 exec, exec, s[4:5]
	s_cbranch_execnz .LBB13_142
; %bb.143:                              ;   in Loop: Header=BB13_141 Depth=1
	s_or_b64 exec, exec, s[4:5]
	v_add_u32_e32 v12, 0x100, v12
	v_cmp_le_i32_e32 vcc, s10, v12
	s_or_b64 s[2:3], vcc, s[2:3]
	s_andn2_b64 exec, exec, s[2:3]
	s_cbranch_execnz .LBB13_141
.LBB13_144:
	s_or_b64 exec, exec, s[0:1]
	s_mul_i32 s0, s8, s27
	s_sub_i32 s0, s31, s0
	s_add_i32 s1, s8, 1
	s_sub_i32 s2, s0, s27
	s_cmp_ge_u32 s0, s27
	s_cselect_b32 s1, s1, s8
	s_cselect_b32 s0, s2, s0
	s_add_i32 s2, s1, 1
	s_cmp_ge_u32 s0, s27
	s_cselect_b32 s0, s2, s1
	s_add_i32 s0, s0, -1
	s_ashr_i32 s1, s0, 1
	s_or_b32 s0, s1, s0
	s_ashr_i32 s1, s0, 2
	s_or_b32 s0, s1, s0
	;; [unrolled: 2-line block ×5, first 2 shown]
	s_add_i32 s11, s11, 1
	s_ashr_i32 s12, s11, 1
	v_add_u32_e32 v6, s24, v0
	s_cmp_gt_i32 s12, 1
	s_mov_b64 s[0:1], -1
	s_barrier
	s_cbranch_scc1 .LBB13_155
; %bb.145:
	v_cmp_gt_i32_e32 vcc, s25, v6
	s_and_saveexec_b64 s[0:1], vcc
	s_cbranch_execz .LBB13_154
; %bb.146:
	s_sub_i32 s2, s9, s25
	s_lshl_b32 s2, s2, 3
	s_add_i32 s13, s2, 0x2000
	s_lshl_b32 s2, s30, 3
	s_sub_i32 s18, 0, s2
	s_mov_b64 s[2:3], 0
	v_mov_b32_e32 v7, s17
	v_mov_b32_e32 v14, s15
	;; [unrolled: 1-line block ×3, first 2 shown]
.LBB13_147:                             ; =>This Loop Header: Depth=1
                                        ;     Child Loop BB13_149 Depth 2
                                        ;     Child Loop BB13_152 Depth 2
	v_ashrrev_i32_e32 v9, 31, v8
	v_lshlrev_b64 v[2:3], 2, v[8:9]
	v_add_co_u32_e32 v2, vcc, s16, v2
	v_addc_co_u32_e32 v3, vcc, v7, v3, vcc
	global_load_dwordx2 v[4:5], v[2:3], off
	v_pk_mov_b32 v[2:3], 0, 0
	s_waitcnt vmcnt(0)
	v_cmp_lt_i32_e32 vcc, v4, v5
	s_and_saveexec_b64 s[4:5], vcc
	s_cbranch_execz .LBB13_151
; %bb.148:                              ;   in Loop: Header=BB13_147 Depth=1
	v_subrev_u32_e32 v5, s30, v5
	v_subrev_u32_e32 v10, s30, v4
	v_lshl_add_u32 v4, v4, 3, s18
	s_mov_b64 s[8:9], 0
	v_pk_mov_b32 v[2:3], 0, 0
.LBB13_149:                             ;   Parent Loop BB13_147 Depth=1
                                        ; =>  This Inner Loop Header: Depth=2
	ds_read_b64 v[12:13], v4
	v_add_u32_e32 v10, 1, v10
	v_cmp_ge_i32_e32 vcc, v10, v5
	v_add_u32_e32 v4, 8, v4
	s_or_b64 s[8:9], vcc, s[8:9]
	s_waitcnt lgkmcnt(0)
	v_add_f64 v[2:3], v[2:3], v[12:13]
	s_andn2_b64 exec, exec, s[8:9]
	s_cbranch_execnz .LBB13_149
; %bb.150:                              ;   in Loop: Header=BB13_147 Depth=1
	s_or_b64 exec, exec, s[8:9]
.LBB13_151:                             ;   in Loop: Header=BB13_147 Depth=1
	s_or_b64 exec, exec, s[4:5]
	v_lshlrev_b64 v[4:5], 3, v[8:9]
	v_add_co_u32_e32 v10, vcc, s14, v4
	v_addc_co_u32_e32 v11, vcc, v14, v5, vcc
	global_load_dwordx2 v[4:5], v[10:11], off
	v_lshl_add_u32 v9, v8, 3, s13
	ds_read_b64 v[12:13], v9
	s_mov_b64 s[4:5], 0
	s_waitcnt lgkmcnt(0)
	v_add_f64 v[12:13], v[2:3], v[12:13]
.LBB13_152:                             ;   Parent Loop BB13_147 Depth=1
                                        ; =>  This Inner Loop Header: Depth=2
	s_waitcnt vmcnt(0)
	v_add_f64 v[2:3], v[4:5], v[12:13]
	global_atomic_cmpswap_x2 v[2:3], v[10:11], v[2:5], off glc
	s_waitcnt vmcnt(0)
	v_cmp_eq_u64_e32 vcc, v[2:3], v[4:5]
	s_or_b64 s[4:5], vcc, s[4:5]
	v_pk_mov_b32 v[4:5], v[2:3], v[2:3] op_sel:[0,1]
	s_andn2_b64 exec, exec, s[4:5]
	s_cbranch_execnz .LBB13_152
; %bb.153:                              ;   in Loop: Header=BB13_147 Depth=1
	s_or_b64 exec, exec, s[4:5]
	v_add_u32_e32 v8, s31, v8
	v_cmp_le_i32_e32 vcc, s25, v8
	s_or_b64 s[2:3], vcc, s[2:3]
	s_andn2_b64 exec, exec, s[2:3]
	s_cbranch_execnz .LBB13_147
.LBB13_154:
	s_or_b64 exec, exec, s[0:1]
	s_mov_b64 s[0:1], 0
.LBB13_155:
	s_andn2_b64 vcc, exec, s[0:1]
	s_cbranch_vccnz .LBB13_180
; %bb.156:
	v_cvt_f32_u32_e32 v2, s12
	s_sub_i32 s0, 0, s12
	v_pk_mov_b32 v[8:9], 0, 0
	v_rcp_iflag_f32_e32 v2, v2
	v_mul_f32_e32 v2, 0x4f7ffffe, v2
	v_cvt_u32_f32_e32 v2, v2
	v_mul_lo_u32 v3, s0, v2
	v_mul_hi_u32 v3, v2, v3
	v_add_u32_e32 v2, v2, v3
	v_mul_hi_u32 v2, v0, v2
	v_mul_lo_u32 v3, v2, s12
	v_sub_u32_e32 v3, v0, v3
	v_add_u32_e32 v4, 1, v2
	v_cmp_le_u32_e32 vcc, s12, v3
	v_cndmask_b32_e32 v2, v2, v4, vcc
	v_subrev_u32_e32 v4, s12, v3
	v_cndmask_b32_e32 v3, v3, v4, vcc
	v_add_u32_e32 v4, 1, v2
	v_cmp_le_u32_e32 vcc, s12, v3
	v_cndmask_b32_e32 v2, v2, v4, vcc
	v_lshlrev_b32_e32 v3, 2, v2
	global_load_dwordx2 v[4:5], v3, s[6:7]
	v_cmp_gt_i32_e32 vcc, s27, v2
	s_and_saveexec_b64 s[0:1], vcc
	s_cbranch_execz .LBB13_170
; %bb.157:
	s_abs_i32 s4, s12
	v_cvt_f32_u32_e32 v3, s4
	s_waitcnt vmcnt(0)
	v_subrev_u32_e32 v2, s30, v4
	v_subrev_u32_e32 v5, s30, v5
	v_sub_u32_e32 v7, v5, v2
	v_rcp_iflag_f32_e32 v3, v3
	s_sub_i32 s2, 0, s4
	v_sub_u32_e32 v8, 0, v7
	v_ashrrev_i32_e32 v10, 31, v7
	v_mul_f32_e32 v3, 0x4f7ffffe, v3
	v_cvt_u32_f32_e32 v3, v3
	v_max_i32_e32 v7, v7, v8
	s_ashr_i32 s5, s12, 31
	v_mul_lo_u32 v8, s2, v3
	v_mul_hi_u32 v8, v3, v8
	v_add_u32_e32 v3, v3, v8
	v_mad_u64_u32 v[8:9], s[2:3], v7, v3, 0
	v_mul_lo_u32 v8, v9, s4
	v_sub_u32_e32 v7, v7, v8
	v_add_u32_e32 v8, 1, v9
	v_cmp_le_u32_e32 vcc, s4, v7
	v_cndmask_b32_e32 v8, v9, v8, vcc
	v_subrev_u32_e32 v9, s4, v7
	v_cndmask_b32_e32 v7, v7, v9, vcc
	v_add_u32_e32 v9, 1, v8
	v_cmp_le_u32_e32 vcc, s4, v7
	v_xor_b32_e32 v3, s5, v10
	v_cndmask_b32_e32 v7, v8, v9, vcc
	v_xor_b32_e32 v7, v7, v3
	v_sub_u32_e32 v3, v7, v3
	s_add_i32 s2, s12, -1
	v_and_b32_e32 v7, s2, v0
	v_cmp_lt_i32_e32 vcc, 0, v3
	v_pk_mov_b32 v[8:9], 0, 0
	s_and_saveexec_b64 s[2:3], vcc
	s_cbranch_execz .LBB13_167
; %bb.158:
	v_cmp_lt_u32_e32 vcc, 7, v3
	v_mov_b32_e32 v10, 0
	v_pk_mov_b32 v[8:9], 0, 0
	s_and_saveexec_b64 s[4:5], vcc
	s_cbranch_execz .LBB13_162
; %bb.159:
	v_add_u32_e32 v8, v4, v7
	v_subrev_u32_e32 v8, s30, v8
	v_and_b32_e32 v10, 0x7ffffff8, v3
	v_lshlrev_b32_e32 v11, 3, v8
	s_lshl_b32 s8, s12, 6
	s_lshl_b32 s9, s12, 3
	s_mov_b32 s13, 0
	s_mov_b64 s[6:7], 0
	v_pk_mov_b32 v[8:9], 0, 0
.LBB13_160:                             ; =>This Inner Loop Header: Depth=1
	ds_read_b64 v[12:13], v11
	v_add_u32_e32 v14, s9, v11
	v_add_u32_e32 v16, s9, v14
	ds_read_b64 v[14:15], v14
	v_add_u32_e32 v18, s9, v16
	ds_read_b64 v[16:17], v16
	;; [unrolled: 2-line block ×3, first 2 shown]
	ds_read_b64 v[20:21], v22
	v_add_u32_e32 v22, s9, v22
	s_waitcnt lgkmcnt(4)
	v_add_f64 v[8:9], v[8:9], v[12:13]
	v_add_u32_e32 v23, s9, v22
	ds_read_b64 v[12:13], v22
	s_waitcnt lgkmcnt(4)
	v_add_f64 v[8:9], v[8:9], v[14:15]
	ds_read_b64 v[14:15], v23
	v_add_u32_e32 v22, s9, v23
	s_waitcnt lgkmcnt(4)
	v_add_f64 v[8:9], v[8:9], v[16:17]
	ds_read_b64 v[16:17], v22
	s_waitcnt lgkmcnt(4)
	v_add_f64 v[8:9], v[8:9], v[18:19]
	s_waitcnt lgkmcnt(3)
	v_add_f64 v[8:9], v[8:9], v[20:21]
	s_add_i32 s13, s13, 8
	s_waitcnt lgkmcnt(2)
	v_add_f64 v[8:9], v[8:9], v[12:13]
	v_cmp_eq_u32_e32 vcc, s13, v10
	s_waitcnt lgkmcnt(1)
	v_add_f64 v[8:9], v[8:9], v[14:15]
	v_add_u32_e32 v11, s8, v11
	s_or_b64 s[6:7], vcc, s[6:7]
	s_waitcnt lgkmcnt(0)
	v_add_f64 v[8:9], v[8:9], v[16:17]
	s_andn2_b64 exec, exec, s[6:7]
	s_cbranch_execnz .LBB13_160
; %bb.161:
	s_or_b64 exec, exec, s[6:7]
.LBB13_162:
	s_or_b64 exec, exec, s[4:5]
	v_and_b32_e32 v11, 7, v3
	v_cmp_ne_u32_e32 vcc, 0, v11
	s_and_saveexec_b64 s[4:5], vcc
	s_cbranch_execz .LBB13_166
; %bb.163:
	v_mul_lo_u32 v10, v10, s12
	v_add3_u32 v4, v4, v7, v10
	v_subrev_u32_e32 v4, s30, v4
	v_lshlrev_b32_e32 v4, 3, v4
	s_lshl_b32 s8, s12, 3
	s_mov_b64 s[6:7], 0
.LBB13_164:                             ; =>This Inner Loop Header: Depth=1
	ds_read_b64 v[12:13], v4
	v_add_u32_e32 v11, -1, v11
	v_cmp_eq_u32_e32 vcc, 0, v11
	v_add_u32_e32 v4, s8, v4
	s_or_b64 s[6:7], vcc, s[6:7]
	s_waitcnt lgkmcnt(0)
	v_add_f64 v[8:9], v[8:9], v[12:13]
	s_andn2_b64 exec, exec, s[6:7]
	s_cbranch_execnz .LBB13_164
; %bb.165:
	s_or_b64 exec, exec, s[6:7]
.LBB13_166:
	s_or_b64 exec, exec, s[4:5]
.LBB13_167:
	s_or_b64 exec, exec, s[2:3]
	v_mad_u64_u32 v[2:3], s[2:3], v3, s12, v[2:3]
	v_sub_u32_e32 v3, v5, v2
	v_cmp_lt_i32_e32 vcc, v7, v3
	s_and_saveexec_b64 s[2:3], vcc
	s_cbranch_execz .LBB13_169
; %bb.168:
	v_add_lshl_u32 v2, v2, v7, 3
	ds_read_b64 v[2:3], v2
	s_waitcnt lgkmcnt(0)
	v_add_f64 v[8:9], v[8:9], v[2:3]
.LBB13_169:
	s_or_b64 exec, exec, s[2:3]
.LBB13_170:
	s_or_b64 exec, exec, s[0:1]
	v_cmp_gt_i32_e32 vcc, s27, v0
	s_barrier
	ds_write_b64 v1, v[8:9]
	s_waitcnt lgkmcnt(0)
	s_barrier
	s_and_b64 exec, exec, vcc
	s_cbranch_execz .LBB13_180
; %bb.171:
	s_cmp_lt_u32 s12, 8
	v_mul_lo_u32 v1, s12, v0
	s_cbranch_scc1 .LBB13_174
; %bb.172:
	s_and_b32 s0, s12, 0x7ffffff8
	v_lshlrev_b32_e32 v2, 3, v1
	s_mov_b32 s1, 0
	s_waitcnt vmcnt(0)
	v_pk_mov_b32 v[4:5], 0, 0
.LBB13_173:                             ; =>This Inner Loop Header: Depth=1
	ds_read2_b64 v[8:11], v2 offset1:1
	ds_read2_b64 v[12:15], v2 offset0:2 offset1:3
	ds_read2_b64 v[16:19], v2 offset0:4 offset1:5
	;; [unrolled: 1-line block ×3, first 2 shown]
	s_add_i32 s1, s1, 8
	s_waitcnt lgkmcnt(3)
	v_add_f64 v[4:5], v[4:5], v[8:9]
	v_add_f64 v[4:5], v[4:5], v[10:11]
	s_waitcnt lgkmcnt(2)
	v_add_f64 v[4:5], v[4:5], v[12:13]
	v_add_f64 v[4:5], v[4:5], v[14:15]
	;; [unrolled: 3-line block ×3, first 2 shown]
	s_waitcnt lgkmcnt(0)
	v_add_f64 v[4:5], v[4:5], v[20:21]
	v_add_u32_e32 v2, 64, v2
	s_cmp_eq_u32 s0, s1
	v_add_f64 v[4:5], v[4:5], v[22:23]
	s_cbranch_scc0 .LBB13_173
	s_branch .LBB13_175
.LBB13_174:
	s_mov_b32 s0, 0
	s_waitcnt vmcnt(0)
	v_pk_mov_b32 v[4:5], 0, 0
.LBB13_175:
	s_bfe_u32 s1, s11, 0x30001
	s_cmp_eq_u32 s1, 0
	s_cbranch_scc1 .LBB13_178
; %bb.176:
	v_add_lshl_u32 v1, s0, v1, 3
.LBB13_177:                             ; =>This Inner Loop Header: Depth=1
	ds_read_b64 v[2:3], v1
	s_add_i32 s1, s1, -1
	v_add_u32_e32 v1, 8, v1
	s_cmp_lg_u32 s1, 0
	s_waitcnt lgkmcnt(0)
	v_add_f64 v[4:5], v[4:5], v[2:3]
	s_cbranch_scc1 .LBB13_177
.LBB13_178:
	v_ashrrev_i32_e32 v7, 31, v6
	v_lshlrev_b64 v[2:3], 3, v[6:7]
	v_mov_b32_e32 v1, s15
	v_add_co_u32_e32 v6, vcc, s14, v2
	v_addc_co_u32_e32 v7, vcc, v1, v3, vcc
	global_load_dwordx2 v[2:3], v[6:7], off
	s_lshl_b32 s0, s10, 3
	s_addk_i32 s0, 0x2000
	v_lshl_add_u32 v0, v0, 3, s0
	ds_read_b64 v[0:1], v0
	s_mov_b64 s[0:1], 0
	s_waitcnt lgkmcnt(0)
	v_add_f64 v[4:5], v[4:5], v[0:1]
.LBB13_179:                             ; =>This Inner Loop Header: Depth=1
	s_waitcnt vmcnt(0)
	v_add_f64 v[0:1], v[2:3], v[4:5]
	global_atomic_cmpswap_x2 v[0:1], v[6:7], v[0:3], off glc
	s_waitcnt vmcnt(0)
	v_cmp_eq_u64_e32 vcc, v[0:1], v[2:3]
	s_or_b64 s[0:1], vcc, s[0:1]
	v_pk_mov_b32 v[2:3], v[0:1], v[0:1] op_sel:[0,1]
	s_andn2_b64 exec, exec, s[0:1]
	s_cbranch_execnz .LBB13_179
.LBB13_180:
	s_endpgm
	.section	.rodata,"a",@progbits
	.p2align	6, 0x0
	.amdhsa_kernel _ZN9rocsparseL27csrmvn_symm_adaptive_kernelIiiddddEEvbT_S1_PKS1_NS_24const_host_device_scalarIT4_EES3_PKT0_PKT1_PKT2_S6_PT3_21rocsparse_index_base_b
		.amdhsa_group_segment_fixed_size 8192
		.amdhsa_private_segment_fixed_size 0
		.amdhsa_kernarg_size 344
		.amdhsa_user_sgpr_count 6
		.amdhsa_user_sgpr_private_segment_buffer 1
		.amdhsa_user_sgpr_dispatch_ptr 0
		.amdhsa_user_sgpr_queue_ptr 0
		.amdhsa_user_sgpr_kernarg_segment_ptr 1
		.amdhsa_user_sgpr_dispatch_id 0
		.amdhsa_user_sgpr_flat_scratch_init 0
		.amdhsa_user_sgpr_kernarg_preload_length 0
		.amdhsa_user_sgpr_kernarg_preload_offset 0
		.amdhsa_user_sgpr_private_segment_size 0
		.amdhsa_uses_dynamic_stack 0
		.amdhsa_system_sgpr_private_segment_wavefront_offset 0
		.amdhsa_system_sgpr_workgroup_id_x 1
		.amdhsa_system_sgpr_workgroup_id_y 0
		.amdhsa_system_sgpr_workgroup_id_z 0
		.amdhsa_system_sgpr_workgroup_info 0
		.amdhsa_system_vgpr_workitem_id 0
		.amdhsa_next_free_vgpr 24
		.amdhsa_next_free_sgpr 42
		.amdhsa_accum_offset 24
		.amdhsa_reserve_vcc 1
		.amdhsa_reserve_flat_scratch 0
		.amdhsa_float_round_mode_32 0
		.amdhsa_float_round_mode_16_64 0
		.amdhsa_float_denorm_mode_32 3
		.amdhsa_float_denorm_mode_16_64 3
		.amdhsa_dx10_clamp 1
		.amdhsa_ieee_mode 1
		.amdhsa_fp16_overflow 0
		.amdhsa_tg_split 0
		.amdhsa_exception_fp_ieee_invalid_op 0
		.amdhsa_exception_fp_denorm_src 0
		.amdhsa_exception_fp_ieee_div_zero 0
		.amdhsa_exception_fp_ieee_overflow 0
		.amdhsa_exception_fp_ieee_underflow 0
		.amdhsa_exception_fp_ieee_inexact 0
		.amdhsa_exception_int_div_zero 0
	.end_amdhsa_kernel
	.section	.text._ZN9rocsparseL27csrmvn_symm_adaptive_kernelIiiddddEEvbT_S1_PKS1_NS_24const_host_device_scalarIT4_EES3_PKT0_PKT1_PKT2_S6_PT3_21rocsparse_index_base_b,"axG",@progbits,_ZN9rocsparseL27csrmvn_symm_adaptive_kernelIiiddddEEvbT_S1_PKS1_NS_24const_host_device_scalarIT4_EES3_PKT0_PKT1_PKT2_S6_PT3_21rocsparse_index_base_b,comdat
.Lfunc_end13:
	.size	_ZN9rocsparseL27csrmvn_symm_adaptive_kernelIiiddddEEvbT_S1_PKS1_NS_24const_host_device_scalarIT4_EES3_PKT0_PKT1_PKT2_S6_PT3_21rocsparse_index_base_b, .Lfunc_end13-_ZN9rocsparseL27csrmvn_symm_adaptive_kernelIiiddddEEvbT_S1_PKS1_NS_24const_host_device_scalarIT4_EES3_PKT0_PKT1_PKT2_S6_PT3_21rocsparse_index_base_b
                                        ; -- End function
	.section	.AMDGPU.csdata,"",@progbits
; Kernel info:
; codeLenInByte = 7068
; NumSgprs: 46
; NumVgprs: 24
; NumAgprs: 0
; TotalNumVgprs: 24
; ScratchSize: 0
; MemoryBound: 0
; FloatMode: 240
; IeeeMode: 1
; LDSByteSize: 8192 bytes/workgroup (compile time only)
; SGPRBlocks: 5
; VGPRBlocks: 2
; NumSGPRsForWavesPerEU: 46
; NumVGPRsForWavesPerEU: 24
; AccumOffset: 24
; Occupancy: 8
; WaveLimiterHint : 1
; COMPUTE_PGM_RSRC2:SCRATCH_EN: 0
; COMPUTE_PGM_RSRC2:USER_SGPR: 6
; COMPUTE_PGM_RSRC2:TRAP_HANDLER: 0
; COMPUTE_PGM_RSRC2:TGID_X_EN: 1
; COMPUTE_PGM_RSRC2:TGID_Y_EN: 0
; COMPUTE_PGM_RSRC2:TGID_Z_EN: 0
; COMPUTE_PGM_RSRC2:TIDIG_COMP_CNT: 0
; COMPUTE_PGM_RSRC3_GFX90A:ACCUM_OFFSET: 5
; COMPUTE_PGM_RSRC3_GFX90A:TG_SPLIT: 0
	.section	.text._ZL33csrmvn_symm_large_adaptive_kernelIiiddddEvbT_PKS0_N9rocsparse24const_host_device_scalarIT4_EES2_PKT0_PKT1_PKT2_S6_PT3_21rocsparse_index_base_b,"axG",@progbits,_ZL33csrmvn_symm_large_adaptive_kernelIiiddddEvbT_PKS0_N9rocsparse24const_host_device_scalarIT4_EES2_PKT0_PKT1_PKT2_S6_PT3_21rocsparse_index_base_b,comdat
	.globl	_ZL33csrmvn_symm_large_adaptive_kernelIiiddddEvbT_PKS0_N9rocsparse24const_host_device_scalarIT4_EES2_PKT0_PKT1_PKT2_S6_PT3_21rocsparse_index_base_b ; -- Begin function _ZL33csrmvn_symm_large_adaptive_kernelIiiddddEvbT_PKS0_N9rocsparse24const_host_device_scalarIT4_EES2_PKT0_PKT1_PKT2_S6_PT3_21rocsparse_index_base_b
	.p2align	8
	.type	_ZL33csrmvn_symm_large_adaptive_kernelIiiddddEvbT_PKS0_N9rocsparse24const_host_device_scalarIT4_EES2_PKT0_PKT1_PKT2_S6_PT3_21rocsparse_index_base_b,@function
_ZL33csrmvn_symm_large_adaptive_kernelIiiddddEvbT_PKS0_N9rocsparse24const_host_device_scalarIT4_EES2_PKT0_PKT1_PKT2_S6_PT3_21rocsparse_index_base_b: ; @_ZL33csrmvn_symm_large_adaptive_kernelIiiddddEvbT_PKS0_N9rocsparse24const_host_device_scalarIT4_EES2_PKT0_PKT1_PKT2_S6_PT3_21rocsparse_index_base_b
; %bb.0:
	s_load_dwordx2 s[20:21], s[4:5], 0x48
	s_load_dwordx2 s[8:9], s[4:5], 0x10
	;; [unrolled: 1-line block ×3, first 2 shown]
	s_waitcnt lgkmcnt(0)
	s_bitcmp1_b32 s21, 0
	s_cselect_b64 s[10:11], -1, 0
	s_xor_b64 s[2:3], s[10:11], -1
	s_and_b64 vcc, exec, s[10:11]
	v_pk_mov_b32 v[4:5], s[8:9], s[8:9] op_sel:[0,1]
	s_cbranch_vccnz .LBB14_2
; %bb.1:
	v_pk_mov_b32 v[2:3], s[8:9], s[8:9] op_sel:[0,1]
	flat_load_dwordx2 v[4:5], v[2:3]
.LBB14_2:
	s_andn2_b64 vcc, exec, s[2:3]
	v_pk_mov_b32 v[2:3], s[0:1], s[0:1] op_sel:[0,1]
	s_cbranch_vccnz .LBB14_4
; %bb.3:
	v_pk_mov_b32 v[2:3], s[0:1], s[0:1] op_sel:[0,1]
	flat_load_dwordx2 v[2:3], v[2:3]
.LBB14_4:
	s_waitcnt vmcnt(0) lgkmcnt(0)
	v_cmp_neq_f64_e32 vcc, 0, v[4:5]
	v_cmp_neq_f64_e64 s[0:1], 1.0, v[2:3]
	s_or_b64 s[0:1], vcc, s[0:1]
	s_and_saveexec_b64 s[2:3], s[0:1]
	s_cbranch_execz .LBB14_41
; %bb.5:
	s_load_dwordx2 s[0:1], s[4:5], 0x8
	s_mov_b32 s2, 0
	s_mov_b32 s3, s2
	s_ashr_i32 s7, s6, 31
	v_pk_mov_b32 v[2:3], s[2:3], s[2:3] op_sel:[0,1]
	s_lshl_b64 s[2:3], s[6:7], 2
	s_waitcnt lgkmcnt(0)
	s_add_u32 s0, s0, s2
	v_lshlrev_b32_e32 v10, 3, v0
	s_addc_u32 s1, s1, s3
	ds_write2st64_b64 v10, v[2:3], v[2:3] offset1:4
	ds_write2st64_b64 v10, v[2:3], v[2:3] offset0:8 offset1:12
	s_waitcnt lgkmcnt(0)
	s_barrier
	s_load_dwordx2 s[22:23], s[0:1], 0x0
	s_load_dwordx8 s[12:19], s[4:5], 0x18
	s_load_dwordx2 s[24:25], s[4:5], 0x40
	s_waitcnt lgkmcnt(0)
	s_cmp_lt_i32 s22, s23
	s_cbranch_scc1 .LBB14_7
; %bb.6:
	s_ashr_i32 s1, s22, 31
	s_mov_b32 s0, s22
	s_lshl_b64 s[0:1], s[0:1], 2
	s_add_u32 s0, s12, s0
	s_addc_u32 s1, s13, s1
	s_load_dword s21, s[0:1], 0x0
	v_subrev_u32_e32 v11, s20, v0
	s_cbranch_execz .LBB14_8
	s_branch .LBB14_31
.LBB14_7:
                                        ; implicit-def: $sgpr21
	v_subrev_u32_e32 v11, s20, v0
.LBB14_8:
	s_ashr_i32 s11, s22, 31
	s_mov_b32 s10, s22
	s_lshl_b64 s[10:11], s[10:11], 2
	s_add_u32 s10, s12, s10
	s_addc_u32 s11, s13, s11
	s_waitcnt lgkmcnt(0)
	s_load_dword s21, s[10:11], 0x0
	s_movk_i32 s0, 0x100
	s_add_u32 s33, s12, 4
	v_cmp_gt_u32_e64 s[0:1], s0, v0
	v_cmp_gt_u32_e64 s[2:3], 64, v0
	;; [unrolled: 1-line block ×4, first 2 shown]
	v_cmp_eq_u32_e64 s[8:9], 0, v0
	s_addc_u32 s34, s13, 0
	v_mov_b32_e32 v12, s19
	v_mov_b32_e32 v13, 0
	s_waitcnt lgkmcnt(0)
	s_mov_b32 s35, s21
	s_mov_b32 s26, s22
	s_branch .LBB14_10
.LBB14_9:                               ;   in Loop: Header=BB14_10 Depth=1
	s_or_b64 exec, exec, s[10:11]
	s_add_i32 s26, s26, 1
	s_cmp_ge_i32 s26, s23
	s_cbranch_scc1 .LBB14_31
.LBB14_10:                              ; =>This Loop Header: Depth=1
                                        ;     Child Loop BB14_12 Depth 2
                                        ;     Child Loop BB14_26 Depth 2
	;; [unrolled: 1-line block ×3, first 2 shown]
	s_ashr_i32 s27, s26, 31
	s_lshl_b64 s[10:11], s[26:27], 2
	s_add_u32 s10, s33, s10
	s_addc_u32 s11, s34, s11
	s_mov_b32 s28, s35
	s_load_dword s35, s[10:11], 0x0
	v_add_u32_e32 v0, s28, v11
	v_pk_mov_b32 v[2:3], 0, 0
	s_waitcnt lgkmcnt(0)
	s_sub_i32 s36, s35, s20
	v_cmp_gt_i32_e32 vcc, s36, v0
	s_and_saveexec_b64 s[28:29], vcc
	s_cbranch_execz .LBB14_14
; %bb.11:                               ;   in Loop: Header=BB14_10 Depth=1
	v_ashrrev_i32_e32 v1, 31, v0
	v_lshlrev_b64 v[2:3], 2, v[0:1]
	v_mov_b32_e32 v7, s15
	v_add_co_u32_e32 v6, vcc, s14, v2
	v_addc_co_u32_e32 v7, vcc, v7, v3, vcc
	v_lshlrev_b64 v[2:3], 3, v[0:1]
	v_mov_b32_e32 v1, s17
	v_add_co_u32_e32 v8, vcc, s16, v2
	v_addc_co_u32_e32 v9, vcc, v1, v3, vcc
	s_mov_b64 s[30:31], 0
	v_pk_mov_b32 v[2:3], 0, 0
.LBB14_12:                              ;   Parent Loop BB14_10 Depth=1
                                        ; =>  This Inner Loop Header: Depth=2
	global_load_dword v1, v[6:7], off
	global_load_dwordx2 v[14:15], v[8:9], off
	v_add_u32_e32 v0, 0x100, v0
	v_cmp_le_i32_e64 s[10:11], s36, v0
	s_or_b64 s[30:31], s[10:11], s[30:31]
	s_waitcnt vmcnt(1)
	v_subrev_u32_e32 v16, s20, v1
	v_ashrrev_i32_e32 v17, 31, v16
	v_lshlrev_b64 v[16:17], 3, v[16:17]
	v_add_co_u32_e32 v16, vcc, s18, v16
	v_addc_co_u32_e32 v17, vcc, v12, v17, vcc
	global_load_dwordx2 v[16:17], v[16:17], off
	v_add_co_u32_e32 v6, vcc, 0x400, v6
	v_addc_co_u32_e32 v7, vcc, 0, v7, vcc
	v_add_co_u32_e32 v8, vcc, 0x800, v8
	v_addc_co_u32_e32 v9, vcc, 0, v9, vcc
	s_waitcnt vmcnt(0)
	v_fmac_f64_e32 v[2:3], v[14:15], v[16:17]
	s_andn2_b64 exec, exec, s[30:31]
	s_cbranch_execnz .LBB14_12
; %bb.13:                               ;   in Loop: Header=BB14_10 Depth=1
	s_or_b64 exec, exec, s[30:31]
.LBB14_14:                              ;   in Loop: Header=BB14_10 Depth=1
	s_or_b64 exec, exec, s[28:29]
	ds_write_b64 v10, v[2:3]
	s_waitcnt lgkmcnt(0)
	s_barrier
	s_and_saveexec_b64 s[10:11], s[0:1]
	s_cbranch_execz .LBB14_16
; %bb.15:                               ;   in Loop: Header=BB14_10 Depth=1
	ds_read2st64_b64 v[0:3], v10 offset1:4
	ds_read2st64_b64 v[6:9], v10 offset0:8 offset1:12
	s_waitcnt lgkmcnt(0)
	v_add_f64 v[2:3], v[2:3], v[6:7]
	v_add_f64 v[2:3], v[2:3], v[8:9]
	v_add_f64 v[0:1], v[0:1], v[2:3]
	ds_write_b64 v10, v[0:1]
.LBB14_16:                              ;   in Loop: Header=BB14_10 Depth=1
	s_or_b64 exec, exec, s[10:11]
	s_waitcnt lgkmcnt(0)
	s_barrier
	s_and_saveexec_b64 s[10:11], s[2:3]
	s_cbranch_execz .LBB14_18
; %bb.17:                               ;   in Loop: Header=BB14_10 Depth=1
	ds_read2st64_b64 v[0:3], v10 offset1:1
	ds_read2st64_b64 v[6:9], v10 offset0:2 offset1:3
	s_waitcnt lgkmcnt(0)
	v_add_f64 v[2:3], v[2:3], v[6:7]
	v_add_f64 v[2:3], v[2:3], v[8:9]
	;; [unrolled: 1-line block ×3, first 2 shown]
	ds_write_b64 v10, v[0:1]
.LBB14_18:                              ;   in Loop: Header=BB14_10 Depth=1
	s_or_b64 exec, exec, s[10:11]
	s_waitcnt lgkmcnt(0)
	s_barrier
	s_and_saveexec_b64 s[10:11], s[4:5]
	s_cbranch_execz .LBB14_20
; %bb.19:                               ;   in Loop: Header=BB14_10 Depth=1
	ds_read2_b64 v[0:3], v10 offset1:16
	ds_read2_b64 v[6:9], v10 offset0:32 offset1:48
	s_waitcnt lgkmcnt(0)
	v_add_f64 v[2:3], v[2:3], v[6:7]
	v_add_f64 v[2:3], v[2:3], v[8:9]
	;; [unrolled: 1-line block ×3, first 2 shown]
	ds_write_b64 v10, v[0:1]
.LBB14_20:                              ;   in Loop: Header=BB14_10 Depth=1
	s_or_b64 exec, exec, s[10:11]
	s_waitcnt lgkmcnt(0)
	s_barrier
	s_and_saveexec_b64 s[10:11], s[6:7]
	s_cbranch_execz .LBB14_22
; %bb.21:                               ;   in Loop: Header=BB14_10 Depth=1
	ds_read2_b64 v[0:3], v10 offset1:4
	ds_read2_b64 v[6:9], v10 offset0:8 offset1:12
	s_waitcnt lgkmcnt(0)
	v_add_f64 v[2:3], v[2:3], v[6:7]
	v_add_f64 v[2:3], v[2:3], v[8:9]
	;; [unrolled: 1-line block ×3, first 2 shown]
	ds_write_b64 v10, v[0:1]
.LBB14_22:                              ;   in Loop: Header=BB14_10 Depth=1
	s_or_b64 exec, exec, s[10:11]
	s_waitcnt lgkmcnt(0)
	s_barrier
	s_and_saveexec_b64 s[10:11], s[8:9]
	s_cbranch_execz .LBB14_24
; %bb.23:                               ;   in Loop: Header=BB14_10 Depth=1
	ds_read2_b64 v[0:3], v13 offset0:1 offset1:2
	ds_read_b64 v[6:7], v13 offset:24
	ds_read_b64 v[8:9], v10
	s_waitcnt lgkmcnt(2)
	v_add_f64 v[0:1], v[0:1], v[2:3]
	s_waitcnt lgkmcnt(1)
	v_add_f64 v[0:1], v[0:1], v[6:7]
	;; [unrolled: 2-line block ×3, first 2 shown]
	ds_write_b64 v10, v[0:1]
.LBB14_24:                              ;   in Loop: Header=BB14_10 Depth=1
	s_or_b64 exec, exec, s[10:11]
	s_waitcnt lgkmcnt(0)
	s_barrier
	s_and_saveexec_b64 s[10:11], s[8:9]
	s_cbranch_execz .LBB14_9
; %bb.25:                               ;   in Loop: Header=BB14_10 Depth=1
	ds_read_b64 v[0:1], v13
	v_mov_b32_e32 v6, 0
	s_mov_b64 s[28:29], exec
	v_bfrev_b32_e32 v7, 1
	s_waitcnt lgkmcnt(0)
	v_mul_f64 v[0:1], v[4:5], v[0:1]
.LBB14_26:                              ;   Parent Loop BB14_10 Depth=1
                                        ; =>  This Inner Loop Header: Depth=2
	s_ff1_i32_b64 s36, s[28:29]
	v_readlane_b32 s31, v1, s36
	v_readlane_b32 s30, v0, s36
	s_lshl_b64 s[36:37], 1, s36
	s_andn2_b64 s[28:29], s[28:29], s[36:37]
	s_cmp_lg_u64 s[28:29], 0
	v_add_f64 v[6:7], v[6:7], s[30:31]
	s_cbranch_scc1 .LBB14_26
; %bb.27:                               ;   in Loop: Header=BB14_10 Depth=1
	v_mbcnt_lo_u32_b32 v0, exec_lo, 0
	v_mbcnt_hi_u32_b32 v0, exec_hi, v0
	v_cmp_eq_u32_e32 vcc, 0, v0
	s_and_saveexec_b64 s[28:29], vcc
	s_xor_b64 s[28:29], exec, s[28:29]
	s_cbranch_execz .LBB14_9
; %bb.28:                               ;   in Loop: Header=BB14_10 Depth=1
	s_lshl_b64 s[28:29], s[26:27], 3
	s_add_u32 s28, s24, s28
	s_addc_u32 s29, s25, s29
	global_load_dwordx2 v[2:3], v13, s[28:29]
	s_mov_b64 s[30:31], 0
.LBB14_29:                              ;   Parent Loop BB14_10 Depth=1
                                        ; =>  This Inner Loop Header: Depth=2
	s_waitcnt vmcnt(0)
	v_add_f64 v[0:1], v[2:3], v[6:7]
	global_atomic_cmpswap_x2 v[0:1], v13, v[0:3], s[28:29] glc
	s_waitcnt vmcnt(0)
	v_cmp_eq_u64_e32 vcc, v[0:1], v[2:3]
	s_or_b64 s[30:31], vcc, s[30:31]
	v_pk_mov_b32 v[2:3], v[0:1], v[0:1] op_sel:[0,1]
	s_andn2_b64 exec, exec, s[30:31]
	s_cbranch_execnz .LBB14_29
; %bb.30:                               ;   in Loop: Header=BB14_10 Depth=1
	s_or_b64 exec, exec, s[30:31]
	s_branch .LBB14_9
.LBB14_31:
	s_ashr_i32 s1, s23, 31
	s_mov_b32 s0, s23
	s_lshl_b64 s[0:1], s[0:1], 2
	s_add_u32 s0, s12, s0
	s_addc_u32 s1, s13, s1
	s_load_dword s0, s[0:1], 0x0
	s_waitcnt lgkmcnt(0)
	v_add_u32_e32 v6, s21, v11
	s_sub_i32 s8, s0, s20
	v_cmp_gt_i32_e32 vcc, s8, v6
	s_and_b64 exec, exec, vcc
	s_cbranch_execz .LBB14_41
; %bb.32:
	s_add_i32 s9, s23, -1
	s_cmp_gt_i32 s9, s22
	s_cselect_b64 s[0:1], -1, 0
	s_add_i32 s2, s23, -2
	s_cmp_lg_u32 s2, s22
	s_cselect_b64 s[2:3], -1, 0
	s_and_b64 s[0:1], s[0:1], s[2:3]
	v_cndmask_b32_e64 v0, 0, 1, s[0:1]
	s_mov_b64 s[4:5], 0
	v_cmp_ne_u32_e64 s[0:1], 1, v0
	v_mov_b32_e32 v12, s13
	v_mov_b32_e32 v13, s15
	s_branch .LBB14_34
.LBB14_33:                              ;   in Loop: Header=BB14_34 Depth=1
	s_or_b64 exec, exec, s[2:3]
	v_add_u32_e32 v6, 0x100, v6
	v_cmp_le_i32_e32 vcc, s8, v6
	s_or_b64 s[4:5], vcc, s[4:5]
	s_andn2_b64 exec, exec, s[4:5]
	s_cbranch_execz .LBB14_41
.LBB14_34:                              ; =>This Loop Header: Depth=1
                                        ;     Child Loop BB14_36 Depth 2
                                        ;     Child Loop BB14_40 Depth 2
	s_and_b64 vcc, exec, s[0:1]
	v_mov_b32_e32 v2, s22
	v_mov_b32_e32 v0, s9
	s_cbranch_vccnz .LBB14_38
; %bb.35:                               ;   in Loop: Header=BB14_34 Depth=1
	s_mov_b64 s[6:7], 0
	v_mov_b32_e32 v2, s22
	v_mov_b32_e32 v0, s9
.LBB14_36:                              ;   Parent Loop BB14_34 Depth=1
                                        ; =>  This Inner Loop Header: Depth=2
	v_add_u32_e32 v1, v0, v2
	v_lshrrev_b32_e32 v7, 31, v1
	v_add_u32_e32 v1, v1, v7
	v_ashrrev_i32_e32 v8, 1, v1
	v_ashrrev_i32_e32 v9, 31, v8
	v_lshlrev_b64 v[10:11], 2, v[8:9]
	v_mov_b32_e32 v3, s13
	v_add_co_u32_e32 v10, vcc, s12, v10
	v_addc_co_u32_e32 v11, vcc, v3, v11, vcc
	global_load_dword v1, v[10:11], off
	s_waitcnt vmcnt(0)
	v_subrev_u32_e32 v1, s20, v1
	v_cmp_gt_i32_e32 vcc, v1, v6
	v_cndmask_b32_e32 v0, v0, v8, vcc
	v_cndmask_b32_e32 v2, v8, v2, vcc
	v_add_u32_e32 v1, -1, v0
	v_cmp_ge_i32_e32 vcc, v2, v0
	v_cmp_eq_u32_e64 s[2:3], v2, v1
	s_or_b64 s[2:3], vcc, s[2:3]
	s_and_b64 s[2:3], exec, s[2:3]
	s_or_b64 s[6:7], s[2:3], s[6:7]
	s_andn2_b64 exec, exec, s[6:7]
	s_cbranch_execnz .LBB14_36
; %bb.37:                               ;   in Loop: Header=BB14_34 Depth=1
	s_or_b64 exec, exec, s[6:7]
.LBB14_38:                              ;   in Loop: Header=BB14_34 Depth=1
	v_ashrrev_i32_e32 v1, 31, v0
	v_lshlrev_b64 v[8:9], 2, v[0:1]
	v_add_co_u32_e32 v8, vcc, s12, v8
	v_addc_co_u32_e32 v9, vcc, v12, v9, vcc
	v_ashrrev_i32_e32 v7, 31, v6
	global_load_dword v1, v[8:9], off
	v_lshlrev_b64 v[8:9], 2, v[6:7]
	v_add_co_u32_e32 v8, vcc, s14, v8
	v_addc_co_u32_e32 v9, vcc, v13, v9, vcc
	global_load_dword v3, v[8:9], off
	s_waitcnt vmcnt(1)
	v_subrev_u32_e32 v1, s20, v1
	v_cmp_gt_i32_e32 vcc, v1, v6
	v_cndmask_b32_e32 v0, v0, v2, vcc
	s_waitcnt vmcnt(0)
	v_subrev_u32_e32 v2, s20, v3
	v_cmp_ne_u32_e32 vcc, v2, v0
	s_and_saveexec_b64 s[2:3], vcc
	s_cbranch_execz .LBB14_33
; %bb.39:                               ;   in Loop: Header=BB14_34 Depth=1
	v_lshlrev_b64 v[8:9], 3, v[6:7]
	v_mov_b32_e32 v1, s17
	v_add_co_u32_e32 v8, vcc, s16, v8
	v_addc_co_u32_e32 v9, vcc, v1, v9, vcc
	v_ashrrev_i32_e32 v1, 31, v0
	v_lshlrev_b64 v[0:1], 3, v[0:1]
	v_ashrrev_i32_e32 v3, 31, v2
	v_mov_b32_e32 v7, s19
	v_add_co_u32_e32 v0, vcc, s18, v0
	v_lshlrev_b64 v[2:3], 3, v[2:3]
	v_addc_co_u32_e32 v1, vcc, v7, v1, vcc
	v_mov_b32_e32 v14, s25
	global_load_dwordx2 v[10:11], v[8:9], off
	v_add_co_u32_e32 v8, vcc, s24, v2
	global_load_dwordx2 v[0:1], v[0:1], off
	v_addc_co_u32_e32 v9, vcc, v14, v3, vcc
	global_load_dwordx2 v[2:3], v[8:9], off
	s_mov_b64 s[6:7], 0
	s_waitcnt vmcnt(2)
	v_mul_f64 v[10:11], v[4:5], v[10:11]
	s_waitcnt vmcnt(1)
	v_mul_f64 v[10:11], v[10:11], v[0:1]
.LBB14_40:                              ;   Parent Loop BB14_34 Depth=1
                                        ; =>  This Inner Loop Header: Depth=2
	s_waitcnt vmcnt(0)
	v_add_f64 v[0:1], v[2:3], v[10:11]
	global_atomic_cmpswap_x2 v[0:1], v[8:9], v[0:3], off glc
	s_waitcnt vmcnt(0)
	v_cmp_eq_u64_e32 vcc, v[0:1], v[2:3]
	s_or_b64 s[6:7], vcc, s[6:7]
	v_pk_mov_b32 v[2:3], v[0:1], v[0:1] op_sel:[0,1]
	s_andn2_b64 exec, exec, s[6:7]
	s_cbranch_execnz .LBB14_40
	s_branch .LBB14_33
.LBB14_41:
	s_endpgm
	.section	.rodata,"a",@progbits
	.p2align	6, 0x0
	.amdhsa_kernel _ZL33csrmvn_symm_large_adaptive_kernelIiiddddEvbT_PKS0_N9rocsparse24const_host_device_scalarIT4_EES2_PKT0_PKT1_PKT2_S6_PT3_21rocsparse_index_base_b
		.amdhsa_group_segment_fixed_size 8192
		.amdhsa_private_segment_fixed_size 0
		.amdhsa_kernarg_size 80
		.amdhsa_user_sgpr_count 6
		.amdhsa_user_sgpr_private_segment_buffer 1
		.amdhsa_user_sgpr_dispatch_ptr 0
		.amdhsa_user_sgpr_queue_ptr 0
		.amdhsa_user_sgpr_kernarg_segment_ptr 1
		.amdhsa_user_sgpr_dispatch_id 0
		.amdhsa_user_sgpr_flat_scratch_init 0
		.amdhsa_user_sgpr_kernarg_preload_length 0
		.amdhsa_user_sgpr_kernarg_preload_offset 0
		.amdhsa_user_sgpr_private_segment_size 0
		.amdhsa_uses_dynamic_stack 0
		.amdhsa_system_sgpr_private_segment_wavefront_offset 0
		.amdhsa_system_sgpr_workgroup_id_x 1
		.amdhsa_system_sgpr_workgroup_id_y 0
		.amdhsa_system_sgpr_workgroup_id_z 0
		.amdhsa_system_sgpr_workgroup_info 0
		.amdhsa_system_vgpr_workitem_id 0
		.amdhsa_next_free_vgpr 18
		.amdhsa_next_free_sgpr 38
		.amdhsa_accum_offset 20
		.amdhsa_reserve_vcc 1
		.amdhsa_reserve_flat_scratch 0
		.amdhsa_float_round_mode_32 0
		.amdhsa_float_round_mode_16_64 0
		.amdhsa_float_denorm_mode_32 3
		.amdhsa_float_denorm_mode_16_64 3
		.amdhsa_dx10_clamp 1
		.amdhsa_ieee_mode 1
		.amdhsa_fp16_overflow 0
		.amdhsa_tg_split 0
		.amdhsa_exception_fp_ieee_invalid_op 0
		.amdhsa_exception_fp_denorm_src 0
		.amdhsa_exception_fp_ieee_div_zero 0
		.amdhsa_exception_fp_ieee_overflow 0
		.amdhsa_exception_fp_ieee_underflow 0
		.amdhsa_exception_fp_ieee_inexact 0
		.amdhsa_exception_int_div_zero 0
	.end_amdhsa_kernel
	.section	.text._ZL33csrmvn_symm_large_adaptive_kernelIiiddddEvbT_PKS0_N9rocsparse24const_host_device_scalarIT4_EES2_PKT0_PKT1_PKT2_S6_PT3_21rocsparse_index_base_b,"axG",@progbits,_ZL33csrmvn_symm_large_adaptive_kernelIiiddddEvbT_PKS0_N9rocsparse24const_host_device_scalarIT4_EES2_PKT0_PKT1_PKT2_S6_PT3_21rocsparse_index_base_b,comdat
.Lfunc_end14:
	.size	_ZL33csrmvn_symm_large_adaptive_kernelIiiddddEvbT_PKS0_N9rocsparse24const_host_device_scalarIT4_EES2_PKT0_PKT1_PKT2_S6_PT3_21rocsparse_index_base_b, .Lfunc_end14-_ZL33csrmvn_symm_large_adaptive_kernelIiiddddEvbT_PKS0_N9rocsparse24const_host_device_scalarIT4_EES2_PKT0_PKT1_PKT2_S6_PT3_21rocsparse_index_base_b
                                        ; -- End function
	.section	.AMDGPU.csdata,"",@progbits
; Kernel info:
; codeLenInByte = 1776
; NumSgprs: 42
; NumVgprs: 18
; NumAgprs: 0
; TotalNumVgprs: 18
; ScratchSize: 0
; MemoryBound: 0
; FloatMode: 240
; IeeeMode: 1
; LDSByteSize: 8192 bytes/workgroup (compile time only)
; SGPRBlocks: 5
; VGPRBlocks: 2
; NumSGPRsForWavesPerEU: 42
; NumVGPRsForWavesPerEU: 18
; AccumOffset: 20
; Occupancy: 8
; WaveLimiterHint : 1
; COMPUTE_PGM_RSRC2:SCRATCH_EN: 0
; COMPUTE_PGM_RSRC2:USER_SGPR: 6
; COMPUTE_PGM_RSRC2:TRAP_HANDLER: 0
; COMPUTE_PGM_RSRC2:TGID_X_EN: 1
; COMPUTE_PGM_RSRC2:TGID_Y_EN: 0
; COMPUTE_PGM_RSRC2:TGID_Z_EN: 0
; COMPUTE_PGM_RSRC2:TIDIG_COMP_CNT: 0
; COMPUTE_PGM_RSRC3_GFX90A:ACCUM_OFFSET: 4
; COMPUTE_PGM_RSRC3_GFX90A:TG_SPLIT: 0
	.section	.text._ZN9rocsparseL22csrmvn_adaptive_kernelIliddddEEvbT_PKS1_PjPKT0_NS_24const_host_device_scalarIT4_EES3_S7_PKT1_PKT2_SA_PT3_21rocsparse_index_base_b,"axG",@progbits,_ZN9rocsparseL22csrmvn_adaptive_kernelIliddddEEvbT_PKS1_PjPKT0_NS_24const_host_device_scalarIT4_EES3_S7_PKT1_PKT2_SA_PT3_21rocsparse_index_base_b,comdat
	.globl	_ZN9rocsparseL22csrmvn_adaptive_kernelIliddddEEvbT_PKS1_PjPKT0_NS_24const_host_device_scalarIT4_EES3_S7_PKT1_PKT2_SA_PT3_21rocsparse_index_base_b ; -- Begin function _ZN9rocsparseL22csrmvn_adaptive_kernelIliddddEEvbT_PKS1_PjPKT0_NS_24const_host_device_scalarIT4_EES3_S7_PKT1_PKT2_SA_PT3_21rocsparse_index_base_b
	.p2align	8
	.type	_ZN9rocsparseL22csrmvn_adaptive_kernelIliddddEEvbT_PKS1_PjPKT0_NS_24const_host_device_scalarIT4_EES3_S7_PKT1_PKT2_SA_PT3_21rocsparse_index_base_b,@function
_ZN9rocsparseL22csrmvn_adaptive_kernelIliddddEEvbT_PKS1_PjPKT0_NS_24const_host_device_scalarIT4_EES3_S7_PKT1_PKT2_SA_PT3_21rocsparse_index_base_b: ; @_ZN9rocsparseL22csrmvn_adaptive_kernelIliddddEEvbT_PKS1_PjPKT0_NS_24const_host_device_scalarIT4_EES3_S7_PKT1_PKT2_SA_PT3_21rocsparse_index_base_b
; %bb.0:
	s_load_dwordx2 s[44:45], s[4:5], 0x60
	s_load_dwordx2 s[8:9], s[4:5], 0x28
	;; [unrolled: 1-line block ×3, first 2 shown]
	s_waitcnt lgkmcnt(0)
	s_bitcmp1_b32 s45, 0
	s_cselect_b64 s[10:11], -1, 0
	s_xor_b64 s[2:3], s[10:11], -1
	s_and_b64 vcc, exec, s[10:11]
	v_pk_mov_b32 v[8:9], s[8:9], s[8:9] op_sel:[0,1]
	s_cbranch_vccnz .LBB15_2
; %bb.1:
	v_pk_mov_b32 v[2:3], s[8:9], s[8:9] op_sel:[0,1]
	flat_load_dwordx2 v[8:9], v[2:3]
.LBB15_2:
	s_andn2_b64 vcc, exec, s[2:3]
	v_pk_mov_b32 v[6:7], s[0:1], s[0:1] op_sel:[0,1]
	s_cbranch_vccnz .LBB15_4
; %bb.3:
	v_pk_mov_b32 v[2:3], s[0:1], s[0:1] op_sel:[0,1]
	flat_load_dwordx2 v[6:7], v[2:3]
.LBB15_4:
	s_waitcnt vmcnt(0) lgkmcnt(0)
	v_cmp_neq_f64_e32 vcc, 0, v[8:9]
	v_cmp_neq_f64_e64 s[0:1], 1.0, v[6:7]
	s_or_b64 s[0:1], vcc, s[0:1]
	s_and_saveexec_b64 s[2:3], s[0:1]
	s_cbranch_execz .LBB15_116
; %bb.5:
	s_load_dwordx2 s[0:1], s[4:5], 0x10
	s_load_dwordx2 s[8:9], s[4:5], 0x20
	s_ashr_i32 s7, s6, 31
	s_lshl_b64 s[2:3], s[6:7], 3
	s_waitcnt lgkmcnt(0)
	s_add_u32 s0, s0, s2
	s_addc_u32 s1, s1, s3
	s_load_dwordx4 s[36:39], s[0:1], 0x0
	s_load_dwordx2 s[34:35], s[4:5], 0x58
	s_load_dwordx8 s[24:31], s[4:5], 0x30
	s_lshl_b64 s[48:49], s[6:7], 2
	s_waitcnt lgkmcnt(0)
	s_sub_i32 s2, s38, s36
	s_add_u32 s0, s8, s48
	s_addc_u32 s1, s9, s49
	s_lshl_b64 s[46:47], s[36:37], 3
	s_add_u32 s40, s24, s46
	s_addc_u32 s41, s25, s47
	s_load_dword s33, s[0:1], 0x0
	s_load_dwordx2 s[42:43], s[40:41], 0x0
	s_cmp_lt_i32 s2, 2
	s_mov_b64 s[0:1], -1
	s_cbranch_scc0 .LBB15_72
; %bb.6:
	s_cmp_lg_u32 s2, 1
	s_cselect_b64 s[0:1], -1, 0
	s_waitcnt lgkmcnt(0)
	s_cmp_lg_u32 s33, 0
	s_cselect_b64 s[2:3], -1, 0
	s_or_b64 s[2:3], s[0:1], s[2:3]
	s_mov_b64 s[0:1], -1
	s_and_b64 vcc, exec, s[2:3]
	s_cbranch_vccnz .LBB15_35
; %bb.7:
	v_pk_mov_b32 v[2:3], s[36:37], s[36:37] op_sel:[0,1]
	v_cmp_le_i64_e32 vcc, s[38:39], v[2:3]
	s_cbranch_vccnz .LBB15_34
; %bb.8:
	v_subrev_co_u32_e32 v1, vcc, s44, v0
	v_subb_co_u32_e64 v16, s[0:1], 0, 0, vcc
	s_movk_i32 s0, 0x80
	s_add_u32 s7, s24, 8
	v_lshlrev_b32_e32 v17, 3, v0
	v_cmp_gt_u32_e64 s[0:1], s0, v0
	v_cmp_gt_u32_e64 s[2:3], 64, v0
	;; [unrolled: 1-line block ×7, first 2 shown]
	v_cmp_eq_u32_e64 s[18:19], 0, v0
	v_cmp_neq_f64_e64 s[20:21], 0, v[6:7]
	s_addc_u32 s45, s25, 0
	v_mov_b32_e32 v18, s31
	s_movk_i32 s62, 0x100
	v_mov_b32_e32 v19, 0
	v_pk_mov_b32 v[2:3], s[38:39], s[38:39] op_sel:[0,1]
	s_mov_b64 s[52:53], s[42:43]
	s_mov_b64 s[50:51], s[36:37]
	s_branch .LBB15_11
.LBB15_9:                               ;   in Loop: Header=BB15_11 Depth=1
	s_or_b64 exec, exec, s[56:57]
	s_add_u32 s54, s34, s54
	s_addc_u32 s55, s35, s55
	s_waitcnt lgkmcnt(0)
	global_store_dwordx2 v19, v[4:5], s[54:55]
.LBB15_10:                              ;   in Loop: Header=BB15_11 Depth=1
	s_or_b64 exec, exec, s[22:23]
	s_add_u32 s50, s50, 1
	s_addc_u32 s51, s51, 0
	v_cmp_ge_i64_e32 vcc, s[50:51], v[2:3]
	s_cbranch_vccnz .LBB15_34
.LBB15_11:                              ; =>This Loop Header: Depth=1
                                        ;     Child Loop BB15_13 Depth 2
	s_lshl_b64 s[54:55], s[50:51], 3
	s_mov_b64 s[22:23], s[52:53]
	s_add_u32 s52, s7, s54
	s_addc_u32 s53, s45, s55
	s_load_dwordx2 s[52:53], s[52:53], 0x0
	v_mov_b32_e32 v5, s23
	v_add_co_u32_e32 v4, vcc, s22, v1
	v_addc_co_u32_e32 v5, vcc, v5, v16, vcc
	s_waitcnt lgkmcnt(0)
	s_sub_u32 s56, s52, s44
	s_subb_u32 s57, s53, 0
	v_cmp_gt_i64_e32 vcc, s[56:57], v[4:5]
	v_pk_mov_b32 v[10:11], 0, 0
	s_and_saveexec_b64 s[58:59], vcc
	s_cbranch_execz .LBB15_15
; %bb.12:                               ;   in Loop: Header=BB15_11 Depth=1
	v_lshlrev_b64 v[10:11], 3, v[4:5]
	v_mov_b32_e32 v13, s29
	v_add_co_u32_e32 v12, vcc, s28, v10
	v_addc_co_u32_e32 v13, vcc, v13, v11, vcc
	v_lshlrev_b64 v[10:11], 2, v[4:5]
	v_mov_b32_e32 v15, s27
	v_add_co_u32_e32 v14, vcc, s26, v10
	v_addc_co_u32_e32 v15, vcc, v15, v11, vcc
	s_mov_b64 s[60:61], 0
	v_pk_mov_b32 v[10:11], 0, 0
.LBB15_13:                              ;   Parent Loop BB15_11 Depth=1
                                        ; =>  This Inner Loop Header: Depth=2
	global_load_dword v22, v[14:15], off
	global_load_dwordx2 v[20:21], v[12:13], off
	s_waitcnt vmcnt(1)
	v_subrev_u32_e32 v22, s44, v22
	v_ashrrev_i32_e32 v23, 31, v22
	v_lshlrev_b64 v[22:23], 3, v[22:23]
	v_add_co_u32_e32 v22, vcc, s30, v22
	v_addc_co_u32_e32 v23, vcc, v18, v23, vcc
	global_load_dwordx2 v[22:23], v[22:23], off
	v_add_co_u32_e32 v4, vcc, s62, v4
	v_addc_co_u32_e32 v5, vcc, 0, v5, vcc
	v_add_co_u32_e32 v12, vcc, 0x800, v12
	v_addc_co_u32_e32 v13, vcc, 0, v13, vcc
	v_add_co_u32_e32 v14, vcc, 0x400, v14
	v_cmp_le_i64_e64 s[22:23], s[56:57], v[4:5]
	s_waitcnt vmcnt(1)
	v_mul_f64 v[20:21], v[8:9], v[20:21]
	v_addc_co_u32_e32 v15, vcc, 0, v15, vcc
	s_or_b64 s[60:61], s[22:23], s[60:61]
	s_waitcnt vmcnt(0)
	v_fmac_f64_e32 v[10:11], v[20:21], v[22:23]
	s_andn2_b64 exec, exec, s[60:61]
	s_cbranch_execnz .LBB15_13
; %bb.14:                               ;   in Loop: Header=BB15_11 Depth=1
	s_or_b64 exec, exec, s[60:61]
.LBB15_15:                              ;   in Loop: Header=BB15_11 Depth=1
	s_or_b64 exec, exec, s[58:59]
	ds_write_b64 v17, v[10:11]
	s_waitcnt lgkmcnt(0)
	s_barrier
	s_and_saveexec_b64 s[22:23], s[0:1]
	s_cbranch_execz .LBB15_17
; %bb.16:                               ;   in Loop: Header=BB15_11 Depth=1
	ds_read2st64_b64 v[10:13], v17 offset1:2
	s_waitcnt lgkmcnt(0)
	v_add_f64 v[4:5], v[10:11], v[12:13]
	ds_write_b64 v17, v[4:5]
.LBB15_17:                              ;   in Loop: Header=BB15_11 Depth=1
	s_or_b64 exec, exec, s[22:23]
	s_waitcnt lgkmcnt(0)
	s_barrier
	s_and_saveexec_b64 s[22:23], s[2:3]
	s_cbranch_execz .LBB15_19
; %bb.18:                               ;   in Loop: Header=BB15_11 Depth=1
	ds_read2st64_b64 v[10:13], v17 offset1:1
	s_waitcnt lgkmcnt(0)
	v_add_f64 v[4:5], v[10:11], v[12:13]
	ds_write_b64 v17, v[4:5]
.LBB15_19:                              ;   in Loop: Header=BB15_11 Depth=1
	s_or_b64 exec, exec, s[22:23]
	s_waitcnt lgkmcnt(0)
	s_barrier
	s_and_saveexec_b64 s[22:23], s[8:9]
	s_cbranch_execz .LBB15_21
; %bb.20:                               ;   in Loop: Header=BB15_11 Depth=1
	ds_read2_b64 v[10:13], v17 offset1:32
	s_waitcnt lgkmcnt(0)
	v_add_f64 v[4:5], v[10:11], v[12:13]
	ds_write_b64 v17, v[4:5]
.LBB15_21:                              ;   in Loop: Header=BB15_11 Depth=1
	s_or_b64 exec, exec, s[22:23]
	s_waitcnt lgkmcnt(0)
	s_barrier
	s_and_saveexec_b64 s[22:23], s[10:11]
	s_cbranch_execz .LBB15_23
; %bb.22:                               ;   in Loop: Header=BB15_11 Depth=1
	ds_read2_b64 v[10:13], v17 offset1:16
	s_waitcnt lgkmcnt(0)
	v_add_f64 v[4:5], v[10:11], v[12:13]
	ds_write_b64 v17, v[4:5]
.LBB15_23:                              ;   in Loop: Header=BB15_11 Depth=1
	;; [unrolled: 11-line block ×5, first 2 shown]
	s_or_b64 exec, exec, s[22:23]
	s_waitcnt lgkmcnt(0)
	s_barrier
	s_and_saveexec_b64 s[22:23], s[18:19]
	s_cbranch_execz .LBB15_31
; %bb.30:                               ;   in Loop: Header=BB15_11 Depth=1
	ds_read_b128 v[10:13], v19
	s_waitcnt lgkmcnt(0)
	v_add_f64 v[4:5], v[10:11], v[12:13]
	ds_write_b64 v19, v[4:5]
.LBB15_31:                              ;   in Loop: Header=BB15_11 Depth=1
	s_or_b64 exec, exec, s[22:23]
	s_waitcnt lgkmcnt(0)
	s_barrier
	s_and_saveexec_b64 s[22:23], s[18:19]
	s_cbranch_execz .LBB15_10
; %bb.32:                               ;   in Loop: Header=BB15_11 Depth=1
	ds_read_b64 v[4:5], v19
	s_and_saveexec_b64 s[56:57], s[20:21]
	s_cbranch_execz .LBB15_9
; %bb.33:                               ;   in Loop: Header=BB15_11 Depth=1
	s_add_u32 s58, s34, s54
	s_addc_u32 s59, s35, s55
	global_load_dwordx2 v[10:11], v19, s[58:59]
	s_waitcnt vmcnt(0) lgkmcnt(0)
	v_fmac_f64_e32 v[4:5], v[6:7], v[10:11]
	s_branch .LBB15_9
.LBB15_34:
	s_mov_b64 s[0:1], 0
.LBB15_35:
	s_andn2_b64 vcc, exec, s[0:1]
	s_cbranch_vccnz .LBB15_71
; %bb.36:
	s_load_dwordx2 s[8:9], s[4:5], 0x18
	s_sub_i32 s6, s6, s33
	v_or_b32_e32 v1, s33, v0
	v_cmp_eq_u32_e32 vcc, 0, v1
	v_pk_mov_b32 v[2:3], 0, 0
	s_waitcnt lgkmcnt(0)
	s_add_u32 s2, s8, s48
	s_addc_u32 s3, s9, s49
	s_load_dword s16, s[2:3], 0x0
	s_and_saveexec_b64 s[0:1], vcc
	s_cbranch_execz .LBB15_40
; %bb.37:
	s_add_u32 s10, s34, s46
	s_addc_u32 s11, s35, s47
	s_load_dwordx2 s[10:11], s[10:11], 0x0
	s_mov_b64 s[12:13], exec
	v_mbcnt_lo_u32_b32 v1, s12, 0
	v_mbcnt_hi_u32_b32 v1, s13, v1
	v_add_f64 v[2:3], v[6:7], -1.0
	v_cmp_eq_u32_e32 vcc, 0, v1
	s_waitcnt vmcnt(0) expcnt(0) lgkmcnt(0)
	s_and_saveexec_b64 s[14:15], vcc
	s_cbranch_execz .LBB15_39
; %bb.38:
	s_ashr_i32 s7, s6, 31
	s_lshl_b64 s[18:19], s[6:7], 2
	s_add_u32 s18, s8, s18
	s_addc_u32 s19, s9, s19
	s_bcnt1_i32_b64 s7, s[12:13]
	s_and_b32 s7, s7, 1
	v_mov_b32_e32 v1, 0
	v_mov_b32_e32 v4, s7
	global_atomic_xor v1, v4, s[18:19]
.LBB15_39:
	s_or_b64 exec, exec, s[14:15]
	v_mul_f64 v[2:3], v[2:3], s[10:11]
.LBB15_40:
	s_or_b64 exec, exec, s[0:1]
	s_load_dwordx2 s[0:1], s[40:41], 0x8
	s_sub_u32 s11, s42, s44
	s_mul_i32 s7, s33, 0xc00
	s_subb_u32 s12, s43, 0
	s_mul_hi_i32 s10, s33, 0xc00
	s_add_u32 s7, s11, s7
	s_addc_u32 s12, s12, s10
	s_waitcnt lgkmcnt(0)
	s_sub_u32 s0, s0, s44
	v_mov_b32_e32 v1, s12
	v_add_co_u32_e32 v4, vcc, s7, v0
	s_subb_u32 s1, s1, 0
	v_addc_co_u32_e32 v5, vcc, 0, v1, vcc
	v_cmp_gt_i64_e32 vcc, s[0:1], v[4:5]
	s_and_saveexec_b64 s[10:11], vcc
	s_cbranch_execz .LBB15_44
; %bb.41:
	s_add_u32 s14, s7, 0xc00
	s_addc_u32 s15, s12, 0
	v_pk_mov_b32 v[10:11], s[0:1], s[0:1] op_sel:[0,1]
	v_cmp_lt_i64_e32 vcc, s[14:15], v[10:11]
	v_lshlrev_b64 v[10:11], 3, v[4:5]
	s_and_b64 s[12:13], vcc, exec
	v_mov_b32_e32 v1, s29
	v_add_co_u32_e32 v10, vcc, s28, v10
	v_addc_co_u32_e32 v11, vcc, v1, v11, vcc
	v_lshlrev_b64 v[12:13], 2, v[4:5]
	v_mov_b32_e32 v1, s27
	v_add_co_u32_e32 v12, vcc, s26, v12
	s_cselect_b32 s13, s15, s1
	s_cselect_b32 s12, s14, s0
	v_addc_co_u32_e32 v13, vcc, v1, v13, vcc
	s_mov_b64 s[14:15], 0
	v_mov_b32_e32 v1, s31
	s_movk_i32 s7, 0x100
.LBB15_42:                              ; =>This Inner Loop Header: Depth=1
	global_load_dword v16, v[12:13], off
	global_load_dwordx2 v[14:15], v[10:11], off
	s_waitcnt vmcnt(1)
	v_subrev_u32_e32 v16, s44, v16
	v_ashrrev_i32_e32 v17, 31, v16
	v_lshlrev_b64 v[16:17], 3, v[16:17]
	v_add_co_u32_e32 v16, vcc, s30, v16
	v_addc_co_u32_e32 v17, vcc, v1, v17, vcc
	global_load_dwordx2 v[16:17], v[16:17], off
	v_add_co_u32_e32 v4, vcc, s7, v4
	v_addc_co_u32_e32 v5, vcc, 0, v5, vcc
	v_add_co_u32_e32 v10, vcc, 0x800, v10
	v_addc_co_u32_e32 v11, vcc, 0, v11, vcc
	v_add_co_u32_e32 v12, vcc, 0x400, v12
	v_cmp_le_i64_e64 s[0:1], s[12:13], v[4:5]
	s_waitcnt vmcnt(1)
	v_mul_f64 v[14:15], v[8:9], v[14:15]
	v_addc_co_u32_e32 v13, vcc, 0, v13, vcc
	s_or_b64 s[14:15], s[0:1], s[14:15]
	s_waitcnt vmcnt(0)
	v_fmac_f64_e32 v[2:3], v[14:15], v[16:17]
	s_andn2_b64 exec, exec, s[14:15]
	s_cbranch_execnz .LBB15_42
; %bb.43:
	s_or_b64 exec, exec, s[14:15]
.LBB15_44:
	s_or_b64 exec, exec, s[10:11]
	s_movk_i32 s0, 0x80
	v_lshlrev_b32_e32 v1, 3, v0
	v_cmp_gt_u32_e32 vcc, s0, v0
	ds_write_b64 v1, v[2:3]
	s_waitcnt lgkmcnt(0)
	s_barrier
	s_and_saveexec_b64 s[0:1], vcc
	s_cbranch_execz .LBB15_46
; %bb.45:
	ds_read2st64_b64 v[2:5], v1 offset1:2
	s_waitcnt lgkmcnt(0)
	v_add_f64 v[2:3], v[2:3], v[4:5]
	ds_write_b64 v1, v[2:3]
.LBB15_46:
	s_or_b64 exec, exec, s[0:1]
	v_cmp_gt_u32_e32 vcc, 64, v0
	s_waitcnt lgkmcnt(0)
	s_barrier
	s_and_saveexec_b64 s[0:1], vcc
	s_cbranch_execz .LBB15_48
; %bb.47:
	ds_read2st64_b64 v[2:5], v1 offset1:1
	s_waitcnt lgkmcnt(0)
	v_add_f64 v[2:3], v[2:3], v[4:5]
	ds_write_b64 v1, v[2:3]
.LBB15_48:
	s_or_b64 exec, exec, s[0:1]
	v_cmp_gt_u32_e32 vcc, 32, v0
	s_waitcnt lgkmcnt(0)
	s_barrier
	s_and_saveexec_b64 s[0:1], vcc
	s_cbranch_execz .LBB15_50
; %bb.49:
	ds_read2_b64 v[2:5], v1 offset1:32
	s_waitcnt lgkmcnt(0)
	v_add_f64 v[2:3], v[2:3], v[4:5]
	ds_write_b64 v1, v[2:3]
.LBB15_50:
	s_or_b64 exec, exec, s[0:1]
	v_cmp_gt_u32_e32 vcc, 16, v0
	s_waitcnt lgkmcnt(0)
	s_barrier
	s_and_saveexec_b64 s[0:1], vcc
	s_cbranch_execz .LBB15_52
; %bb.51:
	ds_read2_b64 v[2:5], v1 offset1:16
	s_waitcnt lgkmcnt(0)
	v_add_f64 v[2:3], v[2:3], v[4:5]
	ds_write_b64 v1, v[2:3]
.LBB15_52:
	;; [unrolled: 12-line block ×5, first 2 shown]
	s_or_b64 exec, exec, s[0:1]
	v_cmp_eq_u32_e32 vcc, 0, v0
	s_waitcnt lgkmcnt(0)
	s_barrier
	s_and_saveexec_b64 s[0:1], vcc
	s_cbranch_execz .LBB15_60
; %bb.59:
	v_mov_b32_e32 v1, 0
	ds_read_b128 v[2:5], v1
	s_waitcnt lgkmcnt(0)
	v_add_f64 v[2:3], v[2:3], v[4:5]
	ds_write_b64 v1, v[2:3]
.LBB15_60:
	s_or_b64 exec, exec, s[0:1]
	s_waitcnt lgkmcnt(0)
	s_barrier
	s_and_saveexec_b64 s[0:1], vcc
	s_cbranch_execz .LBB15_70
; %bb.61:
	s_cmp_eq_u32 s33, 0
	s_cbranch_scc1 .LBB15_67
; %bb.62:
	s_ashr_i32 s7, s6, 31
	s_lshl_b64 s[6:7], s[6:7], 2
	s_add_u32 s6, s8, s6
	s_addc_u32 s7, s9, s7
	v_mov_b32_e32 v1, 0
	s_branch .LBB15_64
.LBB15_63:                              ;   in Loop: Header=BB15_64 Depth=1
	s_or_b64 exec, exec, s[8:9]
	s_waitcnt vmcnt(0)
	v_readfirstlane_b32 s8, v2
	s_cmp_eq_u32 s8, s16
	s_cbranch_scc0 .LBB15_66
.LBB15_64:                              ; =>This Inner Loop Header: Depth=1
	v_mbcnt_lo_u32_b32 v2, exec_lo, 0
	v_mbcnt_hi_u32_b32 v2, exec_hi, v2
	v_cmp_eq_u32_e32 vcc, 0, v2
                                        ; implicit-def: $vgpr2
	s_and_saveexec_b64 s[8:9], vcc
	s_cbranch_execz .LBB15_63
; %bb.65:                               ;   in Loop: Header=BB15_64 Depth=1
	global_load_dword v2, v1, s[6:7] glc
	s_branch .LBB15_63
.LBB15_66:
	v_mov_b32_e32 v1, 0
	global_load_dword v2, v1, s[2:3]
	s_waitcnt vmcnt(0)
	v_xor_b32_e32 v2, 1, v2
	global_store_dword v1, v2, s[2:3]
.LBB15_67:
	s_mov_b64 s[6:7], exec
	v_mbcnt_lo_u32_b32 v1, s6, 0
	v_mbcnt_hi_u32_b32 v1, s7, v1
	v_cmp_eq_u32_e32 vcc, 0, v1
	s_and_b64 s[2:3], exec, vcc
	s_mov_b64 exec, s[2:3]
	s_cbranch_execz .LBB15_70
; %bb.68:
	s_add_u32 s2, s34, s46
	s_addc_u32 s3, s35, s47
	v_mov_b32_e32 v1, 0
	global_load_dwordx2 v[4:5], v1, s[2:3]
	ds_read_b64 v[2:3], v1
	s_bcnt1_i32_b64 s6, s[6:7]
	v_cvt_f64_u32_e32 v[10:11], s6
	s_mov_b64 s[6:7], 0
	s_waitcnt lgkmcnt(0)
	v_mul_f64 v[10:11], v[2:3], v[10:11]
.LBB15_69:                              ; =>This Inner Loop Header: Depth=1
	s_waitcnt vmcnt(0)
	v_add_f64 v[2:3], v[4:5], v[10:11]
	global_atomic_cmpswap_x2 v[2:3], v1, v[2:5], s[2:3] glc
	s_waitcnt vmcnt(0)
	v_cmp_eq_u64_e32 vcc, v[2:3], v[4:5]
	s_or_b64 s[6:7], vcc, s[6:7]
	v_pk_mov_b32 v[4:5], v[2:3], v[2:3] op_sel:[0,1]
	s_andn2_b64 exec, exec, s[6:7]
	s_cbranch_execnz .LBB15_69
.LBB15_70:
	s_or_b64 exec, exec, s[0:1]
.LBB15_71:
	s_mov_b64 s[0:1], 0
.LBB15_72:
	s_andn2_b64 vcc, exec, s[0:1]
	s_cbranch_vccnz .LBB15_116
; %bb.73:
	s_load_dwordx2 s[0:1], s[4:5], 0x8
	v_subrev_co_u32_e32 v1, vcc, s44, v0
	v_subb_co_u32_e64 v3, s[2:3], 0, 0, vcc
	s_waitcnt lgkmcnt(0)
	v_mov_b32_e32 v4, s43
	v_add_co_u32_e32 v2, vcc, s42, v1
	v_addc_co_u32_e32 v3, vcc, v4, v3, vcc
	v_add_co_u32_e32 v4, vcc, 0x300, v2
	v_addc_co_u32_e32 v5, vcc, 0, v3, vcc
	v_cmp_le_i64_e32 vcc, s[0:1], v[4:5]
	s_and_saveexec_b64 s[0:1], vcc
	s_xor_b64 s[2:3], exec, s[0:1]
	s_cbranch_execz .LBB15_78
; %bb.74:
	s_lshl_b64 s[0:1], s[38:39], 3
	s_add_u32 s0, s24, s0
	s_addc_u32 s1, s25, s1
	s_load_dwordx2 s[0:1], s[0:1], 0x0
	s_waitcnt lgkmcnt(0)
	s_sub_u32 s4, s0, s44
	s_subb_u32 s5, s1, 0
	v_cmp_gt_i64_e32 vcc, s[4:5], v[2:3]
	s_and_saveexec_b64 s[6:7], vcc
	s_cbranch_execz .LBB15_77
; %bb.75:
	v_lshlrev_b64 v[4:5], 3, v[2:3]
	v_mov_b32_e32 v10, s29
	v_add_co_u32_e32 v4, vcc, s28, v4
	v_addc_co_u32_e32 v5, vcc, v10, v5, vcc
	v_lshlrev_b64 v[10:11], 2, v[2:3]
	v_mov_b32_e32 v12, s27
	v_add_co_u32_e32 v10, vcc, s26, v10
	v_lshlrev_b32_e32 v1, 3, v0
	v_addc_co_u32_e32 v11, vcc, v12, v11, vcc
	s_mov_b64 s[8:9], 0
	v_mov_b32_e32 v12, s31
	s_movk_i32 s10, 0x100
.LBB15_76:                              ; =>This Inner Loop Header: Depth=1
	global_load_dword v13, v[10:11], off
	global_load_dwordx2 v[14:15], v[4:5], off
	s_waitcnt vmcnt(1)
	v_subrev_u32_e32 v16, s44, v13
	v_ashrrev_i32_e32 v17, 31, v16
	v_lshlrev_b64 v[16:17], 3, v[16:17]
	v_add_co_u32_e32 v16, vcc, s30, v16
	v_addc_co_u32_e32 v17, vcc, v12, v17, vcc
	global_load_dwordx2 v[16:17], v[16:17], off
	v_add_co_u32_e32 v2, vcc, s10, v2
	v_addc_co_u32_e32 v3, vcc, 0, v3, vcc
	v_add_co_u32_e32 v4, vcc, 0x800, v4
	v_addc_co_u32_e32 v5, vcc, 0, v5, vcc
	s_waitcnt vmcnt(1)
	v_mul_f64 v[14:15], v[8:9], v[14:15]
	v_add_co_u32_e32 v10, vcc, 0x400, v10
	v_cmp_le_i64_e64 s[0:1], s[4:5], v[2:3]
	v_addc_co_u32_e32 v11, vcc, 0, v11, vcc
	s_or_b64 s[8:9], s[0:1], s[8:9]
	s_waitcnt vmcnt(0)
	v_mul_f64 v[14:15], v[14:15], v[16:17]
	ds_write_b64 v1, v[14:15]
	v_add_u32_e32 v1, 0x800, v1
	s_andn2_b64 exec, exec, s[8:9]
	s_cbranch_execnz .LBB15_76
.LBB15_77:
	s_or_b64 exec, exec, s[6:7]
                                        ; implicit-def: $vgpr2_vgpr3
                                        ; implicit-def: $vgpr8_vgpr9
.LBB15_78:
	s_or_saveexec_b64 s[0:1], s[2:3]
	v_lshlrev_b32_e32 v12, 3, v0
	s_xor_b64 exec, exec, s[0:1]
	s_cbranch_execz .LBB15_80
; %bb.79:
	v_lshlrev_b64 v[4:5], 2, v[2:3]
	v_mov_b32_e32 v1, s27
	v_add_co_u32_e32 v4, vcc, s26, v4
	v_addc_co_u32_e32 v5, vcc, v1, v5, vcc
	global_load_dword v1, v[4:5], off
	global_load_dword v13, v[4:5], off offset:1024
	global_load_dword v19, v[4:5], off offset:2048
	;; [unrolled: 1-line block ×3, first 2 shown]
	v_lshlrev_b64 v[2:3], 3, v[2:3]
	v_mov_b32_e32 v4, s29
	v_add_co_u32_e32 v2, vcc, s28, v2
	s_movk_i32 s2, 0x1000
	v_addc_co_u32_e32 v3, vcc, v4, v3, vcc
	global_load_dwordx2 v[4:5], v[2:3], off
	global_load_dwordx2 v[10:11], v[2:3], off offset:2048
	v_add_co_u32_e32 v2, vcc, s2, v2
	v_addc_co_u32_e32 v3, vcc, 0, v3, vcc
	global_load_dwordx2 v[14:15], v[2:3], off
	global_load_dwordx2 v[16:17], v[2:3], off offset:2048
	v_mov_b32_e32 v24, s31
	s_waitcnt vmcnt(7)
	v_subrev_u32_e32 v2, s44, v1
	v_ashrrev_i32_e32 v3, 31, v2
	s_waitcnt vmcnt(6)
	v_subrev_u32_e32 v18, s44, v13
	v_lshlrev_b64 v[2:3], 3, v[2:3]
	s_waitcnt vmcnt(5)
	v_subrev_u32_e32 v20, s44, v19
	v_ashrrev_i32_e32 v19, 31, v18
	v_add_co_u32_e32 v2, vcc, s30, v2
	v_lshlrev_b64 v[18:19], 3, v[18:19]
	v_addc_co_u32_e32 v3, vcc, v24, v3, vcc
	s_waitcnt vmcnt(4)
	v_subrev_u32_e32 v22, s44, v21
	v_ashrrev_i32_e32 v21, 31, v20
	v_add_co_u32_e32 v18, vcc, s30, v18
	v_lshlrev_b64 v[20:21], 3, v[20:21]
	v_addc_co_u32_e32 v19, vcc, v24, v19, vcc
	v_ashrrev_i32_e32 v23, 31, v22
	v_add_co_u32_e32 v20, vcc, s30, v20
	v_lshlrev_b64 v[22:23], 3, v[22:23]
	v_addc_co_u32_e32 v21, vcc, v24, v21, vcc
	v_add_co_u32_e32 v22, vcc, s30, v22
	v_addc_co_u32_e32 v23, vcc, v24, v23, vcc
	global_load_dwordx2 v[24:25], v[2:3], off
	global_load_dwordx2 v[26:27], v[18:19], off
	;; [unrolled: 1-line block ×4, first 2 shown]
	s_waitcnt vmcnt(7)
	v_mul_f64 v[2:3], v[8:9], v[4:5]
	s_waitcnt vmcnt(6)
	v_mul_f64 v[4:5], v[8:9], v[10:11]
	;; [unrolled: 2-line block ×8, first 2 shown]
	ds_write2st64_b64 v12, v[2:3], v[4:5] offset1:4
	ds_write2st64_b64 v12, v[10:11], v[8:9] offset0:8 offset1:12
.LBB15_80:
	s_or_b64 exec, exec, s[0:1]
	s_cmp_lt_i32 s33, 2
	s_mov_b64 s[0:1], -1
	s_waitcnt lgkmcnt(0)
	s_barrier
	s_cbranch_scc0 .LBB15_91
; %bb.81:
	v_mov_b32_e32 v1, s37
	v_add_co_u32_e32 v8, vcc, s36, v0
	v_addc_co_u32_e32 v9, vcc, 0, v1, vcc
	v_cmp_gt_i64_e32 vcc, s[38:39], v[8:9]
	s_and_saveexec_b64 s[2:3], vcc
	s_cbranch_execz .LBB15_90
; %bb.82:
	s_lshl_b32 s6, s42, 3
	s_mov_b64 s[4:5], 0
	v_cmp_neq_f64_e64 s[0:1], 0, v[6:7]
	s_sub_i32 s10, 0, s6
	v_mov_b32_e32 v1, s25
	v_mov_b32_e32 v13, s35
	s_branch .LBB15_84
.LBB15_83:                              ;   in Loop: Header=BB15_84 Depth=1
	s_or_b64 exec, exec, s[6:7]
	v_add_co_u32_e32 v2, vcc, s34, v10
	v_addc_co_u32_e32 v3, vcc, v13, v11, vcc
	v_add_co_u32_e32 v8, vcc, 0x100, v8
	v_addc_co_u32_e32 v9, vcc, 0, v9, vcc
	v_cmp_le_i64_e32 vcc, s[38:39], v[8:9]
	s_or_b64 s[4:5], vcc, s[4:5]
	global_store_dwordx2 v[2:3], v[4:5], off
	s_andn2_b64 exec, exec, s[4:5]
	s_cbranch_execz .LBB15_90
.LBB15_84:                              ; =>This Loop Header: Depth=1
                                        ;     Child Loop BB15_86 Depth 2
	v_lshlrev_b64 v[10:11], 3, v[8:9]
	v_add_co_u32_e32 v2, vcc, s24, v10
	v_addc_co_u32_e32 v3, vcc, v1, v11, vcc
	global_load_dwordx4 v[2:5], v[2:3], off
	s_waitcnt vmcnt(0)
	v_subrev_u32_e32 v3, s42, v2
	v_subrev_u32_e32 v14, s42, v4
	v_cmp_lt_i32_e32 vcc, v3, v14
	v_pk_mov_b32 v[4:5], 0, 0
	s_and_saveexec_b64 s[6:7], vcc
	s_cbranch_execz .LBB15_88
; %bb.85:                               ;   in Loop: Header=BB15_84 Depth=1
	v_lshl_add_u32 v2, v2, 3, s10
	s_mov_b64 s[8:9], 0
	v_pk_mov_b32 v[4:5], 0, 0
.LBB15_86:                              ;   Parent Loop BB15_84 Depth=1
                                        ; =>  This Inner Loop Header: Depth=2
	ds_read_b64 v[16:17], v2
	v_add_u32_e32 v3, 1, v3
	v_cmp_ge_i32_e32 vcc, v3, v14
	v_add_u32_e32 v2, 8, v2
	s_or_b64 s[8:9], vcc, s[8:9]
	s_waitcnt lgkmcnt(0)
	v_add_f64 v[4:5], v[4:5], v[16:17]
	s_andn2_b64 exec, exec, s[8:9]
	s_cbranch_execnz .LBB15_86
; %bb.87:                               ;   in Loop: Header=BB15_84 Depth=1
	s_or_b64 exec, exec, s[8:9]
.LBB15_88:                              ;   in Loop: Header=BB15_84 Depth=1
	s_or_b64 exec, exec, s[6:7]
	s_and_saveexec_b64 s[6:7], s[0:1]
	s_cbranch_execz .LBB15_83
; %bb.89:                               ;   in Loop: Header=BB15_84 Depth=1
	v_mov_b32_e32 v3, s35
	v_add_co_u32_e32 v2, vcc, s34, v10
	v_addc_co_u32_e32 v3, vcc, v3, v11, vcc
	global_load_dwordx2 v[2:3], v[2:3], off
	s_waitcnt vmcnt(0)
	v_fmac_f64_e32 v[4:5], v[6:7], v[2:3]
	s_branch .LBB15_83
.LBB15_90:
	s_or_b64 exec, exec, s[2:3]
	s_mov_b64 s[0:1], 0
.LBB15_91:
	s_andn2_b64 vcc, exec, s[0:1]
	s_cbranch_vccnz .LBB15_116
; %bb.92:
	s_flbit_i32_b32 s0, s33
	s_xor_b32 s0, s0, 31
	v_lshrrev_b32_e32 v4, s0, v0
	v_mov_b32_e32 v1, s37
	v_add_co_u32_e32 v2, vcc, s36, v4
	v_addc_co_u32_e32 v3, vcc, 0, v1, vcc
	s_add_i32 s0, s33, -1
	v_and_b32_e32 v5, s0, v0
	v_cmp_le_i64_e32 vcc, s[38:39], v[2:3]
	v_cmp_gt_i64_e64 s[0:1], s[38:39], v[2:3]
	v_pk_mov_b32 v[0:1], 0, 0
	s_and_saveexec_b64 s[2:3], s[0:1]
	s_cbranch_execz .LBB15_98
; %bb.93:
	v_lshlrev_b32_e32 v0, 3, v4
	global_load_dword v1, v0, s[40:41] offset:8
	global_load_dword v8, v0, s[40:41]
	s_waitcnt vmcnt(1)
	v_subrev_u32_e32 v4, s42, v1
	s_waitcnt vmcnt(0)
	v_subrev_u32_e32 v0, s42, v8
	v_add_u32_e32 v8, v5, v0
	v_cmp_lt_i32_e64 s[0:1], v8, v4
	v_pk_mov_b32 v[0:1], 0, 0
	s_and_saveexec_b64 s[4:5], s[0:1]
	s_cbranch_execz .LBB15_97
; %bb.94:
	v_lshlrev_b32_e32 v9, 3, v8
	s_lshl_b32 s8, s33, 3
	s_mov_b64 s[6:7], 0
	v_pk_mov_b32 v[0:1], 0, 0
.LBB15_95:                              ; =>This Inner Loop Header: Depth=1
	ds_read_b64 v[10:11], v9
	v_add_u32_e32 v8, s33, v8
	v_cmp_ge_i32_e64 s[0:1], v8, v4
	v_add_u32_e32 v9, s8, v9
	s_or_b64 s[6:7], s[0:1], s[6:7]
	s_waitcnt lgkmcnt(0)
	v_add_f64 v[0:1], v[0:1], v[10:11]
	s_andn2_b64 exec, exec, s[6:7]
	s_cbranch_execnz .LBB15_95
; %bb.96:
	s_or_b64 exec, exec, s[6:7]
.LBB15_97:
	s_or_b64 exec, exec, s[4:5]
.LBB15_98:
	s_or_b64 exec, exec, s[2:3]
	s_cmpk_lt_i32 s33, 0x81
	s_barrier
	ds_write_b64 v12, v[0:1]
	s_waitcnt lgkmcnt(0)
	s_barrier
	s_cbranch_scc1 .LBB15_100
; %bb.99:
	ds_read_b64 v[8:9], v12 offset:1024
	s_waitcnt lgkmcnt(0)
	s_barrier
	v_add_f64 v[0:1], v[0:1], v[8:9]
	ds_write_b64 v12, v[0:1]
.LBB15_100:
	s_cmpk_lt_i32 s33, 0x41
	s_waitcnt lgkmcnt(0)
	s_barrier
	s_cbranch_scc1 .LBB15_102
; %bb.101:
	ds_read_b64 v[8:9], v12 offset:512
	s_waitcnt lgkmcnt(0)
	s_barrier
	v_add_f64 v[0:1], v[0:1], v[8:9]
	ds_write_b64 v12, v[0:1]
.LBB15_102:
	s_cmp_lt_i32 s33, 33
	s_waitcnt lgkmcnt(0)
	s_barrier
	s_cbranch_scc1 .LBB15_104
; %bb.103:
	ds_read_b64 v[8:9], v12 offset:256
	s_waitcnt lgkmcnt(0)
	s_barrier
	v_add_f64 v[0:1], v[0:1], v[8:9]
	ds_write_b64 v12, v[0:1]
.LBB15_104:
	s_cmp_lt_i32 s33, 17
	;; [unrolled: 11-line block ×4, first 2 shown]
	s_waitcnt lgkmcnt(0)
	s_barrier
	s_cbranch_scc1 .LBB15_110
; %bb.109:
	ds_read_b64 v[8:9], v12 offset:32
	s_waitcnt lgkmcnt(0)
	s_barrier
	v_add_f64 v[0:1], v[0:1], v[8:9]
	ds_write_b64 v12, v[0:1]
.LBB15_110:
	s_cmp_eq_u32 s33, 2
	s_waitcnt lgkmcnt(0)
	s_barrier
	s_cbranch_scc1 .LBB15_112
; %bb.111:
	ds_read_b64 v[8:9], v12 offset:16
	s_waitcnt lgkmcnt(0)
	s_barrier
	v_add_f64 v[0:1], v[0:1], v[8:9]
	ds_write_b64 v12, v[0:1]
.LBB15_112:
	s_waitcnt lgkmcnt(0)
	s_barrier
	ds_read_b64 v[8:9], v12 offset:8
	v_cmp_eq_u32_e64 s[0:1], 0, v5
	s_xor_b64 s[2:3], vcc, -1
	s_and_b64 s[0:1], s[0:1], s[2:3]
	s_waitcnt lgkmcnt(0)
	v_add_f64 v[0:1], v[0:1], v[8:9]
	s_barrier
	ds_write_b64 v12, v[0:1]
	s_and_b64 exec, exec, s[0:1]
	s_cbranch_execz .LBB15_116
; %bb.113:
	v_cmp_neq_f64_e32 vcc, 0, v[6:7]
	v_lshlrev_b64 v[2:3], 3, v[2:3]
	s_and_saveexec_b64 s[0:1], vcc
	s_cbranch_execz .LBB15_115
; %bb.114:
	v_mov_b32_e32 v5, s35
	v_add_co_u32_e32 v4, vcc, s34, v2
	v_addc_co_u32_e32 v5, vcc, v5, v3, vcc
	global_load_dwordx2 v[4:5], v[4:5], off
	s_waitcnt vmcnt(0)
	v_fmac_f64_e32 v[0:1], v[6:7], v[4:5]
.LBB15_115:
	s_or_b64 exec, exec, s[0:1]
	v_mov_b32_e32 v4, s35
	v_add_co_u32_e32 v2, vcc, s34, v2
	v_addc_co_u32_e32 v3, vcc, v4, v3, vcc
	global_store_dwordx2 v[2:3], v[0:1], off
.LBB15_116:
	s_endpgm
	.section	.rodata,"a",@progbits
	.p2align	6, 0x0
	.amdhsa_kernel _ZN9rocsparseL22csrmvn_adaptive_kernelIliddddEEvbT_PKS1_PjPKT0_NS_24const_host_device_scalarIT4_EES3_S7_PKT1_PKT2_SA_PT3_21rocsparse_index_base_b
		.amdhsa_group_segment_fixed_size 8192
		.amdhsa_private_segment_fixed_size 0
		.amdhsa_kernarg_size 104
		.amdhsa_user_sgpr_count 6
		.amdhsa_user_sgpr_private_segment_buffer 1
		.amdhsa_user_sgpr_dispatch_ptr 0
		.amdhsa_user_sgpr_queue_ptr 0
		.amdhsa_user_sgpr_kernarg_segment_ptr 1
		.amdhsa_user_sgpr_dispatch_id 0
		.amdhsa_user_sgpr_flat_scratch_init 0
		.amdhsa_user_sgpr_kernarg_preload_length 0
		.amdhsa_user_sgpr_kernarg_preload_offset 0
		.amdhsa_user_sgpr_private_segment_size 0
		.amdhsa_uses_dynamic_stack 0
		.amdhsa_system_sgpr_private_segment_wavefront_offset 0
		.amdhsa_system_sgpr_workgroup_id_x 1
		.amdhsa_system_sgpr_workgroup_id_y 0
		.amdhsa_system_sgpr_workgroup_id_z 0
		.amdhsa_system_sgpr_workgroup_info 0
		.amdhsa_system_vgpr_workitem_id 0
		.amdhsa_next_free_vgpr 32
		.amdhsa_next_free_sgpr 63
		.amdhsa_accum_offset 32
		.amdhsa_reserve_vcc 1
		.amdhsa_reserve_flat_scratch 0
		.amdhsa_float_round_mode_32 0
		.amdhsa_float_round_mode_16_64 0
		.amdhsa_float_denorm_mode_32 3
		.amdhsa_float_denorm_mode_16_64 3
		.amdhsa_dx10_clamp 1
		.amdhsa_ieee_mode 1
		.amdhsa_fp16_overflow 0
		.amdhsa_tg_split 0
		.amdhsa_exception_fp_ieee_invalid_op 0
		.amdhsa_exception_fp_denorm_src 0
		.amdhsa_exception_fp_ieee_div_zero 0
		.amdhsa_exception_fp_ieee_overflow 0
		.amdhsa_exception_fp_ieee_underflow 0
		.amdhsa_exception_fp_ieee_inexact 0
		.amdhsa_exception_int_div_zero 0
	.end_amdhsa_kernel
	.section	.text._ZN9rocsparseL22csrmvn_adaptive_kernelIliddddEEvbT_PKS1_PjPKT0_NS_24const_host_device_scalarIT4_EES3_S7_PKT1_PKT2_SA_PT3_21rocsparse_index_base_b,"axG",@progbits,_ZN9rocsparseL22csrmvn_adaptive_kernelIliddddEEvbT_PKS1_PjPKT0_NS_24const_host_device_scalarIT4_EES3_S7_PKT1_PKT2_SA_PT3_21rocsparse_index_base_b,comdat
.Lfunc_end15:
	.size	_ZN9rocsparseL22csrmvn_adaptive_kernelIliddddEEvbT_PKS1_PjPKT0_NS_24const_host_device_scalarIT4_EES3_S7_PKT1_PKT2_SA_PT3_21rocsparse_index_base_b, .Lfunc_end15-_ZN9rocsparseL22csrmvn_adaptive_kernelIliddddEEvbT_PKS1_PjPKT0_NS_24const_host_device_scalarIT4_EES3_S7_PKT1_PKT2_SA_PT3_21rocsparse_index_base_b
                                        ; -- End function
	.section	.AMDGPU.csdata,"",@progbits
; Kernel info:
; codeLenInByte = 4096
; NumSgprs: 67
; NumVgprs: 32
; NumAgprs: 0
; TotalNumVgprs: 32
; ScratchSize: 0
; MemoryBound: 0
; FloatMode: 240
; IeeeMode: 1
; LDSByteSize: 8192 bytes/workgroup (compile time only)
; SGPRBlocks: 8
; VGPRBlocks: 3
; NumSGPRsForWavesPerEU: 67
; NumVGPRsForWavesPerEU: 32
; AccumOffset: 32
; Occupancy: 8
; WaveLimiterHint : 1
; COMPUTE_PGM_RSRC2:SCRATCH_EN: 0
; COMPUTE_PGM_RSRC2:USER_SGPR: 6
; COMPUTE_PGM_RSRC2:TRAP_HANDLER: 0
; COMPUTE_PGM_RSRC2:TGID_X_EN: 1
; COMPUTE_PGM_RSRC2:TGID_Y_EN: 0
; COMPUTE_PGM_RSRC2:TGID_Z_EN: 0
; COMPUTE_PGM_RSRC2:TIDIG_COMP_CNT: 0
; COMPUTE_PGM_RSRC3_GFX90A:ACCUM_OFFSET: 7
; COMPUTE_PGM_RSRC3_GFX90A:TG_SPLIT: 0
	.section	.text._ZN9rocsparseL27csrmvn_symm_adaptive_kernelIliddddEEvbT_S1_PKS1_NS_24const_host_device_scalarIT4_EES3_PKT0_PKT1_PKT2_S6_PT3_21rocsparse_index_base_b,"axG",@progbits,_ZN9rocsparseL27csrmvn_symm_adaptive_kernelIliddddEEvbT_S1_PKS1_NS_24const_host_device_scalarIT4_EES3_PKT0_PKT1_PKT2_S6_PT3_21rocsparse_index_base_b,comdat
	.globl	_ZN9rocsparseL27csrmvn_symm_adaptive_kernelIliddddEEvbT_S1_PKS1_NS_24const_host_device_scalarIT4_EES3_PKT0_PKT1_PKT2_S6_PT3_21rocsparse_index_base_b ; -- Begin function _ZN9rocsparseL27csrmvn_symm_adaptive_kernelIliddddEEvbT_S1_PKS1_NS_24const_host_device_scalarIT4_EES3_PKT0_PKT1_PKT2_S6_PT3_21rocsparse_index_base_b
	.p2align	8
	.type	_ZN9rocsparseL27csrmvn_symm_adaptive_kernelIliddddEEvbT_S1_PKS1_NS_24const_host_device_scalarIT4_EES3_PKT0_PKT1_PKT2_S6_PT3_21rocsparse_index_base_b,@function
_ZN9rocsparseL27csrmvn_symm_adaptive_kernelIliddddEEvbT_S1_PKS1_NS_24const_host_device_scalarIT4_EES3_PKT0_PKT1_PKT2_S6_PT3_21rocsparse_index_base_b: ; @_ZN9rocsparseL27csrmvn_symm_adaptive_kernelIliddddEEvbT_S1_PKS1_NS_24const_host_device_scalarIT4_EES3_PKT0_PKT1_PKT2_S6_PT3_21rocsparse_index_base_b
; %bb.0:
	s_load_dwordx2 s[30:31], s[4:5], 0x58
	s_load_dwordx2 s[8:9], s[4:5], 0x20
	;; [unrolled: 1-line block ×3, first 2 shown]
	s_waitcnt lgkmcnt(0)
	s_bitcmp1_b32 s31, 0
	s_cselect_b64 s[10:11], -1, 0
	s_xor_b64 s[2:3], s[10:11], -1
	s_and_b64 vcc, exec, s[10:11]
	v_pk_mov_b32 v[10:11], s[8:9], s[8:9] op_sel:[0,1]
	s_cbranch_vccnz .LBB16_2
; %bb.1:
	v_pk_mov_b32 v[2:3], s[8:9], s[8:9] op_sel:[0,1]
	flat_load_dwordx2 v[10:11], v[2:3]
.LBB16_2:
	s_andn2_b64 vcc, exec, s[2:3]
	v_pk_mov_b32 v[2:3], s[0:1], s[0:1] op_sel:[0,1]
	s_cbranch_vccnz .LBB16_4
; %bb.3:
	v_pk_mov_b32 v[2:3], s[0:1], s[0:1] op_sel:[0,1]
	flat_load_dwordx2 v[2:3], v[2:3]
.LBB16_4:
	s_waitcnt vmcnt(0) lgkmcnt(0)
	v_cmp_neq_f64_e32 vcc, 0, v[10:11]
	v_cmp_neq_f64_e64 s[0:1], 1.0, v[2:3]
	s_or_b64 s[0:1], vcc, s[0:1]
	s_and_saveexec_b64 s[2:3], s[0:1]
	s_cbranch_execz .LBB16_170
; %bb.5:
	s_load_dwordx2 s[0:1], s[4:5], 0x18
	s_mov_b32 s31, 0
	s_mov_b32 s2, s31
	;; [unrolled: 1-line block ×3, first 2 shown]
	s_ashr_i32 s7, s6, 31
	v_pk_mov_b32 v[2:3], s[2:3], s[2:3] op_sel:[0,1]
	s_lshl_b64 s[2:3], s[6:7], 3
	s_waitcnt lgkmcnt(0)
	s_add_u32 s0, s0, s2
	v_lshlrev_b32_e32 v18, 3, v0
	s_addc_u32 s1, s1, s3
	ds_write2st64_b64 v18, v[2:3], v[2:3] offset1:4
	ds_write2st64_b64 v18, v[2:3], v[2:3] offset0:8 offset1:12
	s_waitcnt lgkmcnt(0)
	s_barrier
	s_load_dwordx4 s[24:27], s[0:1], 0x0
	s_load_dwordx8 s[16:23], s[4:5], 0x28
	s_load_dwordx2 s[14:15], s[4:5], 0x50
	s_mov_b64 s[0:1], -1
	s_waitcnt lgkmcnt(0)
	s_sub_u32 s28, s26, s24
	s_subb_u32 s29, s27, s25
	v_cmp_gt_i64_e64 s[2:3], s[28:29], 2
	s_and_b64 vcc, exec, s[2:3]
	s_cbranch_vccnz .LBB16_43
; %bb.6:
	v_pk_mov_b32 v[2:3], s[24:25], s[24:25] op_sel:[0,1]
	v_cmp_gt_i64_e32 vcc, s[26:27], v[2:3]
	v_subrev_co_u32_e64 v1, s[0:1], s30, v0
	v_subb_co_u32_e64 v12, s[0:1], 0, 0, s[0:1]
	s_cbranch_vccnz .LBB16_8
; %bb.7:
	s_lshl_b64 s[0:1], s[24:25], 3
	s_add_u32 s0, s16, s0
	s_addc_u32 s1, s17, s1
	s_load_dwordx2 s[34:35], s[0:1], 0x0
	s_cbranch_execz .LBB16_9
	s_branch .LBB16_32
.LBB16_8:
                                        ; implicit-def: $sgpr34_sgpr35
.LBB16_9:
	s_lshl_b64 s[12:13], s[24:25], 3
	s_add_u32 s12, s16, s12
	s_addc_u32 s13, s17, s13
	s_waitcnt lgkmcnt(0)
	s_load_dwordx2 s[34:35], s[12:13], 0x0
	s_movk_i32 s33, 0x100
	s_add_u32 s48, s16, 8
	v_cmp_gt_u32_e64 s[0:1], s33, v0
	v_cmp_gt_u32_e64 s[2:3], 64, v0
	;; [unrolled: 1-line block ×4, first 2 shown]
	v_cmp_eq_u32_e64 s[10:11], 0, v0
	s_addc_u32 s49, s17, 0
	v_mov_b32_e32 v13, s23
	v_mov_b32_e32 v14, 0
	s_waitcnt lgkmcnt(0)
	s_mov_b64 s[38:39], s[34:35]
	s_mov_b64 s[36:37], s[24:25]
	s_branch .LBB16_11
.LBB16_10:                              ;   in Loop: Header=BB16_11 Depth=1
	s_or_b64 exec, exec, s[12:13]
	s_add_u32 s36, s36, 1
	s_addc_u32 s37, s37, 0
	v_pk_mov_b32 v[2:3], s[26:27], s[26:27] op_sel:[0,1]
	v_cmp_ge_i64_e32 vcc, s[36:37], v[2:3]
	s_cbranch_vccnz .LBB16_32
.LBB16_11:                              ; =>This Loop Header: Depth=1
                                        ;     Child Loop BB16_13 Depth 2
                                        ;     Child Loop BB16_27 Depth 2
	;; [unrolled: 1-line block ×3, first 2 shown]
	s_lshl_b64 s[40:41], s[36:37], 3
	s_mov_b64 s[12:13], s[38:39]
	s_add_u32 s38, s48, s40
	s_addc_u32 s39, s49, s41
	s_load_dwordx2 s[38:39], s[38:39], 0x0
	v_mov_b32_e32 v3, s13
	v_add_co_u32_e32 v2, vcc, s12, v1
	v_addc_co_u32_e32 v3, vcc, v3, v12, vcc
	s_waitcnt lgkmcnt(0)
	s_sub_u32 s42, s38, s30
	s_subb_u32 s43, s39, 0
	v_cmp_gt_i64_e32 vcc, s[42:43], v[2:3]
	v_pk_mov_b32 v[4:5], 0, 0
	s_and_saveexec_b64 s[44:45], vcc
	s_cbranch_execz .LBB16_15
; %bb.12:                               ;   in Loop: Header=BB16_11 Depth=1
	v_lshlrev_b64 v[4:5], 2, v[2:3]
	v_mov_b32_e32 v7, s19
	v_add_co_u32_e32 v6, vcc, s18, v4
	v_addc_co_u32_e32 v7, vcc, v7, v5, vcc
	v_lshlrev_b64 v[4:5], 3, v[2:3]
	v_mov_b32_e32 v9, s21
	v_add_co_u32_e32 v8, vcc, s20, v4
	v_addc_co_u32_e32 v9, vcc, v9, v5, vcc
	s_mov_b64 s[46:47], 0
	v_pk_mov_b32 v[4:5], 0, 0
.LBB16_13:                              ;   Parent Loop BB16_11 Depth=1
                                        ; =>  This Inner Loop Header: Depth=2
	global_load_dword v15, v[6:7], off
	global_load_dwordx2 v[16:17], v[8:9], off
	s_waitcnt vmcnt(1)
	v_subrev_u32_e32 v20, s30, v15
	v_ashrrev_i32_e32 v21, 31, v20
	v_lshlrev_b64 v[20:21], 3, v[20:21]
	v_add_co_u32_e32 v20, vcc, s22, v20
	v_addc_co_u32_e32 v21, vcc, v13, v21, vcc
	global_load_dwordx2 v[20:21], v[20:21], off
	v_add_co_u32_e32 v2, vcc, s33, v2
	v_addc_co_u32_e32 v3, vcc, 0, v3, vcc
	v_add_co_u32_e32 v6, vcc, 0x400, v6
	v_addc_co_u32_e32 v7, vcc, 0, v7, vcc
	v_add_co_u32_e32 v8, vcc, 0x800, v8
	v_cmp_le_i64_e64 s[12:13], s[42:43], v[2:3]
	v_addc_co_u32_e32 v9, vcc, 0, v9, vcc
	s_or_b64 s[46:47], s[12:13], s[46:47]
	s_waitcnt vmcnt(0)
	v_fmac_f64_e32 v[4:5], v[16:17], v[20:21]
	s_andn2_b64 exec, exec, s[46:47]
	s_cbranch_execnz .LBB16_13
; %bb.14:                               ;   in Loop: Header=BB16_11 Depth=1
	s_or_b64 exec, exec, s[46:47]
.LBB16_15:                              ;   in Loop: Header=BB16_11 Depth=1
	s_or_b64 exec, exec, s[44:45]
	ds_write_b64 v18, v[4:5]
	s_waitcnt lgkmcnt(0)
	s_barrier
	s_and_saveexec_b64 s[12:13], s[0:1]
	s_cbranch_execz .LBB16_17
; %bb.16:                               ;   in Loop: Header=BB16_11 Depth=1
	ds_read2st64_b64 v[2:5], v18 offset1:4
	ds_read2st64_b64 v[6:9], v18 offset0:8 offset1:12
	s_waitcnt lgkmcnt(0)
	v_add_f64 v[4:5], v[4:5], v[6:7]
	v_add_f64 v[4:5], v[4:5], v[8:9]
	;; [unrolled: 1-line block ×3, first 2 shown]
	ds_write_b64 v18, v[2:3]
.LBB16_17:                              ;   in Loop: Header=BB16_11 Depth=1
	s_or_b64 exec, exec, s[12:13]
	s_waitcnt lgkmcnt(0)
	s_barrier
	s_and_saveexec_b64 s[12:13], s[2:3]
	s_cbranch_execz .LBB16_19
; %bb.18:                               ;   in Loop: Header=BB16_11 Depth=1
	ds_read2st64_b64 v[2:5], v18 offset1:1
	ds_read2st64_b64 v[6:9], v18 offset0:2 offset1:3
	s_waitcnt lgkmcnt(0)
	v_add_f64 v[4:5], v[4:5], v[6:7]
	v_add_f64 v[4:5], v[4:5], v[8:9]
	;; [unrolled: 1-line block ×3, first 2 shown]
	ds_write_b64 v18, v[2:3]
.LBB16_19:                              ;   in Loop: Header=BB16_11 Depth=1
	s_or_b64 exec, exec, s[12:13]
	s_waitcnt lgkmcnt(0)
	s_barrier
	s_and_saveexec_b64 s[12:13], s[6:7]
	s_cbranch_execz .LBB16_21
; %bb.20:                               ;   in Loop: Header=BB16_11 Depth=1
	ds_read2_b64 v[2:5], v18 offset1:16
	ds_read2_b64 v[6:9], v18 offset0:32 offset1:48
	s_waitcnt lgkmcnt(0)
	v_add_f64 v[4:5], v[4:5], v[6:7]
	v_add_f64 v[4:5], v[4:5], v[8:9]
	;; [unrolled: 1-line block ×3, first 2 shown]
	ds_write_b64 v18, v[2:3]
.LBB16_21:                              ;   in Loop: Header=BB16_11 Depth=1
	s_or_b64 exec, exec, s[12:13]
	s_waitcnt lgkmcnt(0)
	s_barrier
	s_and_saveexec_b64 s[12:13], s[8:9]
	s_cbranch_execz .LBB16_23
; %bb.22:                               ;   in Loop: Header=BB16_11 Depth=1
	ds_read2_b64 v[2:5], v18 offset1:4
	ds_read2_b64 v[6:9], v18 offset0:8 offset1:12
	s_waitcnt lgkmcnt(0)
	v_add_f64 v[4:5], v[4:5], v[6:7]
	v_add_f64 v[4:5], v[4:5], v[8:9]
	;; [unrolled: 1-line block ×3, first 2 shown]
	ds_write_b64 v18, v[2:3]
.LBB16_23:                              ;   in Loop: Header=BB16_11 Depth=1
	s_or_b64 exec, exec, s[12:13]
	s_waitcnt lgkmcnt(0)
	s_barrier
	s_and_saveexec_b64 s[12:13], s[10:11]
	s_cbranch_execz .LBB16_25
; %bb.24:                               ;   in Loop: Header=BB16_11 Depth=1
	ds_read2_b64 v[2:5], v14 offset0:1 offset1:2
	ds_read_b64 v[6:7], v14 offset:24
	ds_read_b64 v[8:9], v18
	s_waitcnt lgkmcnt(2)
	v_add_f64 v[2:3], v[2:3], v[4:5]
	s_waitcnt lgkmcnt(1)
	v_add_f64 v[2:3], v[2:3], v[6:7]
	;; [unrolled: 2-line block ×3, first 2 shown]
	ds_write_b64 v18, v[2:3]
.LBB16_25:                              ;   in Loop: Header=BB16_11 Depth=1
	s_or_b64 exec, exec, s[12:13]
	s_waitcnt lgkmcnt(0)
	s_barrier
	s_and_saveexec_b64 s[12:13], s[10:11]
	s_cbranch_execz .LBB16_10
; %bb.26:                               ;   in Loop: Header=BB16_11 Depth=1
	ds_read_b64 v[2:3], v14
	v_mov_b32_e32 v6, 0
	s_mov_b64 s[42:43], exec
	v_bfrev_b32_e32 v7, 1
	s_waitcnt lgkmcnt(0)
	v_mul_f64 v[2:3], v[10:11], v[2:3]
.LBB16_27:                              ;   Parent Loop BB16_11 Depth=1
                                        ; =>  This Inner Loop Header: Depth=2
	s_ff1_i32_b64 s46, s[42:43]
	v_readlane_b32 s45, v3, s46
	v_readlane_b32 s44, v2, s46
	s_lshl_b64 s[46:47], 1, s46
	s_andn2_b64 s[42:43], s[42:43], s[46:47]
	s_cmp_lg_u64 s[42:43], 0
	v_add_f64 v[6:7], v[6:7], s[44:45]
	s_cbranch_scc1 .LBB16_27
; %bb.28:                               ;   in Loop: Header=BB16_11 Depth=1
	v_mbcnt_lo_u32_b32 v2, exec_lo, 0
	v_mbcnt_hi_u32_b32 v2, exec_hi, v2
	v_cmp_eq_u32_e32 vcc, 0, v2
	s_and_saveexec_b64 s[42:43], vcc
	s_xor_b64 s[42:43], exec, s[42:43]
	s_cbranch_execz .LBB16_10
; %bb.29:                               ;   in Loop: Header=BB16_11 Depth=1
	s_add_u32 s40, s14, s40
	s_addc_u32 s41, s15, s41
	global_load_dwordx2 v[4:5], v14, s[40:41]
	s_mov_b64 s[42:43], 0
.LBB16_30:                              ;   Parent Loop BB16_11 Depth=1
                                        ; =>  This Inner Loop Header: Depth=2
	s_waitcnt vmcnt(0)
	v_add_f64 v[2:3], v[4:5], v[6:7]
	global_atomic_cmpswap_x2 v[2:3], v14, v[2:5], s[40:41] glc
	s_waitcnt vmcnt(0)
	v_cmp_eq_u64_e32 vcc, v[2:3], v[4:5]
	s_or_b64 s[42:43], vcc, s[42:43]
	v_pk_mov_b32 v[4:5], v[2:3], v[2:3] op_sel:[0,1]
	s_andn2_b64 exec, exec, s[42:43]
	s_cbranch_execnz .LBB16_30
; %bb.31:                               ;   in Loop: Header=BB16_11 Depth=1
	s_or_b64 exec, exec, s[42:43]
	s_branch .LBB16_10
.LBB16_32:
	s_lshl_b64 s[0:1], s[26:27], 3
	s_add_u32 s0, s16, s0
	s_addc_u32 s1, s17, s1
	s_load_dwordx2 s[0:1], s[0:1], 0x0
	s_waitcnt lgkmcnt(0)
	v_mov_b32_e32 v2, s35
	v_add_co_u32_e32 v6, vcc, s34, v1
	v_addc_co_u32_e32 v7, vcc, v2, v12, vcc
	s_sub_u32 s6, s0, s30
	s_subb_u32 s7, s1, 0
	v_cmp_gt_i64_e32 vcc, s[6:7], v[6:7]
	s_and_saveexec_b64 s[8:9], vcc
	s_cbranch_execz .LBB16_42
; %bb.33:
	s_add_u32 s10, s26, -1
	s_addc_u32 s11, s27, -1
	s_add_u32 s0, s26, -2
	s_addc_u32 s1, s27, -1
	v_pk_mov_b32 v[2:3], s[24:25], s[24:25] op_sel:[0,1]
	s_cmp_lg_u64 s[0:1], s[24:25]
	v_cmp_gt_i64_e32 vcc, s[10:11], v[2:3]
	s_cselect_b64 s[0:1], -1, 0
	s_and_b64 s[0:1], vcc, s[0:1]
	v_cndmask_b32_e64 v1, 0, 1, s[0:1]
	s_mov_b64 s[12:13], 0
	v_cmp_ne_u32_e64 s[0:1], 1, v1
	v_mov_b32_e32 v1, s17
	v_mov_b32_e32 v14, s31
	;; [unrolled: 1-line block ×3, first 2 shown]
	s_branch .LBB16_35
.LBB16_34:                              ;   in Loop: Header=BB16_35 Depth=1
	s_or_b64 exec, exec, s[2:3]
	v_add_co_u32_e32 v6, vcc, 0x100, v6
	v_addc_co_u32_e32 v7, vcc, 0, v7, vcc
	v_cmp_le_i64_e32 vcc, s[6:7], v[6:7]
	s_or_b64 s[12:13], vcc, s[12:13]
	s_andn2_b64 exec, exec, s[12:13]
	s_cbranch_execz .LBB16_42
.LBB16_35:                              ; =>This Loop Header: Depth=1
                                        ;     Child Loop BB16_37 Depth 2
                                        ;     Child Loop BB16_41 Depth 2
	s_and_b64 vcc, exec, s[0:1]
	v_pk_mov_b32 v[2:3], s[24:25], s[24:25] op_sel:[0,1]
	v_pk_mov_b32 v[4:5], s[10:11], s[10:11] op_sel:[0,1]
	s_cbranch_vccnz .LBB16_39
; %bb.36:                               ;   in Loop: Header=BB16_35 Depth=1
	s_mov_b64 s[34:35], 0
	v_pk_mov_b32 v[2:3], s[24:25], s[24:25] op_sel:[0,1]
	v_pk_mov_b32 v[4:5], s[10:11], s[10:11] op_sel:[0,1]
.LBB16_37:                              ;   Parent Loop BB16_35 Depth=1
                                        ; =>  This Inner Loop Header: Depth=2
	v_add_co_u32_e32 v8, vcc, v4, v2
	v_addc_co_u32_e32 v9, vcc, v5, v3, vcc
	v_lshrrev_b32_e32 v12, 31, v9
	v_add_co_u32_e32 v8, vcc, v8, v12
	v_addc_co_u32_e32 v9, vcc, 0, v9, vcc
	v_ashrrev_i64 v[8:9], 1, v[8:9]
	v_lshlrev_b64 v[12:13], 3, v[8:9]
	v_mov_b32_e32 v16, s17
	v_add_co_u32_e32 v12, vcc, s16, v12
	v_addc_co_u32_e32 v13, vcc, v16, v13, vcc
	global_load_dwordx2 v[12:13], v[12:13], off
	v_mov_b32_e32 v16, s31
	s_waitcnt vmcnt(0)
	v_subrev_co_u32_e32 v12, vcc, s30, v12
	v_subb_co_u32_e32 v13, vcc, v13, v16, vcc
	v_cmp_gt_i64_e32 vcc, v[12:13], v[6:7]
	v_cndmask_b32_e32 v4, v4, v8, vcc
	v_cndmask_b32_e32 v5, v5, v9, vcc
	;; [unrolled: 1-line block ×3, first 2 shown]
	v_add_co_u32_e64 v8, s[2:3], -1, v4
	v_cndmask_b32_e32 v3, v9, v3, vcc
	v_addc_co_u32_e64 v9, s[2:3], -1, v5, s[2:3]
	v_cmp_ge_i64_e32 vcc, v[2:3], v[4:5]
	v_cmp_eq_u64_e64 s[2:3], v[2:3], v[8:9]
	s_or_b64 s[2:3], vcc, s[2:3]
	s_and_b64 s[2:3], exec, s[2:3]
	s_or_b64 s[34:35], s[2:3], s[34:35]
	s_andn2_b64 exec, exec, s[34:35]
	s_cbranch_execnz .LBB16_37
; %bb.38:                               ;   in Loop: Header=BB16_35 Depth=1
	s_or_b64 exec, exec, s[34:35]
.LBB16_39:                              ;   in Loop: Header=BB16_35 Depth=1
	v_lshlrev_b64 v[8:9], 3, v[4:5]
	v_add_co_u32_e32 v8, vcc, s16, v8
	v_addc_co_u32_e32 v9, vcc, v1, v9, vcc
	v_lshlrev_b64 v[12:13], 2, v[6:7]
	global_load_dwordx2 v[8:9], v[8:9], off
	v_add_co_u32_e32 v12, vcc, s18, v12
	v_addc_co_u32_e32 v13, vcc, v15, v13, vcc
	global_load_dword v16, v[12:13], off
	s_waitcnt vmcnt(1)
	v_subrev_co_u32_e32 v12, vcc, s30, v8
	v_subb_co_u32_e32 v13, vcc, v9, v14, vcc
	v_cmp_gt_i64_e32 vcc, v[12:13], v[6:7]
	s_waitcnt vmcnt(0)
	v_subrev_u32_e32 v8, s30, v16
	v_cndmask_b32_e32 v3, v5, v3, vcc
	v_cndmask_b32_e32 v2, v4, v2, vcc
	v_ashrrev_i32_e32 v9, 31, v8
	v_cmp_ne_u64_e32 vcc, v[2:3], v[8:9]
	s_and_saveexec_b64 s[2:3], vcc
	s_cbranch_execz .LBB16_34
; %bb.40:                               ;   in Loop: Header=BB16_35 Depth=1
	v_lshlrev_b64 v[4:5], 3, v[8:9]
	v_lshlrev_b64 v[8:9], 3, v[6:7]
	v_mov_b32_e32 v12, s21
	v_add_co_u32_e32 v8, vcc, s20, v8
	v_addc_co_u32_e32 v9, vcc, v12, v9, vcc
	v_lshlrev_b64 v[2:3], 3, v[2:3]
	global_load_dwordx2 v[12:13], v[8:9], off
	v_mov_b32_e32 v8, s23
	v_add_co_u32_e32 v2, vcc, s22, v2
	v_addc_co_u32_e32 v3, vcc, v8, v3, vcc
	v_mov_b32_e32 v16, s15
	v_add_co_u32_e32 v8, vcc, s14, v4
	global_load_dwordx2 v[2:3], v[2:3], off
	v_addc_co_u32_e32 v9, vcc, v16, v5, vcc
	global_load_dwordx2 v[4:5], v[8:9], off
	s_mov_b64 s[34:35], 0
	s_waitcnt vmcnt(2)
	v_mul_f64 v[12:13], v[10:11], v[12:13]
	s_waitcnt vmcnt(1)
	v_mul_f64 v[12:13], v[12:13], v[2:3]
.LBB16_41:                              ;   Parent Loop BB16_35 Depth=1
                                        ; =>  This Inner Loop Header: Depth=2
	s_waitcnt vmcnt(0)
	v_add_f64 v[2:3], v[4:5], v[12:13]
	global_atomic_cmpswap_x2 v[2:3], v[8:9], v[2:5], off glc
	s_waitcnt vmcnt(0)
	v_cmp_eq_u64_e32 vcc, v[2:3], v[4:5]
	s_or_b64 s[34:35], vcc, s[34:35]
	v_pk_mov_b32 v[4:5], v[2:3], v[2:3] op_sel:[0,1]
	s_andn2_b64 exec, exec, s[34:35]
	s_cbranch_execnz .LBB16_41
	s_branch .LBB16_34
.LBB16_42:
	s_or_b64 exec, exec, s[8:9]
	s_mov_b64 s[0:1], 0
.LBB16_43:
	s_and_b64 vcc, exec, s[0:1]
	s_cbranch_vccz .LBB16_170
; %bb.44:
	s_load_dword s0, s[4:5], 0x6c
	s_mov_b32 s31, 0
	v_pk_mov_b32 v[2:3], s[28:29], s[28:29] op_sel:[0,1]
	s_mov_b32 s13, s31
	s_mov_b64 s[34:35], 0
	s_waitcnt lgkmcnt(0)
	s_and_b32 s12, s0, 0xffff
	v_cmp_lt_u64_e32 vcc, s[12:13], v[2:3]
	s_cbranch_vccnz .LBB16_46
; %bb.45:
	v_cvt_f32_u32_e32 v1, s28
	s_sub_i32 s0, 0, s28
	v_rcp_iflag_f32_e32 v1, v1
	v_mul_f32_e32 v1, 0x4f7ffffe, v1
	v_cvt_u32_f32_e32 v1, v1
	v_readfirstlane_b32 s1, v1
	s_mul_i32 s0, s0, s1
	s_mul_hi_u32 s0, s1, s0
	s_add_i32 s1, s1, s0
	s_mul_hi_u32 s0, s12, s1
	s_mul_i32 s2, s0, s28
	s_sub_i32 s2, s12, s2
	s_add_i32 s1, s0, 1
	s_sub_i32 s3, s2, s28
	s_cmp_ge_u32 s2, s28
	s_cselect_b32 s0, s1, s0
	s_cselect_b32 s2, s3, s2
	s_add_i32 s1, s0, 1
	s_cmp_ge_u32 s2, s28
	s_cselect_b32 s34, s1, s0
.LBB16_46:
	s_lshl_b64 s[0:1], s[24:25], 3
	s_add_u32 s10, s16, s0
	s_addc_u32 s11, s17, s1
	s_load_dwordx2 s[8:9], s[10:11], 0x0
	v_subrev_co_u32_e32 v2, vcc, s30, v0
	s_load_dwordx4 s[4:7], s[4:5], 0x8
	v_subb_co_u32_e64 v3, s[0:1], 0, 0, vcc
	s_waitcnt lgkmcnt(0)
	v_mov_b32_e32 v4, s9
	v_add_co_u32_e32 v6, vcc, s8, v2
	v_addc_co_u32_e32 v7, vcc, v4, v3, vcc
	v_add_co_u32_e32 v8, vcc, 0x300, v6
	v_addc_co_u32_e32 v9, vcc, 0, v7, vcc
	v_mov_b32_e32 v1, 0
	v_cmp_le_i64_e64 s[0:1], s[4:5], v[8:9]
	s_and_saveexec_b64 s[2:3], s[0:1]
	s_xor_b64 s[2:3], exec, s[2:3]
	s_cbranch_execnz .LBB16_49
; %bb.47:
	s_andn2_saveexec_b64 s[2:3], s[2:3]
	s_cbranch_execnz .LBB16_53
.LBB16_48:
	s_or_b64 exec, exec, s[2:3]
	v_cmp_gt_i64_e32 vcc, s[6:7], v[0:1]
	s_and_saveexec_b64 s[2:3], vcc
	s_cbranch_execnz .LBB16_54
	s_branch .LBB16_56
.LBB16_49:
	s_lshl_b64 s[4:5], s[26:27], 3
	s_add_u32 s4, s16, s4
	s_addc_u32 s5, s17, s5
	s_load_dwordx2 s[4:5], s[4:5], 0x0
	s_waitcnt lgkmcnt(0)
	s_sub_u32 s4, s4, s8
	s_subb_u32 s5, s5, s9
	v_cmp_gt_i64_e32 vcc, s[4:5], v[0:1]
	s_and_saveexec_b64 s[36:37], vcc
	s_cbranch_execz .LBB16_52
; %bb.50:
	v_lshlrev_b64 v[2:3], 3, v[6:7]
	v_mov_b32_e32 v4, s21
	v_add_co_u32_e32 v2, vcc, s20, v2
	v_addc_co_u32_e32 v3, vcc, v4, v3, vcc
	s_mov_b64 s[38:39], 0
	v_mov_b32_e32 v12, v18
	v_pk_mov_b32 v[4:5], v[0:1], v[0:1] op_sel:[0,1]
.LBB16_51:                              ; =>This Inner Loop Header: Depth=1
	global_load_dwordx2 v[14:15], v[2:3], off
	v_add_co_u32_e32 v2, vcc, 0x800, v2
	v_addc_co_u32_e32 v3, vcc, 0, v3, vcc
	v_add_co_u32_e32 v4, vcc, 0x100, v4
	v_addc_co_u32_e32 v5, vcc, 0, v5, vcc
	v_cmp_le_i64_e32 vcc, s[4:5], v[4:5]
	s_or_b64 s[38:39], vcc, s[38:39]
	s_waitcnt vmcnt(0)
	v_mul_f64 v[14:15], v[10:11], v[14:15]
	ds_write_b64 v12, v[14:15]
	v_add_u32_e32 v12, 0x800, v12
	s_andn2_b64 exec, exec, s[38:39]
	s_cbranch_execnz .LBB16_51
.LBB16_52:
	s_or_b64 exec, exec, s[36:37]
                                        ; implicit-def: $vgpr10_vgpr11
	s_andn2_saveexec_b64 s[2:3], s[2:3]
	s_cbranch_execz .LBB16_48
.LBB16_53:
	v_lshlrev_b64 v[2:3], 3, v[6:7]
	v_mov_b32_e32 v4, s21
	v_add_co_u32_e32 v2, vcc, s20, v2
	v_addc_co_u32_e32 v3, vcc, v4, v3, vcc
	global_load_dwordx2 v[4:5], v[2:3], off
	global_load_dwordx2 v[12:13], v[2:3], off offset:2048
	v_add_co_u32_e32 v2, vcc, 0x1000, v2
	v_addc_co_u32_e32 v3, vcc, 0, v3, vcc
	global_load_dwordx2 v[14:15], v[2:3], off
	global_load_dwordx2 v[16:17], v[2:3], off offset:2048
	s_waitcnt vmcnt(3)
	v_mul_f64 v[2:3], v[10:11], v[4:5]
	s_waitcnt vmcnt(2)
	v_mul_f64 v[4:5], v[10:11], v[12:13]
	ds_write2st64_b64 v18, v[2:3], v[4:5] offset1:4
	s_waitcnt vmcnt(1)
	v_mul_f64 v[2:3], v[10:11], v[14:15]
	s_waitcnt vmcnt(0)
	v_mul_f64 v[4:5], v[10:11], v[16:17]
	ds_write2st64_b64 v18, v[2:3], v[4:5] offset0:8 offset1:12
	s_or_b64 exec, exec, s[2:3]
	v_cmp_gt_i64_e32 vcc, s[6:7], v[0:1]
	s_and_saveexec_b64 s[2:3], vcc
	s_cbranch_execz .LBB16_56
.LBB16_54:
	v_mov_b32_e32 v2, 0x2000
	v_lshl_add_u32 v10, v0, 3, v2
	v_mov_b32_e32 v2, 0
	s_mov_b64 s[4:5], 0
	v_mov_b32_e32 v3, v2
	v_pk_mov_b32 v[4:5], v[0:1], v[0:1] op_sel:[0,1]
.LBB16_55:                              ; =>This Inner Loop Header: Depth=1
	v_add_co_u32_e32 v4, vcc, 0x100, v4
	v_addc_co_u32_e32 v5, vcc, 0, v5, vcc
	v_cmp_le_i64_e32 vcc, s[6:7], v[4:5]
	ds_write_b64 v10, v[2:3]
	s_or_b64 s[4:5], vcc, s[4:5]
	v_add_u32_e32 v10, 0x800, v10
	s_andn2_b64 exec, exec, s[4:5]
	s_cbranch_execnz .LBB16_55
.LBB16_56:
	s_or_b64 exec, exec, s[2:3]
	s_sub_u32 s4, s26, s6
	v_pk_mov_b32 v[2:3], s[6:7], s[6:7] op_sel:[0,1]
	s_subb_u32 s5, s27, s7
	v_cmp_ge_i64_e32 vcc, s[26:27], v[2:3]
	s_and_b64 s[2:3], vcc, exec
	s_cselect_b32 s5, s5, 0
	s_cselect_b32 s4, s4, 0
	s_waitcnt lgkmcnt(0)
	s_barrier
	s_and_saveexec_b64 s[2:3], s[0:1]
	s_xor_b64 s[20:21], exec, s[2:3]
	s_cbranch_execz .LBB16_75
; %bb.57:
	s_lshl_b64 s[0:1], s[26:27], 3
	s_add_u32 s0, s16, s0
	s_addc_u32 s1, s17, s1
	s_load_dwordx2 s[0:1], s[0:1], 0x0
	s_waitcnt lgkmcnt(0)
	s_sub_u32 s36, s0, s8
	s_subb_u32 s37, s1, s9
	v_cmp_gt_i64_e32 vcc, s[36:37], v[0:1]
	s_and_saveexec_b64 s[38:39], vcc
	s_cbranch_execz .LBB16_74
; %bb.58:
	s_add_u32 s40, s26, -1
	s_addc_u32 s41, s27, -1
	s_add_u32 s2, s26, -2
	s_addc_u32 s3, s27, -1
	v_pk_mov_b32 v[2:3], s[24:25], s[24:25] op_sel:[0,1]
	s_cmp_lg_u64 s[2:3], s[24:25]
	v_cmp_gt_i64_e32 vcc, s[40:41], v[2:3]
	s_cselect_b64 s[2:3], -1, 0
	s_and_b64 s[2:3], vcc, s[2:3]
	s_sub_u32 s42, s0, s30
	v_cndmask_b32_e64 v2, 0, 1, s[2:3]
	s_subb_u32 s43, s1, 0
	s_mov_b64 s[44:45], 0
	v_cmp_ne_u32_e64 s[0:1], 1, v2
	v_mov_b32_e32 v16, s17
	v_mov_b32_e32 v17, s31
	;; [unrolled: 1-line block ×4, first 2 shown]
	s_mov_b64 s[46:47], 0
	s_branch .LBB16_61
.LBB16_59:                              ;   in Loop: Header=BB16_61 Depth=1
	s_or_b64 exec, exec, s[2:3]
.LBB16_60:                              ;   in Loop: Header=BB16_61 Depth=1
	s_or_b64 exec, exec, s[48:49]
	v_lshlrev_b64 v[2:3], 3, v[8:9]
	v_mov_b32_e32 v4, s23
	v_add_co_u32_e32 v2, vcc, s22, v2
	v_addc_co_u32_e32 v3, vcc, v4, v3, vcc
	global_load_dwordx2 v[2:3], v[2:3], off
	s_add_u32 s46, s46, 0x100
	s_addc_u32 s47, s47, 0
	v_mov_b32_e32 v5, s47
	v_add_co_u32_e32 v4, vcc, s46, v0
	v_addc_co_u32_e32 v5, vcc, 0, v5, vcc
	v_cmp_le_i64_e32 vcc, s[36:37], v[4:5]
	v_lshlrev_b32_e32 v8, 3, v21
	s_or_b64 s[44:45], vcc, s[44:45]
	s_waitcnt vmcnt(0) lgkmcnt(0)
	v_mul_f64 v[2:3], v[2:3], v[10:11]
	ds_write_b64 v8, v[2:3]
	s_andn2_b64 exec, exec, s[44:45]
	s_cbranch_execz .LBB16_74
.LBB16_61:                              ; =>This Loop Header: Depth=1
                                        ;     Child Loop BB16_63 Depth 2
                                        ;     Child Loop BB16_70 Depth 2
	v_mov_b32_e32 v3, s47
	v_add_co_u32_e32 v2, vcc, s46, v6
	v_addc_co_u32_e32 v3, vcc, v3, v7, vcc
	s_and_b64 vcc, exec, s[0:1]
	v_pk_mov_b32 v[4:5], s[24:25], s[24:25] op_sel:[0,1]
	v_pk_mov_b32 v[10:11], s[40:41], s[40:41] op_sel:[0,1]
	s_cbranch_vccnz .LBB16_65
; %bb.62:                               ;   in Loop: Header=BB16_61 Depth=1
	s_mov_b64 s[48:49], 0
	v_pk_mov_b32 v[4:5], s[24:25], s[24:25] op_sel:[0,1]
	v_pk_mov_b32 v[10:11], s[40:41], s[40:41] op_sel:[0,1]
.LBB16_63:                              ;   Parent Loop BB16_61 Depth=1
                                        ; =>  This Inner Loop Header: Depth=2
	v_add_co_u32_e32 v8, vcc, v10, v4
	v_addc_co_u32_e32 v9, vcc, v11, v5, vcc
	v_lshrrev_b32_e32 v12, 31, v9
	v_add_co_u32_e32 v8, vcc, v8, v12
	v_addc_co_u32_e32 v9, vcc, 0, v9, vcc
	v_ashrrev_i64 v[8:9], 1, v[8:9]
	v_lshlrev_b64 v[12:13], 3, v[8:9]
	v_mov_b32_e32 v14, s17
	v_add_co_u32_e32 v12, vcc, s16, v12
	v_addc_co_u32_e32 v13, vcc, v14, v13, vcc
	global_load_dwordx2 v[12:13], v[12:13], off
	v_mov_b32_e32 v14, s31
	s_waitcnt vmcnt(0)
	v_subrev_co_u32_e32 v12, vcc, s30, v12
	v_subb_co_u32_e32 v13, vcc, v13, v14, vcc
	v_cmp_gt_i64_e32 vcc, v[12:13], v[2:3]
	v_cndmask_b32_e32 v10, v10, v8, vcc
	v_cndmask_b32_e32 v11, v11, v9, vcc
	;; [unrolled: 1-line block ×3, first 2 shown]
	v_add_co_u32_e64 v8, s[2:3], -1, v10
	v_cndmask_b32_e32 v5, v9, v5, vcc
	v_addc_co_u32_e64 v9, s[2:3], -1, v11, s[2:3]
	v_cmp_ge_i64_e32 vcc, v[4:5], v[10:11]
	v_cmp_eq_u64_e64 s[2:3], v[4:5], v[8:9]
	s_or_b64 s[2:3], vcc, s[2:3]
	s_and_b64 s[2:3], exec, s[2:3]
	s_or_b64 s[48:49], s[2:3], s[48:49]
	s_andn2_b64 exec, exec, s[48:49]
	s_cbranch_execnz .LBB16_63
; %bb.64:                               ;   in Loop: Header=BB16_61 Depth=1
	s_or_b64 exec, exec, s[48:49]
.LBB16_65:                              ;   in Loop: Header=BB16_61 Depth=1
	v_lshlrev_b64 v[8:9], 3, v[10:11]
	v_add_co_u32_e32 v8, vcc, s16, v8
	v_addc_co_u32_e32 v9, vcc, v16, v9, vcc
	v_lshlrev_b64 v[12:13], 2, v[2:3]
	global_load_dwordx2 v[8:9], v[8:9], off
	v_add_co_u32_e32 v12, vcc, s18, v12
	v_addc_co_u32_e32 v13, vcc, v19, v13, vcc
	global_load_dword v14, v[12:13], off
	v_add_co_u32_e32 v21, vcc, s46, v0
	v_cmp_le_i64_e32 vcc, s[42:43], v[2:3]
	s_waitcnt vmcnt(1)
	v_subrev_co_u32_e64 v12, s[2:3], s30, v8
	v_subb_co_u32_e64 v13, s[2:3], v9, v17, s[2:3]
	v_cmp_gt_i64_e64 s[2:3], v[12:13], v[2:3]
	s_waitcnt vmcnt(0)
	v_subrev_u32_e32 v8, s30, v14
	v_cndmask_b32_e64 v3, v11, v5, s[2:3]
	v_ashrrev_i32_e32 v9, 31, v8
	v_cndmask_b32_e64 v2, v10, v4, s[2:3]
	v_cmp_eq_u64_e64 s[2:3], v[2:3], v[8:9]
	s_or_b64 s[2:3], s[2:3], vcc
	v_lshlrev_b32_e32 v14, 3, v21
                                        ; implicit-def: $vgpr10_vgpr11
	s_and_saveexec_b64 s[48:49], s[2:3]
	s_xor_b64 s[2:3], exec, s[48:49]
	s_cbranch_execz .LBB16_67
; %bb.66:                               ;   in Loop: Header=BB16_61 Depth=1
	ds_read_b64 v[10:11], v14
                                        ; implicit-def: $vgpr14
                                        ; implicit-def: $vgpr2_vgpr3
.LBB16_67:                              ;   in Loop: Header=BB16_61 Depth=1
	s_andn2_saveexec_b64 s[48:49], s[2:3]
	s_cbranch_execz .LBB16_60
; %bb.68:                               ;   in Loop: Header=BB16_61 Depth=1
	v_cmp_gt_i64_e32 vcc, s[4:5], v[8:9]
	v_cmp_le_i64_e64 s[2:3], s[26:27], v[8:9]
	s_or_b64 s[2:3], vcc, s[2:3]
	v_lshlrev_b64 v[2:3], 3, v[2:3]
                                        ; implicit-def: $vgpr10_vgpr11
	s_and_saveexec_b64 s[50:51], s[2:3]
	s_xor_b64 s[2:3], exec, s[50:51]
	s_cbranch_execz .LBB16_72
; %bb.69:                               ;   in Loop: Header=BB16_61 Depth=1
	s_waitcnt lgkmcnt(0)
	v_mov_b32_e32 v11, s23
	v_add_co_u32_e32 v2, vcc, s22, v2
	v_lshlrev_b64 v[4:5], 3, v[8:9]
	v_addc_co_u32_e32 v3, vcc, v11, v3, vcc
	v_mov_b32_e32 v10, s15
	v_add_co_u32_e32 v12, vcc, s14, v4
	global_load_dwordx2 v[2:3], v[2:3], off
	v_addc_co_u32_e32 v13, vcc, v10, v5, vcc
	global_load_dwordx2 v[4:5], v[12:13], off
	ds_read_b64 v[10:11], v14
	s_mov_b64 s[50:51], 0
	s_waitcnt vmcnt(1) lgkmcnt(0)
	v_mul_f64 v[14:15], v[10:11], v[2:3]
.LBB16_70:                              ;   Parent Loop BB16_61 Depth=1
                                        ; =>  This Inner Loop Header: Depth=2
	s_waitcnt vmcnt(0)
	v_add_f64 v[2:3], v[4:5], v[14:15]
	global_atomic_cmpswap_x2 v[2:3], v[12:13], v[2:5], off glc
	s_waitcnt vmcnt(0)
	v_cmp_eq_u64_e32 vcc, v[2:3], v[4:5]
	s_or_b64 s[50:51], vcc, s[50:51]
	v_pk_mov_b32 v[4:5], v[2:3], v[2:3] op_sel:[0,1]
	s_andn2_b64 exec, exec, s[50:51]
	s_cbranch_execnz .LBB16_70
; %bb.71:                               ;   in Loop: Header=BB16_61 Depth=1
	s_or_b64 exec, exec, s[50:51]
                                        ; implicit-def: $vgpr14
                                        ; implicit-def: $vgpr2_vgpr3
.LBB16_72:                              ;   in Loop: Header=BB16_61 Depth=1
	s_andn2_saveexec_b64 s[2:3], s[2:3]
	s_cbranch_execz .LBB16_59
; %bb.73:                               ;   in Loop: Header=BB16_61 Depth=1
	v_mov_b32_e32 v4, s23
	v_add_co_u32_e32 v2, vcc, s22, v2
	v_addc_co_u32_e32 v3, vcc, v4, v3, vcc
	global_load_dwordx2 v[2:3], v[2:3], off
	s_waitcnt lgkmcnt(0)
	ds_read_b64 v[10:11], v14
	v_subrev_u32_e32 v4, s4, v8
	v_lshl_add_u32 v4, v4, 3, v20
	s_waitcnt vmcnt(0) lgkmcnt(0)
	v_mul_f64 v[2:3], v[10:11], v[2:3]
	ds_add_f64 v4, v[2:3]
	s_branch .LBB16_59
.LBB16_74:
	s_or_b64 exec, exec, s[38:39]
                                        ; implicit-def: $vgpr8_vgpr9
                                        ; implicit-def: $vgpr6
.LBB16_75:
	s_andn2_saveexec_b64 s[20:21], s[20:21]
	s_cbranch_execz .LBB16_125
; %bb.76:
	s_add_u32 s36, s26, -1
	s_addc_u32 s37, s27, -1
	s_add_u32 s0, s26, -2
	s_addc_u32 s1, s27, -1
	v_pk_mov_b32 v[2:3], s[24:25], s[24:25] op_sel:[0,1]
	s_cmp_eq_u64 s[0:1], s[24:25]
	v_cmp_le_i64_e32 vcc, s[36:37], v[2:3]
	s_cselect_b64 s[0:1], -1, 0
	s_or_b64 s[2:3], vcc, s[0:1]
	s_and_b64 vcc, exec, s[2:3]
	v_pk_mov_b32 v[4:5], s[36:37], s[36:37] op_sel:[0,1]
	s_cbranch_vccnz .LBB16_80
; %bb.77:
	s_mov_b64 s[38:39], 0
	v_pk_mov_b32 v[2:3], s[24:25], s[24:25] op_sel:[0,1]
	v_pk_mov_b32 v[4:5], s[36:37], s[36:37] op_sel:[0,1]
	v_mov_b32_e32 v10, s17
	v_mov_b32_e32 v11, s31
.LBB16_78:                              ; =>This Inner Loop Header: Depth=1
	v_add_co_u32_e32 v12, vcc, v4, v2
	v_addc_co_u32_e32 v13, vcc, v5, v3, vcc
	v_lshrrev_b32_e32 v14, 31, v13
	v_add_co_u32_e32 v12, vcc, v12, v14
	v_addc_co_u32_e32 v13, vcc, 0, v13, vcc
	v_ashrrev_i64 v[12:13], 1, v[12:13]
	v_lshlrev_b64 v[14:15], 3, v[12:13]
	v_add_co_u32_e32 v14, vcc, s16, v14
	v_addc_co_u32_e32 v15, vcc, v10, v15, vcc
	global_load_dwordx2 v[14:15], v[14:15], off
	s_waitcnt vmcnt(0)
	v_subrev_co_u32_e32 v14, vcc, s30, v14
	v_subb_co_u32_e32 v15, vcc, v15, v11, vcc
	v_cmp_gt_i64_e32 vcc, v[14:15], v[6:7]
	v_cndmask_b32_e32 v4, v4, v12, vcc
	v_cndmask_b32_e32 v5, v5, v13, vcc
	;; [unrolled: 1-line block ×3, first 2 shown]
	v_add_co_u32_e64 v12, s[0:1], -1, v4
	v_cndmask_b32_e32 v3, v13, v3, vcc
	v_addc_co_u32_e64 v13, s[0:1], -1, v5, s[0:1]
	v_cmp_ge_i64_e32 vcc, v[2:3], v[4:5]
	v_cmp_eq_u64_e64 s[0:1], v[2:3], v[12:13]
	s_or_b64 s[0:1], vcc, s[0:1]
	s_and_b64 s[0:1], exec, s[0:1]
	s_or_b64 s[38:39], s[0:1], s[38:39]
	s_andn2_b64 exec, exec, s[38:39]
	s_cbranch_execnz .LBB16_78
; %bb.79:
	s_or_b64 exec, exec, s[38:39]
.LBB16_80:
	v_lshlrev_b64 v[10:11], 3, v[4:5]
	v_mov_b32_e32 v12, s17
	v_add_co_u32_e32 v10, vcc, s16, v10
	v_addc_co_u32_e32 v11, vcc, v12, v11, vcc
	global_load_dwordx2 v[12:13], v[10:11], off
	v_lshlrev_b64 v[10:11], 2, v[6:7]
	v_mov_b32_e32 v14, s19
	v_add_co_u32_e32 v10, vcc, s18, v10
	v_addc_co_u32_e32 v11, vcc, v14, v11, vcc
	global_load_dword v16, v[10:11], off
	v_mov_b32_e32 v15, s31
	s_xor_b64 s[2:3], s[2:3], -1
	s_lshl_b64 s[0:1], s[26:27], 3
	s_add_u32 s18, s16, s0
	s_addc_u32 s19, s17, s1
	s_waitcnt vmcnt(1)
	v_subrev_co_u32_e32 v14, vcc, s30, v12
	v_subb_co_u32_e32 v15, vcc, v13, v15, vcc
	v_cmp_gt_i64_e32 vcc, v[14:15], v[6:7]
	v_cndmask_b32_e32 v3, v5, v3, vcc
	v_cndmask_b32_e32 v2, v4, v2, vcc
	s_waitcnt vmcnt(0)
	v_subrev_u32_e32 v12, s30, v16
	v_ashrrev_i32_e32 v13, 31, v12
	v_cmp_ne_u64_e32 vcc, v[2:3], v[12:13]
	s_and_saveexec_b64 s[38:39], vcc
	s_cbranch_execz .LBB16_88
; %bb.81:
	s_load_dwordx2 s[0:1], s[18:19], 0x0
	s_waitcnt lgkmcnt(0)
	s_sub_u32 s0, s0, s30
	s_subb_u32 s1, s1, 0
	v_cmp_gt_i64_e32 vcc, s[0:1], v[6:7]
	s_and_b64 exec, exec, vcc
	s_cbranch_execz .LBB16_88
; %bb.82:
	v_cmp_gt_i64_e32 vcc, s[4:5], v[12:13]
	v_cmp_le_i64_e64 s[0:1], s[26:27], v[12:13]
	s_or_b64 s[0:1], vcc, s[0:1]
	v_lshlrev_b64 v[2:3], 3, v[2:3]
	s_and_saveexec_b64 s[40:41], s[0:1]
	s_xor_b64 s[0:1], exec, s[40:41]
	s_cbranch_execz .LBB16_86
; %bb.83:
	v_mov_b32_e32 v14, s23
	v_add_co_u32_e32 v2, vcc, s22, v2
	v_lshlrev_b64 v[4:5], 3, v[12:13]
	v_addc_co_u32_e32 v3, vcc, v14, v3, vcc
	v_mov_b32_e32 v15, s15
	v_add_co_u32_e32 v14, vcc, s14, v4
	global_load_dwordx2 v[2:3], v[2:3], off
	v_addc_co_u32_e32 v15, vcc, v15, v5, vcc
	global_load_dwordx2 v[4:5], v[14:15], off
	ds_read_b64 v[16:17], v18
	s_mov_b64 s[40:41], 0
	s_waitcnt vmcnt(1) lgkmcnt(0)
	v_mul_f64 v[16:17], v[16:17], v[2:3]
.LBB16_84:                              ; =>This Inner Loop Header: Depth=1
	s_waitcnt vmcnt(0)
	v_add_f64 v[2:3], v[4:5], v[16:17]
	global_atomic_cmpswap_x2 v[2:3], v[14:15], v[2:5], off glc
	s_waitcnt vmcnt(0)
	v_cmp_eq_u64_e32 vcc, v[2:3], v[4:5]
	s_or_b64 s[40:41], vcc, s[40:41]
	v_pk_mov_b32 v[4:5], v[2:3], v[2:3] op_sel:[0,1]
	s_andn2_b64 exec, exec, s[40:41]
	s_cbranch_execnz .LBB16_84
; %bb.85:
	s_or_b64 exec, exec, s[40:41]
                                        ; implicit-def: $vgpr2_vgpr3
.LBB16_86:
	s_andn2_saveexec_b64 s[0:1], s[0:1]
	s_cbranch_execz .LBB16_88
; %bb.87:
	v_mov_b32_e32 v4, s23
	v_add_co_u32_e32 v2, vcc, s22, v2
	v_addc_co_u32_e32 v3, vcc, v4, v3, vcc
	global_load_dwordx2 v[2:3], v[2:3], off
	ds_read_b64 v[4:5], v18
	v_subrev_u32_e32 v14, s4, v12
	v_mov_b32_e32 v15, 0x2000
	v_lshl_add_u32 v14, v14, 3, v15
	s_waitcnt vmcnt(0) lgkmcnt(0)
	v_mul_f64 v[2:3], v[4:5], v[2:3]
	ds_add_f64 v14, v[2:3]
.LBB16_88:
	s_or_b64 exec, exec, s[38:39]
	v_lshlrev_b64 v[2:3], 3, v[12:13]
	v_mov_b32_e32 v4, s23
	v_add_co_u32_e32 v2, vcc, s22, v2
	v_addc_co_u32_e32 v3, vcc, v4, v3, vcc
	global_load_dwordx2 v[12:13], v[2:3], off
	ds_read_b64 v[14:15], v18
	v_add_co_u32_e32 v2, vcc, 0x100, v6
	v_cndmask_b32_e64 v16, 0, 1, s[2:3]
	v_addc_co_u32_e32 v3, vcc, 0, v7, vcc
	v_pk_mov_b32 v[4:5], s[24:25], s[24:25] op_sel:[0,1]
	v_cmp_ne_u32_e64 s[0:1], 1, v16
	s_andn2_b64 vcc, exec, s[2:3]
	s_waitcnt vmcnt(0) lgkmcnt(0)
	v_mul_f64 v[12:13], v[12:13], v[14:15]
	v_pk_mov_b32 v[14:15], s[36:37], s[36:37] op_sel:[0,1]
	ds_write_b64 v18, v[12:13]
	s_cbranch_vccnz .LBB16_92
; %bb.89:
	s_mov_b64 s[38:39], 0
	v_pk_mov_b32 v[4:5], s[24:25], s[24:25] op_sel:[0,1]
	v_pk_mov_b32 v[14:15], s[36:37], s[36:37] op_sel:[0,1]
	v_mov_b32_e32 v12, s17
	v_mov_b32_e32 v13, s31
.LBB16_90:                              ; =>This Inner Loop Header: Depth=1
	v_add_co_u32_e32 v16, vcc, v14, v4
	v_addc_co_u32_e32 v17, vcc, v15, v5, vcc
	v_lshrrev_b32_e32 v19, 31, v17
	v_add_co_u32_e32 v16, vcc, v16, v19
	v_addc_co_u32_e32 v17, vcc, 0, v17, vcc
	v_ashrrev_i64 v[16:17], 1, v[16:17]
	v_lshlrev_b64 v[20:21], 3, v[16:17]
	v_add_co_u32_e32 v20, vcc, s16, v20
	v_addc_co_u32_e32 v21, vcc, v12, v21, vcc
	global_load_dwordx2 v[20:21], v[20:21], off
	s_waitcnt vmcnt(0)
	v_subrev_co_u32_e32 v20, vcc, s30, v20
	v_subb_co_u32_e32 v21, vcc, v21, v13, vcc
	v_cmp_gt_i64_e32 vcc, v[20:21], v[2:3]
	v_cndmask_b32_e32 v14, v14, v16, vcc
	v_cndmask_b32_e32 v15, v15, v17, vcc
	;; [unrolled: 1-line block ×3, first 2 shown]
	v_add_co_u32_e64 v16, s[2:3], -1, v14
	v_cndmask_b32_e32 v5, v17, v5, vcc
	v_addc_co_u32_e64 v17, s[2:3], -1, v15, s[2:3]
	v_cmp_ge_i64_e32 vcc, v[4:5], v[14:15]
	v_cmp_eq_u64_e64 s[2:3], v[4:5], v[16:17]
	s_or_b64 s[2:3], vcc, s[2:3]
	s_and_b64 s[2:3], exec, s[2:3]
	s_or_b64 s[38:39], s[2:3], s[38:39]
	s_andn2_b64 exec, exec, s[38:39]
	s_cbranch_execnz .LBB16_90
; %bb.91:
	s_or_b64 exec, exec, s[38:39]
.LBB16_92:
	v_lshlrev_b64 v[12:13], 3, v[14:15]
	v_mov_b32_e32 v16, s17
	v_add_co_u32_e32 v12, vcc, s16, v12
	v_addc_co_u32_e32 v13, vcc, v16, v13, vcc
	global_load_dwordx2 v[16:17], v[12:13], off
	global_load_dword v19, v[10:11], off offset:1024
	v_mov_b32_e32 v13, s31
	s_waitcnt vmcnt(1)
	v_subrev_co_u32_e32 v16, vcc, s30, v16
	v_subb_co_u32_e32 v17, vcc, v17, v13, vcc
	s_waitcnt vmcnt(0)
	v_subrev_u32_e32 v12, s30, v19
	v_cmp_gt_i64_e32 vcc, v[16:17], v[2:3]
	v_cndmask_b32_e32 v5, v15, v5, vcc
	v_cndmask_b32_e32 v4, v14, v4, vcc
	v_ashrrev_i32_e32 v13, 31, v12
	v_cmp_ne_u64_e32 vcc, v[4:5], v[12:13]
	s_and_saveexec_b64 s[38:39], vcc
	s_cbranch_execz .LBB16_100
; %bb.93:
	s_load_dwordx2 s[2:3], s[18:19], 0x0
	s_waitcnt lgkmcnt(0)
	s_sub_u32 s2, s2, s30
	s_subb_u32 s3, s3, 0
	v_cmp_gt_i64_e32 vcc, s[2:3], v[2:3]
	s_and_b64 exec, exec, vcc
	s_cbranch_execz .LBB16_100
; %bb.94:
	v_cmp_gt_i64_e32 vcc, s[4:5], v[12:13]
	v_cmp_le_i64_e64 s[2:3], s[26:27], v[12:13]
	s_or_b64 s[2:3], vcc, s[2:3]
	v_lshlrev_b64 v[2:3], 3, v[4:5]
	s_and_saveexec_b64 s[40:41], s[2:3]
	s_xor_b64 s[2:3], exec, s[40:41]
	s_cbranch_execz .LBB16_98
; %bb.95:
	v_mov_b32_e32 v14, s23
	v_add_co_u32_e32 v2, vcc, s22, v2
	v_lshlrev_b64 v[4:5], 3, v[12:13]
	v_addc_co_u32_e32 v3, vcc, v14, v3, vcc
	v_mov_b32_e32 v15, s15
	v_add_co_u32_e32 v14, vcc, s14, v4
	global_load_dwordx2 v[2:3], v[2:3], off
	v_addc_co_u32_e32 v15, vcc, v15, v5, vcc
	global_load_dwordx2 v[4:5], v[14:15], off
	ds_read_b64 v[16:17], v18 offset:2048
	s_mov_b64 s[40:41], 0
	s_waitcnt vmcnt(1) lgkmcnt(0)
	v_mul_f64 v[16:17], v[16:17], v[2:3]
.LBB16_96:                              ; =>This Inner Loop Header: Depth=1
	s_waitcnt vmcnt(0)
	v_add_f64 v[2:3], v[4:5], v[16:17]
	global_atomic_cmpswap_x2 v[2:3], v[14:15], v[2:5], off glc
	s_waitcnt vmcnt(0)
	v_cmp_eq_u64_e32 vcc, v[2:3], v[4:5]
	s_or_b64 s[40:41], vcc, s[40:41]
	v_pk_mov_b32 v[4:5], v[2:3], v[2:3] op_sel:[0,1]
	s_andn2_b64 exec, exec, s[40:41]
	s_cbranch_execnz .LBB16_96
; %bb.97:
	s_or_b64 exec, exec, s[40:41]
                                        ; implicit-def: $vgpr2_vgpr3
.LBB16_98:
	s_andn2_saveexec_b64 s[2:3], s[2:3]
	s_cbranch_execz .LBB16_100
; %bb.99:
	v_mov_b32_e32 v4, s23
	v_add_co_u32_e32 v2, vcc, s22, v2
	v_addc_co_u32_e32 v3, vcc, v4, v3, vcc
	global_load_dwordx2 v[2:3], v[2:3], off
	ds_read_b64 v[4:5], v18 offset:2048
	v_subrev_u32_e32 v14, s4, v12
	v_mov_b32_e32 v15, 0x2000
	v_lshl_add_u32 v14, v14, 3, v15
	s_waitcnt vmcnt(0) lgkmcnt(0)
	v_mul_f64 v[2:3], v[4:5], v[2:3]
	ds_add_f64 v14, v[2:3]
.LBB16_100:
	s_or_b64 exec, exec, s[38:39]
	v_lshlrev_b64 v[2:3], 3, v[12:13]
	v_mov_b32_e32 v4, s23
	v_add_co_u32_e32 v2, vcc, s22, v2
	v_addc_co_u32_e32 v3, vcc, v4, v3, vcc
	global_load_dwordx2 v[12:13], v[2:3], off
	ds_read_b64 v[14:15], v18 offset:2048
	v_add_co_u32_e32 v2, vcc, 0x200, v6
	v_addc_co_u32_e32 v3, vcc, 0, v7, vcc
	v_pk_mov_b32 v[4:5], s[24:25], s[24:25] op_sel:[0,1]
	s_and_b64 vcc, exec, s[0:1]
	s_waitcnt vmcnt(0) lgkmcnt(0)
	v_mul_f64 v[6:7], v[12:13], v[14:15]
	v_pk_mov_b32 v[12:13], s[36:37], s[36:37] op_sel:[0,1]
	ds_write_b64 v18, v[6:7] offset:2048
	s_cbranch_vccnz .LBB16_104
; %bb.101:
	s_mov_b64 s[38:39], 0
	v_pk_mov_b32 v[4:5], s[24:25], s[24:25] op_sel:[0,1]
	v_pk_mov_b32 v[12:13], s[36:37], s[36:37] op_sel:[0,1]
	v_mov_b32_e32 v6, s17
	v_mov_b32_e32 v7, s31
.LBB16_102:                             ; =>This Inner Loop Header: Depth=1
	v_add_co_u32_e32 v14, vcc, v12, v4
	v_addc_co_u32_e32 v15, vcc, v13, v5, vcc
	v_lshrrev_b32_e32 v16, 31, v15
	v_add_co_u32_e32 v14, vcc, v14, v16
	v_addc_co_u32_e32 v15, vcc, 0, v15, vcc
	v_ashrrev_i64 v[14:15], 1, v[14:15]
	v_lshlrev_b64 v[16:17], 3, v[14:15]
	v_add_co_u32_e32 v16, vcc, s16, v16
	v_addc_co_u32_e32 v17, vcc, v6, v17, vcc
	global_load_dwordx2 v[16:17], v[16:17], off
	s_waitcnt vmcnt(0)
	v_subrev_co_u32_e32 v16, vcc, s30, v16
	v_subb_co_u32_e32 v17, vcc, v17, v7, vcc
	v_cmp_gt_i64_e32 vcc, v[16:17], v[2:3]
	v_cndmask_b32_e32 v12, v12, v14, vcc
	v_cndmask_b32_e32 v13, v13, v15, vcc
	;; [unrolled: 1-line block ×3, first 2 shown]
	v_add_co_u32_e64 v14, s[2:3], -1, v12
	v_cndmask_b32_e32 v5, v15, v5, vcc
	v_addc_co_u32_e64 v15, s[2:3], -1, v13, s[2:3]
	v_cmp_ge_i64_e32 vcc, v[4:5], v[12:13]
	v_cmp_eq_u64_e64 s[2:3], v[4:5], v[14:15]
	s_or_b64 s[2:3], vcc, s[2:3]
	s_and_b64 s[2:3], exec, s[2:3]
	s_or_b64 s[38:39], s[2:3], s[38:39]
	s_andn2_b64 exec, exec, s[38:39]
	s_cbranch_execnz .LBB16_102
; %bb.103:
	s_or_b64 exec, exec, s[38:39]
.LBB16_104:
	v_lshlrev_b64 v[6:7], 3, v[12:13]
	v_mov_b32_e32 v14, s17
	v_add_co_u32_e32 v6, vcc, s16, v6
	v_addc_co_u32_e32 v7, vcc, v14, v7, vcc
	global_load_dwordx2 v[14:15], v[6:7], off
	global_load_dword v16, v[10:11], off offset:2048
	v_mov_b32_e32 v7, s31
	s_waitcnt vmcnt(1)
	v_subrev_co_u32_e32 v14, vcc, s30, v14
	v_subb_co_u32_e32 v15, vcc, v15, v7, vcc
	s_waitcnt vmcnt(0)
	v_subrev_u32_e32 v6, s30, v16
	v_cmp_gt_i64_e32 vcc, v[14:15], v[2:3]
	v_cndmask_b32_e32 v5, v13, v5, vcc
	v_cndmask_b32_e32 v4, v12, v4, vcc
	v_ashrrev_i32_e32 v7, 31, v6
	v_cmp_ne_u64_e32 vcc, v[4:5], v[6:7]
	s_and_saveexec_b64 s[38:39], vcc
	s_cbranch_execz .LBB16_112
; %bb.105:
	s_load_dwordx2 s[2:3], s[18:19], 0x0
	s_waitcnt lgkmcnt(0)
	s_sub_u32 s2, s2, s30
	s_subb_u32 s3, s3, 0
	v_cmp_gt_i64_e32 vcc, s[2:3], v[2:3]
	s_and_b64 exec, exec, vcc
	s_cbranch_execz .LBB16_112
; %bb.106:
	v_cmp_gt_i64_e32 vcc, s[4:5], v[6:7]
	v_cmp_le_i64_e64 s[2:3], s[26:27], v[6:7]
	s_or_b64 s[2:3], vcc, s[2:3]
	v_lshlrev_b64 v[2:3], 3, v[4:5]
	s_and_saveexec_b64 s[40:41], s[2:3]
	s_xor_b64 s[2:3], exec, s[40:41]
	s_cbranch_execz .LBB16_110
; %bb.107:
	v_mov_b32_e32 v12, s23
	v_add_co_u32_e32 v2, vcc, s22, v2
	v_lshlrev_b64 v[4:5], 3, v[6:7]
	v_addc_co_u32_e32 v3, vcc, v12, v3, vcc
	v_mov_b32_e32 v13, s15
	v_add_co_u32_e32 v12, vcc, s14, v4
	global_load_dwordx2 v[2:3], v[2:3], off
	v_addc_co_u32_e32 v13, vcc, v13, v5, vcc
	global_load_dwordx2 v[4:5], v[12:13], off
	ds_read_b64 v[14:15], v18 offset:4096
	s_mov_b64 s[40:41], 0
	s_waitcnt vmcnt(1) lgkmcnt(0)
	v_mul_f64 v[14:15], v[14:15], v[2:3]
.LBB16_108:                             ; =>This Inner Loop Header: Depth=1
	s_waitcnt vmcnt(0)
	v_add_f64 v[2:3], v[4:5], v[14:15]
	global_atomic_cmpswap_x2 v[2:3], v[12:13], v[2:5], off glc
	s_waitcnt vmcnt(0)
	v_cmp_eq_u64_e32 vcc, v[2:3], v[4:5]
	s_or_b64 s[40:41], vcc, s[40:41]
	v_pk_mov_b32 v[4:5], v[2:3], v[2:3] op_sel:[0,1]
	s_andn2_b64 exec, exec, s[40:41]
	s_cbranch_execnz .LBB16_108
; %bb.109:
	s_or_b64 exec, exec, s[40:41]
                                        ; implicit-def: $vgpr2_vgpr3
.LBB16_110:
	s_andn2_saveexec_b64 s[2:3], s[2:3]
	s_cbranch_execz .LBB16_112
; %bb.111:
	v_mov_b32_e32 v4, s23
	v_add_co_u32_e32 v2, vcc, s22, v2
	v_addc_co_u32_e32 v3, vcc, v4, v3, vcc
	global_load_dwordx2 v[2:3], v[2:3], off
	ds_read_b64 v[4:5], v18 offset:4096
	v_subrev_u32_e32 v12, s4, v6
	v_mov_b32_e32 v13, 0x2000
	v_lshl_add_u32 v12, v12, 3, v13
	s_waitcnt vmcnt(0) lgkmcnt(0)
	v_mul_f64 v[2:3], v[4:5], v[2:3]
	ds_add_f64 v12, v[2:3]
.LBB16_112:
	s_or_b64 exec, exec, s[38:39]
	v_lshlrev_b64 v[2:3], 3, v[6:7]
	v_mov_b32_e32 v4, s23
	v_add_co_u32_e32 v2, vcc, s22, v2
	v_addc_co_u32_e32 v3, vcc, v4, v3, vcc
	global_load_dwordx2 v[4:5], v[2:3], off
	ds_read_b64 v[6:7], v18 offset:4096
	s_and_b64 vcc, exec, s[0:1]
	v_pk_mov_b32 v[2:3], s[24:25], s[24:25] op_sel:[0,1]
	s_waitcnt vmcnt(0) lgkmcnt(0)
	v_mul_f64 v[4:5], v[4:5], v[6:7]
	ds_write_b64 v18, v[4:5] offset:4096
	v_pk_mov_b32 v[4:5], s[36:37], s[36:37] op_sel:[0,1]
	s_cbranch_vccnz .LBB16_116
; %bb.113:
	s_mov_b64 s[2:3], 0
	v_pk_mov_b32 v[2:3], s[24:25], s[24:25] op_sel:[0,1]
	v_pk_mov_b32 v[4:5], s[36:37], s[36:37] op_sel:[0,1]
	v_mov_b32_e32 v6, s17
	v_mov_b32_e32 v7, s31
.LBB16_114:                             ; =>This Inner Loop Header: Depth=1
	v_add_co_u32_e32 v12, vcc, v4, v2
	v_addc_co_u32_e32 v13, vcc, v5, v3, vcc
	v_lshrrev_b32_e32 v14, 31, v13
	v_add_co_u32_e32 v12, vcc, v12, v14
	v_addc_co_u32_e32 v13, vcc, 0, v13, vcc
	v_ashrrev_i64 v[12:13], 1, v[12:13]
	v_lshlrev_b64 v[14:15], 3, v[12:13]
	v_add_co_u32_e32 v14, vcc, s16, v14
	v_addc_co_u32_e32 v15, vcc, v6, v15, vcc
	global_load_dwordx2 v[14:15], v[14:15], off
	s_waitcnt vmcnt(0)
	v_subrev_co_u32_e32 v14, vcc, s30, v14
	v_subb_co_u32_e32 v15, vcc, v15, v7, vcc
	v_cmp_gt_i64_e32 vcc, v[14:15], v[8:9]
	v_cndmask_b32_e32 v4, v4, v12, vcc
	v_cndmask_b32_e32 v5, v5, v13, vcc
	v_cndmask_b32_e32 v2, v12, v2, vcc
	v_add_co_u32_e64 v12, s[0:1], -1, v4
	v_cndmask_b32_e32 v3, v13, v3, vcc
	v_addc_co_u32_e64 v13, s[0:1], -1, v5, s[0:1]
	v_cmp_ge_i64_e32 vcc, v[2:3], v[4:5]
	v_cmp_eq_u64_e64 s[0:1], v[2:3], v[12:13]
	s_or_b64 s[0:1], vcc, s[0:1]
	s_and_b64 s[0:1], exec, s[0:1]
	s_or_b64 s[2:3], s[0:1], s[2:3]
	s_andn2_b64 exec, exec, s[2:3]
	s_cbranch_execnz .LBB16_114
; %bb.115:
	s_or_b64 exec, exec, s[2:3]
.LBB16_116:
	v_lshlrev_b64 v[6:7], 3, v[4:5]
	v_mov_b32_e32 v12, s17
	v_add_co_u32_e32 v6, vcc, s16, v6
	v_addc_co_u32_e32 v7, vcc, v12, v7, vcc
	global_load_dword v13, v[10:11], off offset:3072
	s_nop 0
	global_load_dwordx2 v[10:11], v[6:7], off
	v_mov_b32_e32 v7, s31
	s_waitcnt vmcnt(1)
	v_subrev_u32_e32 v6, s30, v13
	s_waitcnt vmcnt(0)
	v_subrev_co_u32_e32 v10, vcc, s30, v10
	v_subb_co_u32_e32 v11, vcc, v11, v7, vcc
	v_cmp_gt_i64_e32 vcc, v[10:11], v[8:9]
	v_cndmask_b32_e32 v3, v5, v3, vcc
	v_cndmask_b32_e32 v2, v4, v2, vcc
	v_ashrrev_i32_e32 v7, 31, v6
	v_cmp_ne_u64_e32 vcc, v[2:3], v[6:7]
	s_and_saveexec_b64 s[2:3], vcc
	s_cbranch_execz .LBB16_124
; %bb.117:
	s_load_dwordx2 s[0:1], s[18:19], 0x0
	s_waitcnt lgkmcnt(0)
	s_sub_u32 s0, s0, s30
	s_subb_u32 s1, s1, 0
	v_cmp_gt_i64_e32 vcc, s[0:1], v[8:9]
	s_and_b64 exec, exec, vcc
	s_cbranch_execz .LBB16_124
; %bb.118:
	v_cmp_gt_i64_e32 vcc, s[4:5], v[6:7]
	v_cmp_le_i64_e64 s[0:1], s[26:27], v[6:7]
	s_or_b64 s[0:1], vcc, s[0:1]
	v_lshlrev_b64 v[2:3], 3, v[2:3]
	s_and_saveexec_b64 s[18:19], s[0:1]
	s_xor_b64 s[0:1], exec, s[18:19]
	s_cbranch_execz .LBB16_122
; %bb.119:
	v_mov_b32_e32 v8, s23
	v_add_co_u32_e32 v2, vcc, s22, v2
	v_lshlrev_b64 v[4:5], 3, v[6:7]
	v_addc_co_u32_e32 v3, vcc, v8, v3, vcc
	v_mov_b32_e32 v9, s15
	v_add_co_u32_e32 v8, vcc, s14, v4
	global_load_dwordx2 v[2:3], v[2:3], off
	v_addc_co_u32_e32 v9, vcc, v9, v5, vcc
	global_load_dwordx2 v[4:5], v[8:9], off
	ds_read_b64 v[10:11], v18 offset:6144
	s_mov_b64 s[18:19], 0
	s_waitcnt vmcnt(1) lgkmcnt(0)
	v_mul_f64 v[10:11], v[10:11], v[2:3]
.LBB16_120:                             ; =>This Inner Loop Header: Depth=1
	s_waitcnt vmcnt(0)
	v_add_f64 v[2:3], v[4:5], v[10:11]
	global_atomic_cmpswap_x2 v[2:3], v[8:9], v[2:5], off glc
	s_waitcnt vmcnt(0)
	v_cmp_eq_u64_e32 vcc, v[2:3], v[4:5]
	s_or_b64 s[18:19], vcc, s[18:19]
	v_pk_mov_b32 v[4:5], v[2:3], v[2:3] op_sel:[0,1]
	s_andn2_b64 exec, exec, s[18:19]
	s_cbranch_execnz .LBB16_120
; %bb.121:
	s_or_b64 exec, exec, s[18:19]
                                        ; implicit-def: $vgpr2_vgpr3
.LBB16_122:
	s_andn2_saveexec_b64 s[0:1], s[0:1]
	s_cbranch_execz .LBB16_124
; %bb.123:
	v_mov_b32_e32 v4, s23
	v_add_co_u32_e32 v2, vcc, s22, v2
	v_addc_co_u32_e32 v3, vcc, v4, v3, vcc
	global_load_dwordx2 v[2:3], v[2:3], off
	ds_read_b64 v[4:5], v18 offset:6144
	v_subrev_u32_e32 v8, s4, v6
	v_mov_b32_e32 v9, 0x2000
	v_lshl_add_u32 v8, v8, 3, v9
	s_waitcnt vmcnt(0) lgkmcnt(0)
	v_mul_f64 v[2:3], v[4:5], v[2:3]
	ds_add_f64 v8, v[2:3]
.LBB16_124:
	s_or_b64 exec, exec, s[2:3]
	v_lshlrev_b64 v[2:3], 3, v[6:7]
	v_mov_b32_e32 v4, s23
	v_add_co_u32_e32 v2, vcc, s22, v2
	v_addc_co_u32_e32 v3, vcc, v4, v3, vcc
	global_load_dwordx2 v[2:3], v[2:3], off
	ds_read_b64 v[4:5], v18 offset:6144
	s_waitcnt vmcnt(0) lgkmcnt(0)
	v_mul_f64 v[2:3], v[2:3], v[4:5]
	ds_write_b64 v18, v[2:3] offset:6144
.LBB16_125:
	s_or_b64 exec, exec, s[20:21]
	v_pk_mov_b32 v[2:3], s[6:7], s[6:7] op_sel:[0,1]
	v_cmp_lt_i64_e32 vcc, s[26:27], v[2:3]
	s_and_b64 s[0:1], vcc, exec
	s_cselect_b32 s18, s26, s6
	s_cselect_b32 s0, s27, s7
	s_sub_u32 s2, s18, s28
	s_subb_u32 s3, s0, s29
	v_cmp_gt_i64_e32 vcc, s[2:3], v[0:1]
	s_waitcnt lgkmcnt(0)
	s_barrier
	s_and_saveexec_b64 s[0:1], vcc
	s_cbranch_execz .LBB16_130
; %bb.126:
	s_lshl_b64 s[4:5], s[4:5], 3
	s_add_u32 s19, s14, s4
	s_addc_u32 s6, s15, s5
	s_mov_b64 s[4:5], 0
	v_mov_b32_e32 v12, s6
	v_mov_b32_e32 v13, 0x2000
	v_pk_mov_b32 v[6:7], v[0:1], v[0:1] op_sel:[0,1]
.LBB16_127:                             ; =>This Loop Header: Depth=1
                                        ;     Child Loop BB16_128 Depth 2
	v_lshlrev_b64 v[2:3], 3, v[6:7]
	v_add_co_u32_e32 v8, vcc, s19, v2
	v_addc_co_u32_e32 v9, vcc, v12, v3, vcc
	global_load_dwordx2 v[4:5], v[8:9], off
	v_lshl_add_u32 v2, v6, 3, v13
	ds_read_b64 v[10:11], v2
	s_mov_b64 s[6:7], 0
.LBB16_128:                             ;   Parent Loop BB16_127 Depth=1
                                        ; =>  This Inner Loop Header: Depth=2
	s_waitcnt vmcnt(0) lgkmcnt(0)
	v_add_f64 v[2:3], v[4:5], v[10:11]
	global_atomic_cmpswap_x2 v[2:3], v[8:9], v[2:5], off glc
	s_waitcnt vmcnt(0)
	v_cmp_eq_u64_e32 vcc, v[2:3], v[4:5]
	s_or_b64 s[6:7], vcc, s[6:7]
	v_pk_mov_b32 v[4:5], v[2:3], v[2:3] op_sel:[0,1]
	s_andn2_b64 exec, exec, s[6:7]
	s_cbranch_execnz .LBB16_128
; %bb.129:                              ;   in Loop: Header=BB16_127 Depth=1
	s_or_b64 exec, exec, s[6:7]
	v_add_co_u32_e32 v6, vcc, 0x100, v6
	v_addc_co_u32_e32 v7, vcc, 0, v7, vcc
	v_cmp_le_i64_e32 vcc, s[2:3], v[6:7]
	s_or_b64 s[4:5], vcc, s[4:5]
	s_andn2_b64 exec, exec, s[4:5]
	s_cbranch_execnz .LBB16_127
.LBB16_130:
	s_or_b64 exec, exec, s[0:1]
	s_add_i32 s0, s34, -1
	s_ashr_i32 s1, s0, 1
	s_or_b32 s0, s1, s0
	s_ashr_i32 s1, s0, 2
	s_or_b32 s0, s1, s0
	s_ashr_i32 s1, s0, 4
	s_or_b32 s0, s1, s0
	s_ashr_i32 s1, s0, 8
	s_or_b32 s0, s1, s0
	s_ashr_i32 s1, s0, 16
	s_or_b32 s3, s1, s0
	s_add_i32 s3, s3, 1
	s_ashr_i32 s20, s3, 1
	v_mov_b32_e32 v2, s25
	v_add_co_u32_e32 v6, vcc, s24, v0
	v_addc_co_u32_e32 v7, vcc, 0, v2, vcc
	s_cmp_gt_i32 s20, 1
	s_mov_b64 s[0:1], -1
	s_barrier
	s_cbranch_scc1 .LBB16_141
; %bb.131:
	v_cmp_gt_i64_e32 vcc, s[26:27], v[6:7]
	s_and_saveexec_b64 s[0:1], vcc
	s_cbranch_execz .LBB16_140
; %bb.132:
	s_sub_i32 s4, s18, s26
	s_lshl_b32 s4, s4, 3
	s_add_i32 s21, s4, 0x2000
	s_lshl_b32 s4, s8, 3
	s_sub_i32 s22, 0, s4
	s_mov_b64 s[4:5], 0
	v_mov_b32_e32 v16, s17
	v_mov_b32_e32 v17, s15
	;; [unrolled: 1-line block ×3, first 2 shown]
	v_pk_mov_b32 v[8:9], v[6:7], v[6:7] op_sel:[0,1]
.LBB16_133:                             ; =>This Loop Header: Depth=1
                                        ;     Child Loop BB16_135 Depth 2
                                        ;     Child Loop BB16_138 Depth 2
	v_lshlrev_b64 v[10:11], 3, v[8:9]
	v_add_co_u32_e32 v2, vcc, s16, v10
	v_addc_co_u32_e32 v3, vcc, v16, v11, vcc
	global_load_dwordx4 v[2:5], v[2:3], off
	v_pk_mov_b32 v[12:13], 0, 0
	s_waitcnt vmcnt(0)
	v_cmp_lt_i64_e32 vcc, v[2:3], v[4:5]
	s_and_saveexec_b64 s[6:7], vcc
	s_cbranch_execz .LBB16_137
; %bb.134:                              ;   in Loop: Header=BB16_133 Depth=1
	v_mov_b32_e32 v12, s9
	v_subrev_co_u32_e32 v4, vcc, s8, v4
	v_subb_co_u32_e32 v5, vcc, v5, v12, vcc
	v_subrev_co_u32_e32 v14, vcc, s8, v2
	v_subb_co_u32_e32 v15, vcc, v3, v12, vcc
	v_lshl_add_u32 v2, v2, 3, s22
	s_mov_b64 s[18:19], 0
	v_pk_mov_b32 v[12:13], 0, 0
.LBB16_135:                             ;   Parent Loop BB16_133 Depth=1
                                        ; =>  This Inner Loop Header: Depth=2
	ds_read_b64 v[20:21], v2
	v_add_co_u32_e32 v14, vcc, 1, v14
	v_addc_co_u32_e32 v15, vcc, 0, v15, vcc
	v_cmp_ge_i64_e32 vcc, v[14:15], v[4:5]
	v_add_u32_e32 v2, 8, v2
	s_or_b64 s[18:19], vcc, s[18:19]
	s_waitcnt lgkmcnt(0)
	v_add_f64 v[12:13], v[12:13], v[20:21]
	s_andn2_b64 exec, exec, s[18:19]
	s_cbranch_execnz .LBB16_135
; %bb.136:                              ;   in Loop: Header=BB16_133 Depth=1
	s_or_b64 exec, exec, s[18:19]
.LBB16_137:                             ;   in Loop: Header=BB16_133 Depth=1
	s_or_b64 exec, exec, s[6:7]
	v_add_co_u32_e32 v10, vcc, s14, v10
	v_addc_co_u32_e32 v11, vcc, v17, v11, vcc
	global_load_dwordx2 v[4:5], v[10:11], off
	v_lshl_add_u32 v2, v8, 3, s21
	ds_read_b64 v[2:3], v2
	s_mov_b64 s[6:7], 0
	s_waitcnt lgkmcnt(0)
	v_add_f64 v[12:13], v[12:13], v[2:3]
.LBB16_138:                             ;   Parent Loop BB16_133 Depth=1
                                        ; =>  This Inner Loop Header: Depth=2
	s_waitcnt vmcnt(0)
	v_add_f64 v[2:3], v[4:5], v[12:13]
	global_atomic_cmpswap_x2 v[2:3], v[10:11], v[2:5], off glc
	s_waitcnt vmcnt(0)
	v_cmp_eq_u64_e32 vcc, v[2:3], v[4:5]
	s_or_b64 s[6:7], vcc, s[6:7]
	v_pk_mov_b32 v[4:5], v[2:3], v[2:3] op_sel:[0,1]
	s_andn2_b64 exec, exec, s[6:7]
	s_cbranch_execnz .LBB16_138
; %bb.139:                              ;   in Loop: Header=BB16_133 Depth=1
	s_or_b64 exec, exec, s[6:7]
	v_add_co_u32_e32 v8, vcc, s12, v8
	v_addc_co_u32_e32 v9, vcc, v9, v19, vcc
	v_cmp_le_i64_e32 vcc, s[26:27], v[8:9]
	s_or_b64 s[4:5], vcc, s[4:5]
	s_andn2_b64 exec, exec, s[4:5]
	s_cbranch_execnz .LBB16_133
.LBB16_140:
	s_or_b64 exec, exec, s[0:1]
	s_mov_b64 s[0:1], 0
.LBB16_141:
	s_andn2_b64 vcc, exec, s[0:1]
	s_cbranch_vccnz .LBB16_170
; %bb.142:
	v_cvt_f32_u32_e32 v14, s20
	s_sub_i32 s6, 0, s20
	v_mov_b32_e32 v11, 0
	v_mov_b32_e32 v4, s11
	v_rcp_iflag_f32_e32 v2, v14
	v_mov_b32_e32 v12, s9
	v_mul_f32_e32 v2, 0x4f7ffffe, v2
	v_cvt_u32_f32_e32 v2, v2
	v_mul_lo_u32 v3, s6, v2
	v_mul_hi_u32 v3, v2, v3
	v_add_u32_e32 v2, v2, v3
	v_mul_hi_u32 v2, v0, v2
	v_mul_lo_u32 v3, v2, s20
	v_sub_u32_e32 v3, v0, v3
	v_add_u32_e32 v5, 1, v2
	v_cmp_le_u32_e32 vcc, s20, v3
	v_cndmask_b32_e32 v2, v2, v5, vcc
	v_subrev_u32_e32 v5, s20, v3
	v_cndmask_b32_e32 v3, v3, v5, vcc
	v_add_u32_e32 v5, 1, v2
	v_cmp_le_u32_e32 vcc, s20, v3
	v_cndmask_b32_e32 v10, v2, v5, vcc
	v_lshlrev_b64 v[2:3], 3, v[10:11]
	v_add_co_u32_e32 v2, vcc, s10, v2
	v_addc_co_u32_e32 v3, vcc, v4, v3, vcc
	global_load_dwordx4 v[2:5], v[2:3], off
	s_waitcnt vmcnt(0)
	v_subrev_co_u32_e32 v8, vcc, s8, v2
	v_subb_co_u32_e32 v9, vcc, v3, v12, vcc
	v_subrev_co_u32_e32 v19, vcc, s8, v4
	v_subb_co_u32_e32 v20, vcc, v5, v12, vcc
	v_sub_co_u32_e32 v3, vcc, v19, v8
	v_subb_co_u32_e32 v13, vcc, v20, v9, vcc
	v_mov_b32_e32 v12, v11
	v_cmp_ne_u64_e32 vcc, 0, v[12:13]
                                        ; implicit-def: $vgpr4_vgpr5
	s_and_saveexec_b64 s[0:1], vcc
	s_xor_b64 s[4:5], exec, s[0:1]
	s_cbranch_execz .LBB16_144
; %bb.143:
	v_cvt_f32_ubyte0_e32 v4, 0
	v_madmk_f32 v4, v4, 0x4f800000, v14
	v_rcp_f32_e32 v4, v4
	s_sub_u32 s0, 0, s20
	s_subb_u32 s1, 0, 0
	v_mul_f32_e32 v4, 0x5f7ffffc, v4
	v_mul_f32_e32 v5, 0x2f800000, v4
	v_trunc_f32_e32 v5, v5
	v_madmk_f32 v4, v5, 0xcf800000, v4
	v_cvt_u32_f32_e32 v5, v5
	v_cvt_u32_f32_e32 v4, v4
	v_mul_lo_u32 v12, s0, v5
	v_mul_hi_u32 v15, s0, v4
	v_mul_lo_u32 v14, s1, v4
	v_add_u32_e32 v12, v15, v12
	v_add_u32_e32 v12, v12, v14
	v_mul_lo_u32 v16, s0, v4
	v_mul_lo_u32 v15, v4, v12
	v_mul_hi_u32 v17, v4, v16
	v_mul_hi_u32 v14, v4, v12
	v_add_co_u32_e32 v15, vcc, v17, v15
	v_addc_co_u32_e32 v14, vcc, 0, v14, vcc
	v_mul_hi_u32 v21, v5, v16
	v_mul_lo_u32 v16, v5, v16
	v_add_co_u32_e32 v15, vcc, v15, v16
	v_mul_hi_u32 v17, v5, v12
	v_addc_co_u32_e32 v14, vcc, v14, v21, vcc
	v_addc_co_u32_e32 v15, vcc, 0, v17, vcc
	v_mul_lo_u32 v12, v5, v12
	v_add_co_u32_e32 v12, vcc, v14, v12
	v_addc_co_u32_e32 v14, vcc, 0, v15, vcc
	v_add_co_u32_e32 v4, vcc, v4, v12
	v_addc_co_u32_e32 v5, vcc, v5, v14, vcc
	v_mul_lo_u32 v12, s0, v5
	v_mul_hi_u32 v14, s0, v4
	v_add_u32_e32 v12, v14, v12
	v_mul_lo_u32 v14, s1, v4
	v_add_u32_e32 v12, v12, v14
	v_mul_lo_u32 v15, s0, v4
	v_mul_hi_u32 v16, v5, v15
	v_mul_lo_u32 v17, v5, v15
	v_mul_lo_u32 v22, v4, v12
	v_mul_hi_u32 v15, v4, v15
	v_mul_hi_u32 v21, v4, v12
	v_add_co_u32_e32 v15, vcc, v15, v22
	v_addc_co_u32_e32 v21, vcc, 0, v21, vcc
	v_add_co_u32_e32 v15, vcc, v15, v17
	v_mul_hi_u32 v14, v5, v12
	v_addc_co_u32_e32 v15, vcc, v21, v16, vcc
	v_addc_co_u32_e32 v14, vcc, 0, v14, vcc
	v_mul_lo_u32 v12, v5, v12
	v_add_co_u32_e32 v12, vcc, v15, v12
	v_addc_co_u32_e32 v14, vcc, 0, v14, vcc
	v_add_co_u32_e32 v12, vcc, v4, v12
	v_addc_co_u32_e32 v14, vcc, v5, v14, vcc
	v_ashrrev_i32_e32 v15, 31, v13
	v_add_co_u32_e32 v3, vcc, v3, v15
	v_addc_co_u32_e32 v4, vcc, v13, v15, vcc
	v_xor_b32_e32 v3, v3, v15
	v_xor_b32_e32 v16, v4, v15
	v_mad_u64_u32 v[4:5], s[0:1], v3, v14, 0
	v_mul_hi_u32 v13, v3, v12
	v_add_co_u32_e32 v17, vcc, v13, v4
	v_addc_co_u32_e32 v21, vcc, 0, v5, vcc
	v_mad_u64_u32 v[12:13], s[0:1], v16, v12, 0
	v_add_co_u32_e32 v12, vcc, v17, v12
	v_mad_u64_u32 v[4:5], s[0:1], v16, v14, 0
	v_addc_co_u32_e32 v12, vcc, v21, v13, vcc
	v_addc_co_u32_e32 v5, vcc, 0, v5, vcc
	v_add_co_u32_e32 v14, vcc, v12, v4
	v_addc_co_u32_e32 v17, vcc, 0, v5, vcc
	v_mad_u64_u32 v[4:5], s[0:1], s20, v14, 0
	v_mov_b32_e32 v12, v5
	v_mad_u64_u32 v[12:13], s[0:1], s20, v17, v[12:13]
	v_sub_co_u32_e32 v3, vcc, v3, v4
	v_subb_co_u32_e32 v4, vcc, v16, v12, vcc
	v_subrev_co_u32_e32 v5, vcc, s20, v3
	v_subbrev_co_u32_e32 v12, vcc, 0, v4, vcc
	v_cmp_le_u32_e32 vcc, s20, v5
	v_cndmask_b32_e64 v5, 0, -1, vcc
	v_cmp_eq_u32_e32 vcc, 0, v12
	v_cndmask_b32_e32 v5, -1, v5, vcc
	v_add_co_u32_e32 v12, vcc, 2, v14
	v_addc_co_u32_e32 v13, vcc, 0, v17, vcc
	v_add_co_u32_e32 v16, vcc, 1, v14
	v_cmp_le_u32_e64 s[0:1], s20, v3
	v_addc_co_u32_e32 v21, vcc, 0, v17, vcc
	v_cndmask_b32_e64 v3, 0, -1, s[0:1]
	v_cmp_eq_u32_e64 s[0:1], 0, v4
	v_cmp_ne_u32_e32 vcc, 0, v5
	v_cndmask_b32_e64 v3, -1, v3, s[0:1]
	v_cmp_ne_u32_e64 s[0:1], 0, v3
	v_cndmask_b32_e32 v4, v16, v12, vcc
	v_cndmask_b32_e32 v5, v21, v13, vcc
	v_cndmask_b32_e64 v4, v14, v4, s[0:1]
	v_cndmask_b32_e64 v3, v17, v5, s[0:1]
	v_xor_b32_e32 v4, v4, v15
	v_xor_b32_e32 v3, v3, v15
	v_sub_co_u32_e32 v4, vcc, v4, v15
	v_subb_co_u32_e32 v5, vcc, v3, v15, vcc
                                        ; implicit-def: $vgpr3
.LBB16_144:
	s_andn2_saveexec_b64 s[0:1], s[4:5]
	s_cbranch_execz .LBB16_146
; %bb.145:
	v_cvt_f32_u32_e32 v4, s20
	v_rcp_iflag_f32_e32 v4, v4
	v_mul_f32_e32 v4, 0x4f7ffffe, v4
	v_cvt_u32_f32_e32 v4, v4
	v_mul_lo_u32 v5, s6, v4
	v_mul_hi_u32 v5, v4, v5
	v_add_u32_e32 v4, v4, v5
	v_mul_hi_u32 v4, v3, v4
	v_mul_lo_u32 v5, v4, s20
	v_sub_u32_e32 v3, v3, v5
	v_add_u32_e32 v12, 1, v4
	v_subrev_u32_e32 v5, s20, v3
	v_cmp_le_u32_e32 vcc, s20, v3
	v_cndmask_b32_e32 v3, v3, v5, vcc
	v_cndmask_b32_e32 v4, v4, v12, vcc
	v_add_u32_e32 v5, 1, v4
	v_cmp_le_u32_e32 vcc, s20, v3
	v_cndmask_b32_e32 v4, v4, v5, vcc
	v_mov_b32_e32 v5, 0
.LBB16_146:
	s_or_b64 exec, exec, s[0:1]
	v_cmp_gt_i64_e32 vcc, s[28:29], v[10:11]
	v_pk_mov_b32 v[12:13], 0, 0
	s_and_saveexec_b64 s[0:1], vcc
	s_cbranch_execz .LBB16_160
; %bb.147:
	s_add_i32 s4, s20, -1
	v_and_b32_e32 v10, s4, v0
	v_cmp_lt_i64_e32 vcc, 0, v[4:5]
	v_pk_mov_b32 v[12:13], 0, 0
	s_and_saveexec_b64 s[4:5], vcc
	s_cbranch_execz .LBB16_157
; %bb.148:
	v_cmp_lt_u64_e32 vcc, 3, v[4:5]
	v_pk_mov_b32 v[14:15], 0, 0
	v_pk_mov_b32 v[12:13], 0, 0
	s_and_saveexec_b64 s[6:7], vcc
	s_cbranch_execz .LBB16_152
; %bb.149:
	s_lshl_b32 s10, s8, 3
	s_lshl_b32 s11, s20, 4
	;; [unrolled: 1-line block ×3, first 2 shown]
	v_lshlrev_b32_e32 v3, 3, v2
	s_sub_i32 s17, s11, s10
	s_mul_i32 s11, s20, 24
	v_and_b32_e32 v15, 0x7fffffff, v5
	v_and_b32_e32 v14, -4, v4
	s_sub_i32 s9, s9, s10
	v_lshl_add_u32 v3, v10, 3, v3
	s_lshl_b32 s16, s20, 5
	s_sub_i32 s18, s11, s10
	s_sub_i32 s19, 0, s10
	s_mov_b64 s[10:11], 0
	v_pk_mov_b32 v[12:13], 0, 0
	s_mov_b64 s[12:13], 0
.LBB16_150:                             ; =>This Inner Loop Header: Depth=1
	v_add_u32_e32 v11, s19, v3
	v_add_u32_e32 v24, s17, v3
	;; [unrolled: 1-line block ×4, first 2 shown]
	ds_read_b64 v[16:17], v11
	ds_read_b64 v[22:23], v21
	;; [unrolled: 1-line block ×4, first 2 shown]
	s_add_u32 s12, s12, 4
	s_waitcnt lgkmcnt(3)
	v_add_f64 v[12:13], v[12:13], v[16:17]
	s_addc_u32 s13, s13, 0
	s_waitcnt lgkmcnt(2)
	v_add_f64 v[12:13], v[12:13], v[22:23]
	v_cmp_eq_u64_e32 vcc, s[12:13], v[14:15]
	s_waitcnt lgkmcnt(1)
	v_add_f64 v[12:13], v[12:13], v[24:25]
	v_add_u32_e32 v3, s16, v3
	s_or_b64 s[10:11], vcc, s[10:11]
	s_waitcnt lgkmcnt(0)
	v_add_f64 v[12:13], v[12:13], v[26:27]
	s_andn2_b64 exec, exec, s[10:11]
	s_cbranch_execnz .LBB16_150
; %bb.151:
	s_or_b64 exec, exec, s[10:11]
.LBB16_152:
	s_or_b64 exec, exec, s[6:7]
	v_and_b32_e32 v16, 3, v4
	v_mov_b32_e32 v17, 0
	s_mov_b64 s[10:11], 0
	v_cmp_ne_u64_e32 vcc, 0, v[16:17]
	s_and_saveexec_b64 s[6:7], vcc
	s_cbranch_execz .LBB16_156
; %bb.153:
	v_mul_lo_u32 v3, s20, v14
	v_add3_u32 v2, v10, v3, v2
	v_subrev_u32_e32 v2, s8, v2
	v_lshlrev_b32_e32 v2, 3, v2
	s_lshl_b32 s8, s20, 3
.LBB16_154:                             ; =>This Inner Loop Header: Depth=1
	ds_read_b64 v[14:15], v2
	v_add_co_u32_e32 v16, vcc, -1, v16
	v_addc_co_u32_e32 v17, vcc, -1, v17, vcc
	v_cmp_eq_u64_e32 vcc, 0, v[16:17]
	v_add_u32_e32 v2, s8, v2
	s_or_b64 s[10:11], vcc, s[10:11]
	s_waitcnt lgkmcnt(0)
	v_add_f64 v[12:13], v[12:13], v[14:15]
	s_andn2_b64 exec, exec, s[10:11]
	s_cbranch_execnz .LBB16_154
; %bb.155:
	s_or_b64 exec, exec, s[10:11]
.LBB16_156:
	s_or_b64 exec, exec, s[6:7]
.LBB16_157:
	s_or_b64 exec, exec, s[4:5]
	v_mad_u64_u32 v[2:3], s[4:5], v4, s20, v[8:9]
	v_mov_b32_e32 v4, v3
	v_mad_u64_u32 v[4:5], s[4:5], v5, s20, v[4:5]
	v_mov_b32_e32 v3, v4
	v_sub_co_u32_e32 v4, vcc, v19, v2
	v_mov_b32_e32 v11, 0
	v_subb_co_u32_e32 v5, vcc, v20, v3, vcc
	v_cmp_gt_i64_e32 vcc, v[4:5], v[10:11]
	s_and_saveexec_b64 s[4:5], vcc
	s_cbranch_execz .LBB16_159
; %bb.158:
	v_add_lshl_u32 v2, v10, v2, 3
	ds_read_b64 v[2:3], v2
	s_waitcnt lgkmcnt(0)
	v_add_f64 v[12:13], v[12:13], v[2:3]
.LBB16_159:
	s_or_b64 exec, exec, s[4:5]
.LBB16_160:
	s_or_b64 exec, exec, s[0:1]
	v_cmp_gt_i64_e32 vcc, s[28:29], v[0:1]
	s_barrier
	ds_write_b64 v18, v[12:13]
	s_waitcnt lgkmcnt(0)
	s_barrier
	s_and_b64 exec, exec, vcc
	s_cbranch_execz .LBB16_170
; %bb.161:
	s_cmp_lt_u32 s20, 8
	v_mul_lo_u32 v1, s20, v0
	s_cbranch_scc1 .LBB16_164
; %bb.162:
	s_and_b32 s0, s20, 0x7ffffff8
	v_lshlrev_b32_e32 v2, 3, v1
	s_mov_b32 s1, 0
	v_pk_mov_b32 v[4:5], 0, 0
.LBB16_163:                             ; =>This Inner Loop Header: Depth=1
	ds_read2_b64 v[8:11], v2 offset1:1
	ds_read2_b64 v[12:15], v2 offset0:2 offset1:3
	ds_read2_b64 v[16:19], v2 offset0:4 offset1:5
	;; [unrolled: 1-line block ×3, first 2 shown]
	s_add_i32 s1, s1, 8
	s_waitcnt lgkmcnt(3)
	v_add_f64 v[4:5], v[4:5], v[8:9]
	v_add_f64 v[4:5], v[4:5], v[10:11]
	s_waitcnt lgkmcnt(2)
	v_add_f64 v[4:5], v[4:5], v[12:13]
	v_add_f64 v[4:5], v[4:5], v[14:15]
	;; [unrolled: 3-line block ×3, first 2 shown]
	s_waitcnt lgkmcnt(0)
	v_add_f64 v[4:5], v[4:5], v[20:21]
	v_add_u32_e32 v2, 64, v2
	s_cmp_eq_u32 s0, s1
	v_add_f64 v[4:5], v[4:5], v[22:23]
	s_cbranch_scc0 .LBB16_163
	s_branch .LBB16_165
.LBB16_164:
	s_mov_b32 s0, 0
	v_pk_mov_b32 v[4:5], 0, 0
.LBB16_165:
	s_bfe_u32 s1, s3, 0x30001
	s_cmp_eq_u32 s1, 0
	s_cbranch_scc1 .LBB16_168
; %bb.166:
	v_add_lshl_u32 v1, s0, v1, 3
.LBB16_167:                             ; =>This Inner Loop Header: Depth=1
	ds_read_b64 v[2:3], v1
	s_add_i32 s1, s1, -1
	v_add_u32_e32 v1, 8, v1
	s_cmp_lg_u32 s1, 0
	s_waitcnt lgkmcnt(0)
	v_add_f64 v[4:5], v[4:5], v[2:3]
	s_cbranch_scc1 .LBB16_167
.LBB16_168:
	v_lshlrev_b64 v[2:3], 3, v[6:7]
	v_mov_b32_e32 v1, s15
	v_add_co_u32_e32 v6, vcc, s14, v2
	v_addc_co_u32_e32 v7, vcc, v1, v3, vcc
	global_load_dwordx2 v[2:3], v[6:7], off
	s_lshl_b32 s0, s2, 3
	s_addk_i32 s0, 0x2000
	v_lshl_add_u32 v0, v0, 3, s0
	ds_read_b64 v[0:1], v0
	s_mov_b64 s[0:1], 0
	s_waitcnt lgkmcnt(0)
	v_add_f64 v[4:5], v[4:5], v[0:1]
.LBB16_169:                             ; =>This Inner Loop Header: Depth=1
	s_waitcnt vmcnt(0)
	v_add_f64 v[0:1], v[2:3], v[4:5]
	global_atomic_cmpswap_x2 v[0:1], v[6:7], v[0:3], off glc
	s_waitcnt vmcnt(0)
	v_cmp_eq_u64_e32 vcc, v[0:1], v[2:3]
	s_or_b64 s[0:1], vcc, s[0:1]
	v_pk_mov_b32 v[2:3], v[0:1], v[0:1] op_sel:[0,1]
	s_andn2_b64 exec, exec, s[0:1]
	s_cbranch_execnz .LBB16_169
.LBB16_170:
	s_endpgm
	.section	.rodata,"a",@progbits
	.p2align	6, 0x0
	.amdhsa_kernel _ZN9rocsparseL27csrmvn_symm_adaptive_kernelIliddddEEvbT_S1_PKS1_NS_24const_host_device_scalarIT4_EES3_PKT0_PKT1_PKT2_S6_PT3_21rocsparse_index_base_b
		.amdhsa_group_segment_fixed_size 8192
		.amdhsa_private_segment_fixed_size 0
		.amdhsa_kernarg_size 352
		.amdhsa_user_sgpr_count 6
		.amdhsa_user_sgpr_private_segment_buffer 1
		.amdhsa_user_sgpr_dispatch_ptr 0
		.amdhsa_user_sgpr_queue_ptr 0
		.amdhsa_user_sgpr_kernarg_segment_ptr 1
		.amdhsa_user_sgpr_dispatch_id 0
		.amdhsa_user_sgpr_flat_scratch_init 0
		.amdhsa_user_sgpr_kernarg_preload_length 0
		.amdhsa_user_sgpr_kernarg_preload_offset 0
		.amdhsa_user_sgpr_private_segment_size 0
		.amdhsa_uses_dynamic_stack 0
		.amdhsa_system_sgpr_private_segment_wavefront_offset 0
		.amdhsa_system_sgpr_workgroup_id_x 1
		.amdhsa_system_sgpr_workgroup_id_y 0
		.amdhsa_system_sgpr_workgroup_id_z 0
		.amdhsa_system_sgpr_workgroup_info 0
		.amdhsa_system_vgpr_workitem_id 0
		.amdhsa_next_free_vgpr 28
		.amdhsa_next_free_sgpr 52
		.amdhsa_accum_offset 28
		.amdhsa_reserve_vcc 1
		.amdhsa_reserve_flat_scratch 0
		.amdhsa_float_round_mode_32 0
		.amdhsa_float_round_mode_16_64 0
		.amdhsa_float_denorm_mode_32 3
		.amdhsa_float_denorm_mode_16_64 3
		.amdhsa_dx10_clamp 1
		.amdhsa_ieee_mode 1
		.amdhsa_fp16_overflow 0
		.amdhsa_tg_split 0
		.amdhsa_exception_fp_ieee_invalid_op 0
		.amdhsa_exception_fp_denorm_src 0
		.amdhsa_exception_fp_ieee_div_zero 0
		.amdhsa_exception_fp_ieee_overflow 0
		.amdhsa_exception_fp_ieee_underflow 0
		.amdhsa_exception_fp_ieee_inexact 0
		.amdhsa_exception_int_div_zero 0
	.end_amdhsa_kernel
	.section	.text._ZN9rocsparseL27csrmvn_symm_adaptive_kernelIliddddEEvbT_S1_PKS1_NS_24const_host_device_scalarIT4_EES3_PKT0_PKT1_PKT2_S6_PT3_21rocsparse_index_base_b,"axG",@progbits,_ZN9rocsparseL27csrmvn_symm_adaptive_kernelIliddddEEvbT_S1_PKS1_NS_24const_host_device_scalarIT4_EES3_PKT0_PKT1_PKT2_S6_PT3_21rocsparse_index_base_b,comdat
.Lfunc_end16:
	.size	_ZN9rocsparseL27csrmvn_symm_adaptive_kernelIliddddEEvbT_S1_PKS1_NS_24const_host_device_scalarIT4_EES3_PKT0_PKT1_PKT2_S6_PT3_21rocsparse_index_base_b, .Lfunc_end16-_ZN9rocsparseL27csrmvn_symm_adaptive_kernelIliddddEEvbT_S1_PKS1_NS_24const_host_device_scalarIT4_EES3_PKT0_PKT1_PKT2_S6_PT3_21rocsparse_index_base_b
                                        ; -- End function
	.section	.AMDGPU.csdata,"",@progbits
; Kernel info:
; codeLenInByte = 8356
; NumSgprs: 56
; NumVgprs: 28
; NumAgprs: 0
; TotalNumVgprs: 28
; ScratchSize: 0
; MemoryBound: 0
; FloatMode: 240
; IeeeMode: 1
; LDSByteSize: 8192 bytes/workgroup (compile time only)
; SGPRBlocks: 6
; VGPRBlocks: 3
; NumSGPRsForWavesPerEU: 56
; NumVGPRsForWavesPerEU: 28
; AccumOffset: 28
; Occupancy: 8
; WaveLimiterHint : 1
; COMPUTE_PGM_RSRC2:SCRATCH_EN: 0
; COMPUTE_PGM_RSRC2:USER_SGPR: 6
; COMPUTE_PGM_RSRC2:TRAP_HANDLER: 0
; COMPUTE_PGM_RSRC2:TGID_X_EN: 1
; COMPUTE_PGM_RSRC2:TGID_Y_EN: 0
; COMPUTE_PGM_RSRC2:TGID_Z_EN: 0
; COMPUTE_PGM_RSRC2:TIDIG_COMP_CNT: 0
; COMPUTE_PGM_RSRC3_GFX90A:ACCUM_OFFSET: 6
; COMPUTE_PGM_RSRC3_GFX90A:TG_SPLIT: 0
	.section	.text._ZL33csrmvn_symm_large_adaptive_kernelIliddddEvbT_PKS0_N9rocsparse24const_host_device_scalarIT4_EES2_PKT0_PKT1_PKT2_S6_PT3_21rocsparse_index_base_b,"axG",@progbits,_ZL33csrmvn_symm_large_adaptive_kernelIliddddEvbT_PKS0_N9rocsparse24const_host_device_scalarIT4_EES2_PKT0_PKT1_PKT2_S6_PT3_21rocsparse_index_base_b,comdat
	.globl	_ZL33csrmvn_symm_large_adaptive_kernelIliddddEvbT_PKS0_N9rocsparse24const_host_device_scalarIT4_EES2_PKT0_PKT1_PKT2_S6_PT3_21rocsparse_index_base_b ; -- Begin function _ZL33csrmvn_symm_large_adaptive_kernelIliddddEvbT_PKS0_N9rocsparse24const_host_device_scalarIT4_EES2_PKT0_PKT1_PKT2_S6_PT3_21rocsparse_index_base_b
	.p2align	8
	.type	_ZL33csrmvn_symm_large_adaptive_kernelIliddddEvbT_PKS0_N9rocsparse24const_host_device_scalarIT4_EES2_PKT0_PKT1_PKT2_S6_PT3_21rocsparse_index_base_b,@function
_ZL33csrmvn_symm_large_adaptive_kernelIliddddEvbT_PKS0_N9rocsparse24const_host_device_scalarIT4_EES2_PKT0_PKT1_PKT2_S6_PT3_21rocsparse_index_base_b: ; @_ZL33csrmvn_symm_large_adaptive_kernelIliddddEvbT_PKS0_N9rocsparse24const_host_device_scalarIT4_EES2_PKT0_PKT1_PKT2_S6_PT3_21rocsparse_index_base_b
; %bb.0:
	s_load_dwordx2 s[24:25], s[4:5], 0x50
	s_load_dwordx2 s[8:9], s[4:5], 0x18
	;; [unrolled: 1-line block ×3, first 2 shown]
	s_waitcnt lgkmcnt(0)
	s_bitcmp1_b32 s25, 0
	s_cselect_b64 s[10:11], -1, 0
	s_xor_b64 s[2:3], s[10:11], -1
	s_and_b64 vcc, exec, s[10:11]
	v_pk_mov_b32 v[4:5], s[8:9], s[8:9] op_sel:[0,1]
	s_cbranch_vccnz .LBB17_2
; %bb.1:
	v_pk_mov_b32 v[2:3], s[8:9], s[8:9] op_sel:[0,1]
	flat_load_dwordx2 v[4:5], v[2:3]
.LBB17_2:
	s_andn2_b64 vcc, exec, s[2:3]
	v_pk_mov_b32 v[2:3], s[0:1], s[0:1] op_sel:[0,1]
	s_cbranch_vccnz .LBB17_4
; %bb.3:
	v_pk_mov_b32 v[2:3], s[0:1], s[0:1] op_sel:[0,1]
	flat_load_dwordx2 v[2:3], v[2:3]
.LBB17_4:
	s_waitcnt vmcnt(0) lgkmcnt(0)
	v_cmp_neq_f64_e32 vcc, 0, v[4:5]
	v_cmp_neq_f64_e64 s[0:1], 1.0, v[2:3]
	s_or_b64 s[0:1], vcc, s[0:1]
	s_and_saveexec_b64 s[2:3], s[0:1]
	s_cbranch_execz .LBB17_41
; %bb.5:
	s_load_dwordx2 s[0:1], s[4:5], 0x10
	s_ashr_i32 s7, s6, 31
	s_mov_b32 s2, 0
	s_lshl_b64 s[6:7], s[6:7], 3
	s_mov_b32 s3, s2
	s_waitcnt lgkmcnt(0)
	s_add_u32 s0, s0, s6
	v_lshlrev_b32_e32 v10, 3, v0
	v_pk_mov_b32 v[2:3], s[2:3], s[2:3] op_sel:[0,1]
	s_addc_u32 s1, s1, s7
	ds_write2st64_b64 v10, v[2:3], v[2:3] offset1:4
	ds_write2st64_b64 v10, v[2:3], v[2:3] offset0:8 offset1:12
	s_waitcnt lgkmcnt(0)
	s_barrier
	s_load_dwordx4 s[20:23], s[0:1], 0x0
	s_load_dwordx8 s[12:19], s[4:5], 0x20
	s_load_dwordx2 s[26:27], s[4:5], 0x48
	v_subrev_co_u32_e64 v11, s[0:1], s24, v0
	s_waitcnt lgkmcnt(0)
	v_pk_mov_b32 v[2:3], s[22:23], s[22:23] op_sel:[0,1]
	v_cmp_lt_i64_e32 vcc, s[20:21], v[2:3]
	s_mov_b32 s25, s2
	v_subb_co_u32_e64 v12, s[0:1], 0, 0, s[0:1]
	s_cbranch_vccnz .LBB17_7
; %bb.6:
	s_lshl_b64 s[0:1], s[20:21], 3
	s_add_u32 s0, s12, s0
	s_addc_u32 s1, s13, s1
	s_load_dwordx2 s[28:29], s[0:1], 0x0
	s_cbranch_execz .LBB17_8
	s_branch .LBB17_31
.LBB17_7:
                                        ; implicit-def: $sgpr28_sgpr29
.LBB17_8:
	s_lshl_b64 s[10:11], s[20:21], 3
	s_add_u32 s10, s12, s10
	s_addc_u32 s11, s13, s11
	s_waitcnt lgkmcnt(0)
	s_load_dwordx2 s[28:29], s[10:11], 0x0
	s_movk_i32 s33, 0x100
	s_add_u32 s44, s12, 8
	v_cmp_gt_u32_e64 s[0:1], s33, v0
	v_cmp_gt_u32_e64 s[2:3], 64, v0
	;; [unrolled: 1-line block ×4, first 2 shown]
	v_cmp_eq_u32_e64 s[8:9], 0, v0
	s_addc_u32 s45, s13, 0
	v_mov_b32_e32 v13, s19
	v_mov_b32_e32 v14, 0
	s_waitcnt lgkmcnt(0)
	s_mov_b64 s[34:35], s[28:29]
	s_mov_b64 s[30:31], s[20:21]
	s_branch .LBB17_10
.LBB17_9:                               ;   in Loop: Header=BB17_10 Depth=1
	s_or_b64 exec, exec, s[10:11]
	s_add_u32 s30, s30, 1
	s_addc_u32 s31, s31, 0
	v_pk_mov_b32 v[0:1], s[22:23], s[22:23] op_sel:[0,1]
	v_cmp_ge_i64_e32 vcc, s[30:31], v[0:1]
	s_cbranch_vccnz .LBB17_31
.LBB17_10:                              ; =>This Loop Header: Depth=1
                                        ;     Child Loop BB17_12 Depth 2
                                        ;     Child Loop BB17_26 Depth 2
	;; [unrolled: 1-line block ×3, first 2 shown]
	s_lshl_b64 s[36:37], s[30:31], 3
	s_mov_b64 s[10:11], s[34:35]
	s_add_u32 s34, s44, s36
	s_addc_u32 s35, s45, s37
	s_load_dwordx2 s[34:35], s[34:35], 0x0
	v_mov_b32_e32 v1, s11
	v_add_co_u32_e32 v0, vcc, s10, v11
	v_addc_co_u32_e32 v1, vcc, v1, v12, vcc
	s_waitcnt lgkmcnt(0)
	s_sub_u32 s38, s34, s24
	s_subb_u32 s39, s35, 0
	v_cmp_gt_i64_e32 vcc, s[38:39], v[0:1]
	v_pk_mov_b32 v[2:3], 0, 0
	s_and_saveexec_b64 s[40:41], vcc
	s_cbranch_execz .LBB17_14
; %bb.11:                               ;   in Loop: Header=BB17_10 Depth=1
	v_lshlrev_b64 v[2:3], 2, v[0:1]
	v_mov_b32_e32 v7, s15
	v_add_co_u32_e32 v6, vcc, s14, v2
	v_addc_co_u32_e32 v7, vcc, v7, v3, vcc
	v_lshlrev_b64 v[2:3], 3, v[0:1]
	v_mov_b32_e32 v9, s17
	v_add_co_u32_e32 v8, vcc, s16, v2
	v_addc_co_u32_e32 v9, vcc, v9, v3, vcc
	s_mov_b64 s[42:43], 0
	v_pk_mov_b32 v[2:3], 0, 0
.LBB17_12:                              ;   Parent Loop BB17_10 Depth=1
                                        ; =>  This Inner Loop Header: Depth=2
	global_load_dword v15, v[6:7], off
	global_load_dwordx2 v[16:17], v[8:9], off
	s_waitcnt vmcnt(1)
	v_subrev_u32_e32 v18, s24, v15
	v_ashrrev_i32_e32 v19, 31, v18
	v_lshlrev_b64 v[18:19], 3, v[18:19]
	v_add_co_u32_e32 v18, vcc, s18, v18
	v_addc_co_u32_e32 v19, vcc, v13, v19, vcc
	global_load_dwordx2 v[18:19], v[18:19], off
	v_add_co_u32_e32 v0, vcc, s33, v0
	v_addc_co_u32_e32 v1, vcc, 0, v1, vcc
	v_add_co_u32_e32 v6, vcc, 0x400, v6
	v_addc_co_u32_e32 v7, vcc, 0, v7, vcc
	v_add_co_u32_e32 v8, vcc, 0x800, v8
	v_cmp_le_i64_e64 s[10:11], s[38:39], v[0:1]
	v_addc_co_u32_e32 v9, vcc, 0, v9, vcc
	s_or_b64 s[42:43], s[10:11], s[42:43]
	s_waitcnt vmcnt(0)
	v_fmac_f64_e32 v[2:3], v[16:17], v[18:19]
	s_andn2_b64 exec, exec, s[42:43]
	s_cbranch_execnz .LBB17_12
; %bb.13:                               ;   in Loop: Header=BB17_10 Depth=1
	s_or_b64 exec, exec, s[42:43]
.LBB17_14:                              ;   in Loop: Header=BB17_10 Depth=1
	s_or_b64 exec, exec, s[40:41]
	ds_write_b64 v10, v[2:3]
	s_waitcnt lgkmcnt(0)
	s_barrier
	s_and_saveexec_b64 s[10:11], s[0:1]
	s_cbranch_execz .LBB17_16
; %bb.15:                               ;   in Loop: Header=BB17_10 Depth=1
	ds_read2st64_b64 v[0:3], v10 offset1:4
	ds_read2st64_b64 v[6:9], v10 offset0:8 offset1:12
	s_waitcnt lgkmcnt(0)
	v_add_f64 v[2:3], v[2:3], v[6:7]
	v_add_f64 v[2:3], v[2:3], v[8:9]
	;; [unrolled: 1-line block ×3, first 2 shown]
	ds_write_b64 v10, v[0:1]
.LBB17_16:                              ;   in Loop: Header=BB17_10 Depth=1
	s_or_b64 exec, exec, s[10:11]
	s_waitcnt lgkmcnt(0)
	s_barrier
	s_and_saveexec_b64 s[10:11], s[2:3]
	s_cbranch_execz .LBB17_18
; %bb.17:                               ;   in Loop: Header=BB17_10 Depth=1
	ds_read2st64_b64 v[0:3], v10 offset1:1
	ds_read2st64_b64 v[6:9], v10 offset0:2 offset1:3
	s_waitcnt lgkmcnt(0)
	v_add_f64 v[2:3], v[2:3], v[6:7]
	v_add_f64 v[2:3], v[2:3], v[8:9]
	;; [unrolled: 1-line block ×3, first 2 shown]
	ds_write_b64 v10, v[0:1]
.LBB17_18:                              ;   in Loop: Header=BB17_10 Depth=1
	s_or_b64 exec, exec, s[10:11]
	s_waitcnt lgkmcnt(0)
	s_barrier
	s_and_saveexec_b64 s[10:11], s[4:5]
	s_cbranch_execz .LBB17_20
; %bb.19:                               ;   in Loop: Header=BB17_10 Depth=1
	ds_read2_b64 v[0:3], v10 offset1:16
	ds_read2_b64 v[6:9], v10 offset0:32 offset1:48
	s_waitcnt lgkmcnt(0)
	v_add_f64 v[2:3], v[2:3], v[6:7]
	v_add_f64 v[2:3], v[2:3], v[8:9]
	;; [unrolled: 1-line block ×3, first 2 shown]
	ds_write_b64 v10, v[0:1]
.LBB17_20:                              ;   in Loop: Header=BB17_10 Depth=1
	s_or_b64 exec, exec, s[10:11]
	s_waitcnt lgkmcnt(0)
	s_barrier
	s_and_saveexec_b64 s[10:11], s[6:7]
	s_cbranch_execz .LBB17_22
; %bb.21:                               ;   in Loop: Header=BB17_10 Depth=1
	ds_read2_b64 v[0:3], v10 offset1:4
	ds_read2_b64 v[6:9], v10 offset0:8 offset1:12
	s_waitcnt lgkmcnt(0)
	v_add_f64 v[2:3], v[2:3], v[6:7]
	v_add_f64 v[2:3], v[2:3], v[8:9]
	;; [unrolled: 1-line block ×3, first 2 shown]
	ds_write_b64 v10, v[0:1]
.LBB17_22:                              ;   in Loop: Header=BB17_10 Depth=1
	s_or_b64 exec, exec, s[10:11]
	s_waitcnt lgkmcnt(0)
	s_barrier
	s_and_saveexec_b64 s[10:11], s[8:9]
	s_cbranch_execz .LBB17_24
; %bb.23:                               ;   in Loop: Header=BB17_10 Depth=1
	ds_read2_b64 v[0:3], v14 offset0:1 offset1:2
	ds_read_b64 v[6:7], v14 offset:24
	ds_read_b64 v[8:9], v10
	s_waitcnt lgkmcnt(2)
	v_add_f64 v[0:1], v[0:1], v[2:3]
	s_waitcnt lgkmcnt(1)
	v_add_f64 v[0:1], v[0:1], v[6:7]
	;; [unrolled: 2-line block ×3, first 2 shown]
	ds_write_b64 v10, v[0:1]
.LBB17_24:                              ;   in Loop: Header=BB17_10 Depth=1
	s_or_b64 exec, exec, s[10:11]
	s_waitcnt lgkmcnt(0)
	s_barrier
	s_and_saveexec_b64 s[10:11], s[8:9]
	s_cbranch_execz .LBB17_9
; %bb.25:                               ;   in Loop: Header=BB17_10 Depth=1
	ds_read_b64 v[0:1], v14
	v_mov_b32_e32 v6, 0
	s_mov_b64 s[38:39], exec
	v_bfrev_b32_e32 v7, 1
	s_waitcnt lgkmcnt(0)
	v_mul_f64 v[0:1], v[4:5], v[0:1]
.LBB17_26:                              ;   Parent Loop BB17_10 Depth=1
                                        ; =>  This Inner Loop Header: Depth=2
	s_ff1_i32_b64 s42, s[38:39]
	v_readlane_b32 s41, v1, s42
	v_readlane_b32 s40, v0, s42
	s_lshl_b64 s[42:43], 1, s42
	s_andn2_b64 s[38:39], s[38:39], s[42:43]
	s_cmp_lg_u64 s[38:39], 0
	v_add_f64 v[6:7], v[6:7], s[40:41]
	s_cbranch_scc1 .LBB17_26
; %bb.27:                               ;   in Loop: Header=BB17_10 Depth=1
	v_mbcnt_lo_u32_b32 v0, exec_lo, 0
	v_mbcnt_hi_u32_b32 v0, exec_hi, v0
	v_cmp_eq_u32_e32 vcc, 0, v0
	s_and_saveexec_b64 s[38:39], vcc
	s_xor_b64 s[38:39], exec, s[38:39]
	s_cbranch_execz .LBB17_9
; %bb.28:                               ;   in Loop: Header=BB17_10 Depth=1
	s_add_u32 s36, s26, s36
	s_addc_u32 s37, s27, s37
	global_load_dwordx2 v[2:3], v14, s[36:37]
	s_mov_b64 s[38:39], 0
.LBB17_29:                              ;   Parent Loop BB17_10 Depth=1
                                        ; =>  This Inner Loop Header: Depth=2
	s_waitcnt vmcnt(0)
	v_add_f64 v[0:1], v[2:3], v[6:7]
	global_atomic_cmpswap_x2 v[0:1], v14, v[0:3], s[36:37] glc
	s_waitcnt vmcnt(0)
	v_cmp_eq_u64_e32 vcc, v[0:1], v[2:3]
	s_or_b64 s[38:39], vcc, s[38:39]
	v_pk_mov_b32 v[2:3], v[0:1], v[0:1] op_sel:[0,1]
	s_andn2_b64 exec, exec, s[38:39]
	s_cbranch_execnz .LBB17_29
; %bb.30:                               ;   in Loop: Header=BB17_10 Depth=1
	s_or_b64 exec, exec, s[38:39]
	s_branch .LBB17_9
.LBB17_31:
	s_lshl_b64 s[0:1], s[22:23], 3
	s_add_u32 s0, s12, s0
	s_addc_u32 s1, s13, s1
	s_load_dwordx2 s[0:1], s[0:1], 0x0
	s_waitcnt lgkmcnt(0)
	v_mov_b32_e32 v0, s29
	v_add_co_u32_e32 v6, vcc, s28, v11
	v_addc_co_u32_e32 v7, vcc, v0, v12, vcc
	s_sub_u32 s4, s0, s24
	s_subb_u32 s5, s1, 0
	v_cmp_gt_i64_e32 vcc, s[4:5], v[6:7]
	s_and_b64 exec, exec, vcc
	s_cbranch_execz .LBB17_41
; %bb.32:
	s_add_u32 s6, s22, -1
	s_addc_u32 s7, s23, -1
	s_add_u32 s0, s22, -2
	s_addc_u32 s1, s23, -1
	v_pk_mov_b32 v[0:1], s[20:21], s[20:21] op_sel:[0,1]
	s_cmp_lg_u64 s[0:1], s[20:21]
	v_cmp_gt_i64_e32 vcc, s[6:7], v[0:1]
	s_cselect_b64 s[0:1], -1, 0
	s_and_b64 s[0:1], vcc, s[0:1]
	v_cndmask_b32_e64 v0, 0, 1, s[0:1]
	s_mov_b64 s[8:9], 0
	v_cmp_ne_u32_e64 s[0:1], 1, v0
	v_mov_b32_e32 v12, s13
	v_mov_b32_e32 v13, s25
	;; [unrolled: 1-line block ×3, first 2 shown]
	s_branch .LBB17_34
.LBB17_33:                              ;   in Loop: Header=BB17_34 Depth=1
	s_or_b64 exec, exec, s[2:3]
	v_add_co_u32_e32 v6, vcc, 0x100, v6
	v_addc_co_u32_e32 v7, vcc, 0, v7, vcc
	v_cmp_le_i64_e32 vcc, s[4:5], v[6:7]
	s_or_b64 s[8:9], vcc, s[8:9]
	s_andn2_b64 exec, exec, s[8:9]
	s_cbranch_execz .LBB17_41
.LBB17_34:                              ; =>This Loop Header: Depth=1
                                        ;     Child Loop BB17_36 Depth 2
                                        ;     Child Loop BB17_40 Depth 2
	s_and_b64 vcc, exec, s[0:1]
	v_pk_mov_b32 v[0:1], s[20:21], s[20:21] op_sel:[0,1]
	v_pk_mov_b32 v[2:3], s[6:7], s[6:7] op_sel:[0,1]
	s_cbranch_vccnz .LBB17_38
; %bb.35:                               ;   in Loop: Header=BB17_34 Depth=1
	s_mov_b64 s[10:11], 0
	v_pk_mov_b32 v[0:1], s[20:21], s[20:21] op_sel:[0,1]
	v_pk_mov_b32 v[2:3], s[6:7], s[6:7] op_sel:[0,1]
.LBB17_36:                              ;   Parent Loop BB17_34 Depth=1
                                        ; =>  This Inner Loop Header: Depth=2
	v_add_co_u32_e32 v8, vcc, v2, v0
	v_addc_co_u32_e32 v9, vcc, v3, v1, vcc
	v_lshrrev_b32_e32 v10, 31, v9
	v_add_co_u32_e32 v8, vcc, v8, v10
	v_addc_co_u32_e32 v9, vcc, 0, v9, vcc
	v_ashrrev_i64 v[8:9], 1, v[8:9]
	v_lshlrev_b64 v[10:11], 3, v[8:9]
	v_mov_b32_e32 v15, s13
	v_add_co_u32_e32 v10, vcc, s12, v10
	v_addc_co_u32_e32 v11, vcc, v15, v11, vcc
	global_load_dwordx2 v[10:11], v[10:11], off
	v_mov_b32_e32 v15, s25
	s_waitcnt vmcnt(0)
	v_subrev_co_u32_e32 v10, vcc, s24, v10
	v_subb_co_u32_e32 v11, vcc, v11, v15, vcc
	v_cmp_gt_i64_e32 vcc, v[10:11], v[6:7]
	v_cndmask_b32_e32 v2, v2, v8, vcc
	v_cndmask_b32_e32 v3, v3, v9, vcc
	;; [unrolled: 1-line block ×3, first 2 shown]
	v_add_co_u32_e64 v8, s[2:3], -1, v2
	v_cndmask_b32_e32 v1, v9, v1, vcc
	v_addc_co_u32_e64 v9, s[2:3], -1, v3, s[2:3]
	v_cmp_ge_i64_e32 vcc, v[0:1], v[2:3]
	v_cmp_eq_u64_e64 s[2:3], v[0:1], v[8:9]
	s_or_b64 s[2:3], vcc, s[2:3]
	s_and_b64 s[2:3], exec, s[2:3]
	s_or_b64 s[10:11], s[2:3], s[10:11]
	s_andn2_b64 exec, exec, s[10:11]
	s_cbranch_execnz .LBB17_36
; %bb.37:                               ;   in Loop: Header=BB17_34 Depth=1
	s_or_b64 exec, exec, s[10:11]
.LBB17_38:                              ;   in Loop: Header=BB17_34 Depth=1
	v_lshlrev_b64 v[8:9], 3, v[2:3]
	v_add_co_u32_e32 v8, vcc, s12, v8
	v_addc_co_u32_e32 v9, vcc, v12, v9, vcc
	v_lshlrev_b64 v[10:11], 2, v[6:7]
	global_load_dwordx2 v[8:9], v[8:9], off
	v_add_co_u32_e32 v10, vcc, s14, v10
	v_addc_co_u32_e32 v11, vcc, v14, v11, vcc
	global_load_dword v15, v[10:11], off
	s_waitcnt vmcnt(1)
	v_subrev_co_u32_e32 v10, vcc, s24, v8
	v_subb_co_u32_e32 v11, vcc, v9, v13, vcc
	v_cmp_gt_i64_e32 vcc, v[10:11], v[6:7]
	s_waitcnt vmcnt(0)
	v_subrev_u32_e32 v8, s24, v15
	v_cndmask_b32_e32 v1, v3, v1, vcc
	v_cndmask_b32_e32 v0, v2, v0, vcc
	v_ashrrev_i32_e32 v9, 31, v8
	v_cmp_ne_u64_e32 vcc, v[0:1], v[8:9]
	s_and_saveexec_b64 s[2:3], vcc
	s_cbranch_execz .LBB17_33
; %bb.39:                               ;   in Loop: Header=BB17_34 Depth=1
	v_lshlrev_b64 v[2:3], 3, v[8:9]
	v_lshlrev_b64 v[8:9], 3, v[6:7]
	v_mov_b32_e32 v10, s17
	v_add_co_u32_e32 v8, vcc, s16, v8
	v_addc_co_u32_e32 v9, vcc, v10, v9, vcc
	v_lshlrev_b64 v[0:1], 3, v[0:1]
	global_load_dwordx2 v[10:11], v[8:9], off
	v_mov_b32_e32 v8, s19
	v_add_co_u32_e32 v0, vcc, s18, v0
	v_addc_co_u32_e32 v1, vcc, v8, v1, vcc
	v_mov_b32_e32 v15, s27
	v_add_co_u32_e32 v8, vcc, s26, v2
	global_load_dwordx2 v[0:1], v[0:1], off
	v_addc_co_u32_e32 v9, vcc, v15, v3, vcc
	global_load_dwordx2 v[2:3], v[8:9], off
	s_mov_b64 s[10:11], 0
	s_waitcnt vmcnt(2)
	v_mul_f64 v[10:11], v[4:5], v[10:11]
	s_waitcnt vmcnt(1)
	v_mul_f64 v[10:11], v[10:11], v[0:1]
.LBB17_40:                              ;   Parent Loop BB17_34 Depth=1
                                        ; =>  This Inner Loop Header: Depth=2
	s_waitcnt vmcnt(0)
	v_add_f64 v[0:1], v[2:3], v[10:11]
	global_atomic_cmpswap_x2 v[0:1], v[8:9], v[0:3], off glc
	s_waitcnt vmcnt(0)
	v_cmp_eq_u64_e32 vcc, v[0:1], v[2:3]
	s_or_b64 s[10:11], vcc, s[10:11]
	v_pk_mov_b32 v[2:3], v[0:1], v[0:1] op_sel:[0,1]
	s_andn2_b64 exec, exec, s[10:11]
	s_cbranch_execnz .LBB17_40
	s_branch .LBB17_33
.LBB17_41:
	s_endpgm
	.section	.rodata,"a",@progbits
	.p2align	6, 0x0
	.amdhsa_kernel _ZL33csrmvn_symm_large_adaptive_kernelIliddddEvbT_PKS0_N9rocsparse24const_host_device_scalarIT4_EES2_PKT0_PKT1_PKT2_S6_PT3_21rocsparse_index_base_b
		.amdhsa_group_segment_fixed_size 8192
		.amdhsa_private_segment_fixed_size 0
		.amdhsa_kernarg_size 88
		.amdhsa_user_sgpr_count 6
		.amdhsa_user_sgpr_private_segment_buffer 1
		.amdhsa_user_sgpr_dispatch_ptr 0
		.amdhsa_user_sgpr_queue_ptr 0
		.amdhsa_user_sgpr_kernarg_segment_ptr 1
		.amdhsa_user_sgpr_dispatch_id 0
		.amdhsa_user_sgpr_flat_scratch_init 0
		.amdhsa_user_sgpr_kernarg_preload_length 0
		.amdhsa_user_sgpr_kernarg_preload_offset 0
		.amdhsa_user_sgpr_private_segment_size 0
		.amdhsa_uses_dynamic_stack 0
		.amdhsa_system_sgpr_private_segment_wavefront_offset 0
		.amdhsa_system_sgpr_workgroup_id_x 1
		.amdhsa_system_sgpr_workgroup_id_y 0
		.amdhsa_system_sgpr_workgroup_id_z 0
		.amdhsa_system_sgpr_workgroup_info 0
		.amdhsa_system_vgpr_workitem_id 0
		.amdhsa_next_free_vgpr 20
		.amdhsa_next_free_sgpr 46
		.amdhsa_accum_offset 20
		.amdhsa_reserve_vcc 1
		.amdhsa_reserve_flat_scratch 0
		.amdhsa_float_round_mode_32 0
		.amdhsa_float_round_mode_16_64 0
		.amdhsa_float_denorm_mode_32 3
		.amdhsa_float_denorm_mode_16_64 3
		.amdhsa_dx10_clamp 1
		.amdhsa_ieee_mode 1
		.amdhsa_fp16_overflow 0
		.amdhsa_tg_split 0
		.amdhsa_exception_fp_ieee_invalid_op 0
		.amdhsa_exception_fp_denorm_src 0
		.amdhsa_exception_fp_ieee_div_zero 0
		.amdhsa_exception_fp_ieee_overflow 0
		.amdhsa_exception_fp_ieee_underflow 0
		.amdhsa_exception_fp_ieee_inexact 0
		.amdhsa_exception_int_div_zero 0
	.end_amdhsa_kernel
	.section	.text._ZL33csrmvn_symm_large_adaptive_kernelIliddddEvbT_PKS0_N9rocsparse24const_host_device_scalarIT4_EES2_PKT0_PKT1_PKT2_S6_PT3_21rocsparse_index_base_b,"axG",@progbits,_ZL33csrmvn_symm_large_adaptive_kernelIliddddEvbT_PKS0_N9rocsparse24const_host_device_scalarIT4_EES2_PKT0_PKT1_PKT2_S6_PT3_21rocsparse_index_base_b,comdat
.Lfunc_end17:
	.size	_ZL33csrmvn_symm_large_adaptive_kernelIliddddEvbT_PKS0_N9rocsparse24const_host_device_scalarIT4_EES2_PKT0_PKT1_PKT2_S6_PT3_21rocsparse_index_base_b, .Lfunc_end17-_ZL33csrmvn_symm_large_adaptive_kernelIliddddEvbT_PKS0_N9rocsparse24const_host_device_scalarIT4_EES2_PKT0_PKT1_PKT2_S6_PT3_21rocsparse_index_base_b
                                        ; -- End function
	.section	.AMDGPU.csdata,"",@progbits
; Kernel info:
; codeLenInByte = 1864
; NumSgprs: 50
; NumVgprs: 20
; NumAgprs: 0
; TotalNumVgprs: 20
; ScratchSize: 0
; MemoryBound: 0
; FloatMode: 240
; IeeeMode: 1
; LDSByteSize: 8192 bytes/workgroup (compile time only)
; SGPRBlocks: 6
; VGPRBlocks: 2
; NumSGPRsForWavesPerEU: 50
; NumVGPRsForWavesPerEU: 20
; AccumOffset: 20
; Occupancy: 8
; WaveLimiterHint : 1
; COMPUTE_PGM_RSRC2:SCRATCH_EN: 0
; COMPUTE_PGM_RSRC2:USER_SGPR: 6
; COMPUTE_PGM_RSRC2:TRAP_HANDLER: 0
; COMPUTE_PGM_RSRC2:TGID_X_EN: 1
; COMPUTE_PGM_RSRC2:TGID_Y_EN: 0
; COMPUTE_PGM_RSRC2:TGID_Z_EN: 0
; COMPUTE_PGM_RSRC2:TIDIG_COMP_CNT: 0
; COMPUTE_PGM_RSRC3_GFX90A:ACCUM_OFFSET: 4
; COMPUTE_PGM_RSRC3_GFX90A:TG_SPLIT: 0
	.section	.text._ZN9rocsparseL22csrmvn_adaptive_kernelIllddddEEvbT_PKS1_PjPKT0_NS_24const_host_device_scalarIT4_EES3_S7_PKT1_PKT2_SA_PT3_21rocsparse_index_base_b,"axG",@progbits,_ZN9rocsparseL22csrmvn_adaptive_kernelIllddddEEvbT_PKS1_PjPKT0_NS_24const_host_device_scalarIT4_EES3_S7_PKT1_PKT2_SA_PT3_21rocsparse_index_base_b,comdat
	.globl	_ZN9rocsparseL22csrmvn_adaptive_kernelIllddddEEvbT_PKS1_PjPKT0_NS_24const_host_device_scalarIT4_EES3_S7_PKT1_PKT2_SA_PT3_21rocsparse_index_base_b ; -- Begin function _ZN9rocsparseL22csrmvn_adaptive_kernelIllddddEEvbT_PKS1_PjPKT0_NS_24const_host_device_scalarIT4_EES3_S7_PKT1_PKT2_SA_PT3_21rocsparse_index_base_b
	.p2align	8
	.type	_ZN9rocsparseL22csrmvn_adaptive_kernelIllddddEEvbT_PKS1_PjPKT0_NS_24const_host_device_scalarIT4_EES3_S7_PKT1_PKT2_SA_PT3_21rocsparse_index_base_b,@function
_ZN9rocsparseL22csrmvn_adaptive_kernelIllddddEEvbT_PKS1_PjPKT0_NS_24const_host_device_scalarIT4_EES3_S7_PKT1_PKT2_SA_PT3_21rocsparse_index_base_b: ; @_ZN9rocsparseL22csrmvn_adaptive_kernelIllddddEEvbT_PKS1_PjPKT0_NS_24const_host_device_scalarIT4_EES3_S7_PKT1_PKT2_SA_PT3_21rocsparse_index_base_b
; %bb.0:
	s_load_dwordx2 s[46:47], s[4:5], 0x60
	s_load_dwordx2 s[8:9], s[4:5], 0x28
	;; [unrolled: 1-line block ×3, first 2 shown]
	s_waitcnt lgkmcnt(0)
	s_bitcmp1_b32 s47, 0
	s_cselect_b64 s[10:11], -1, 0
	s_xor_b64 s[2:3], s[10:11], -1
	s_and_b64 vcc, exec, s[10:11]
	v_pk_mov_b32 v[8:9], s[8:9], s[8:9] op_sel:[0,1]
	s_cbranch_vccnz .LBB18_2
; %bb.1:
	v_pk_mov_b32 v[2:3], s[8:9], s[8:9] op_sel:[0,1]
	flat_load_dwordx2 v[8:9], v[2:3]
.LBB18_2:
	s_andn2_b64 vcc, exec, s[2:3]
	v_pk_mov_b32 v[6:7], s[0:1], s[0:1] op_sel:[0,1]
	s_cbranch_vccnz .LBB18_4
; %bb.3:
	v_pk_mov_b32 v[2:3], s[0:1], s[0:1] op_sel:[0,1]
	flat_load_dwordx2 v[6:7], v[2:3]
.LBB18_4:
	s_waitcnt vmcnt(0) lgkmcnt(0)
	v_cmp_neq_f64_e32 vcc, 0, v[8:9]
	v_cmp_neq_f64_e64 s[0:1], 1.0, v[6:7]
	s_or_b64 s[0:1], vcc, s[0:1]
	s_and_saveexec_b64 s[2:3], s[0:1]
	s_cbranch_execz .LBB18_116
; %bb.5:
	s_load_dwordx2 s[0:1], s[4:5], 0x10
	s_load_dwordx2 s[2:3], s[4:5], 0x20
	s_ashr_i32 s7, s6, 31
	s_lshl_b64 s[8:9], s[6:7], 3
	s_waitcnt lgkmcnt(0)
	s_add_u32 s0, s0, s8
	s_addc_u32 s1, s1, s9
	s_load_dwordx4 s[36:39], s[0:1], 0x0
	s_load_dwordx2 s[34:35], s[4:5], 0x58
	s_load_dwordx8 s[24:31], s[4:5], 0x30
	s_waitcnt lgkmcnt(0)
	s_sub_u32 s0, s38, s36
	s_subb_u32 s1, s39, s37
	s_add_u32 s2, s2, s8
	s_addc_u32 s3, s3, s9
	s_lshl_b64 s[48:49], s[36:37], 3
	s_add_u32 s44, s24, s48
	s_addc_u32 s45, s25, s49
	s_load_dwordx2 s[40:41], s[2:3], 0x0
	s_load_dwordx2 s[42:43], s[44:45], 0x0
	v_cmp_lt_i64_e64 s[8:9], s[0:1], 2
	s_mov_b64 s[2:3], -1
	s_and_b64 vcc, exec, s[8:9]
	s_cbranch_vccz .LBB18_72
; %bb.6:
	s_cmp_lg_u64 s[0:1], 1
	s_cselect_b64 s[0:1], -1, 0
	s_waitcnt lgkmcnt(0)
	s_cmp_lg_u64 s[40:41], 0
	s_cselect_b64 s[2:3], -1, 0
	s_or_b64 s[2:3], s[0:1], s[2:3]
	s_mov_b64 s[0:1], -1
	s_and_b64 vcc, exec, s[2:3]
	s_cbranch_vccnz .LBB18_35
; %bb.7:
	v_pk_mov_b32 v[2:3], s[36:37], s[36:37] op_sel:[0,1]
	v_cmp_le_i64_e32 vcc, s[38:39], v[2:3]
	s_cbranch_vccnz .LBB18_34
; %bb.8:
	v_subrev_co_u32_e32 v1, vcc, s46, v0
	v_subb_co_u32_e64 v16, s[0:1], 0, 0, vcc
	s_mov_b32 s22, 0
	s_movk_i32 s0, 0x80
	s_add_u32 s33, s24, 8
	v_lshlrev_b32_e32 v17, 3, v0
	v_cmp_gt_u32_e64 s[0:1], s0, v0
	v_cmp_gt_u32_e64 s[2:3], 64, v0
	;; [unrolled: 1-line block ×7, first 2 shown]
	v_cmp_eq_u32_e64 s[18:19], 0, v0
	v_cmp_neq_f64_e64 s[20:21], 0, v[6:7]
	s_addc_u32 s47, s25, 0
	v_mov_b32_e32 v18, s22
	v_mov_b32_e32 v19, s31
	s_movk_i32 s62, 0x100
	v_mov_b32_e32 v20, 0
	v_pk_mov_b32 v[2:3], s[38:39], s[38:39] op_sel:[0,1]
	s_mov_b64 s[52:53], s[42:43]
	s_mov_b64 s[50:51], s[36:37]
	s_branch .LBB18_11
.LBB18_9:                               ;   in Loop: Header=BB18_11 Depth=1
	s_or_b64 exec, exec, s[56:57]
	s_add_u32 s54, s34, s54
	s_addc_u32 s55, s35, s55
	s_waitcnt lgkmcnt(0)
	global_store_dwordx2 v20, v[4:5], s[54:55]
.LBB18_10:                              ;   in Loop: Header=BB18_11 Depth=1
	s_or_b64 exec, exec, s[22:23]
	s_add_u32 s50, s50, 1
	s_addc_u32 s51, s51, 0
	v_cmp_ge_i64_e32 vcc, s[50:51], v[2:3]
	s_cbranch_vccnz .LBB18_34
.LBB18_11:                              ; =>This Loop Header: Depth=1
                                        ;     Child Loop BB18_13 Depth 2
	s_lshl_b64 s[54:55], s[50:51], 3
	s_mov_b64 s[22:23], s[52:53]
	s_add_u32 s52, s33, s54
	s_addc_u32 s53, s47, s55
	s_load_dwordx2 s[52:53], s[52:53], 0x0
	v_mov_b32_e32 v5, s23
	v_add_co_u32_e32 v4, vcc, s22, v1
	v_addc_co_u32_e32 v5, vcc, v5, v16, vcc
	s_waitcnt lgkmcnt(0)
	s_sub_u32 s56, s52, s46
	s_subb_u32 s57, s53, 0
	v_cmp_gt_i64_e32 vcc, s[56:57], v[4:5]
	v_pk_mov_b32 v[10:11], 0, 0
	s_and_saveexec_b64 s[58:59], vcc
	s_cbranch_execz .LBB18_15
; %bb.12:                               ;   in Loop: Header=BB18_11 Depth=1
	v_lshlrev_b64 v[10:11], 3, v[4:5]
	v_mov_b32_e32 v13, s29
	v_add_co_u32_e32 v12, vcc, s28, v10
	v_addc_co_u32_e32 v13, vcc, v13, v11, vcc
	v_mov_b32_e32 v15, s27
	v_add_co_u32_e32 v14, vcc, s26, v10
	v_addc_co_u32_e32 v15, vcc, v15, v11, vcc
	s_mov_b64 s[60:61], 0
	v_pk_mov_b32 v[10:11], 0, 0
.LBB18_13:                              ;   Parent Loop BB18_11 Depth=1
                                        ; =>  This Inner Loop Header: Depth=2
	global_load_dwordx2 v[22:23], v[14:15], off
	global_load_dwordx2 v[24:25], v[12:13], off
	s_waitcnt vmcnt(1)
	v_subrev_co_u32_e32 v22, vcc, s46, v22
	v_subb_co_u32_e32 v23, vcc, v23, v18, vcc
	v_lshlrev_b64 v[22:23], 3, v[22:23]
	v_add_co_u32_e32 v22, vcc, s30, v22
	v_addc_co_u32_e32 v23, vcc, v19, v23, vcc
	global_load_dwordx2 v[22:23], v[22:23], off
	v_add_co_u32_e32 v4, vcc, s62, v4
	v_addc_co_u32_e32 v5, vcc, 0, v5, vcc
	v_add_co_u32_e32 v12, vcc, 0x800, v12
	v_addc_co_u32_e32 v13, vcc, 0, v13, vcc
	v_add_co_u32_e32 v14, vcc, 0x800, v14
	v_cmp_le_i64_e64 s[22:23], s[56:57], v[4:5]
	s_waitcnt vmcnt(1)
	v_mul_f64 v[24:25], v[8:9], v[24:25]
	v_addc_co_u32_e32 v15, vcc, 0, v15, vcc
	s_or_b64 s[60:61], s[22:23], s[60:61]
	s_waitcnt vmcnt(0)
	v_fmac_f64_e32 v[10:11], v[24:25], v[22:23]
	s_andn2_b64 exec, exec, s[60:61]
	s_cbranch_execnz .LBB18_13
; %bb.14:                               ;   in Loop: Header=BB18_11 Depth=1
	s_or_b64 exec, exec, s[60:61]
.LBB18_15:                              ;   in Loop: Header=BB18_11 Depth=1
	s_or_b64 exec, exec, s[58:59]
	ds_write_b64 v17, v[10:11]
	s_waitcnt lgkmcnt(0)
	s_barrier
	s_and_saveexec_b64 s[22:23], s[0:1]
	s_cbranch_execz .LBB18_17
; %bb.16:                               ;   in Loop: Header=BB18_11 Depth=1
	ds_read2st64_b64 v[10:13], v17 offset1:2
	s_waitcnt lgkmcnt(0)
	v_add_f64 v[4:5], v[10:11], v[12:13]
	ds_write_b64 v17, v[4:5]
.LBB18_17:                              ;   in Loop: Header=BB18_11 Depth=1
	s_or_b64 exec, exec, s[22:23]
	s_waitcnt lgkmcnt(0)
	s_barrier
	s_and_saveexec_b64 s[22:23], s[2:3]
	s_cbranch_execz .LBB18_19
; %bb.18:                               ;   in Loop: Header=BB18_11 Depth=1
	ds_read2st64_b64 v[10:13], v17 offset1:1
	s_waitcnt lgkmcnt(0)
	v_add_f64 v[4:5], v[10:11], v[12:13]
	ds_write_b64 v17, v[4:5]
.LBB18_19:                              ;   in Loop: Header=BB18_11 Depth=1
	s_or_b64 exec, exec, s[22:23]
	s_waitcnt lgkmcnt(0)
	s_barrier
	s_and_saveexec_b64 s[22:23], s[8:9]
	s_cbranch_execz .LBB18_21
; %bb.20:                               ;   in Loop: Header=BB18_11 Depth=1
	ds_read2_b64 v[10:13], v17 offset1:32
	s_waitcnt lgkmcnt(0)
	v_add_f64 v[4:5], v[10:11], v[12:13]
	ds_write_b64 v17, v[4:5]
.LBB18_21:                              ;   in Loop: Header=BB18_11 Depth=1
	s_or_b64 exec, exec, s[22:23]
	s_waitcnt lgkmcnt(0)
	s_barrier
	s_and_saveexec_b64 s[22:23], s[10:11]
	s_cbranch_execz .LBB18_23
; %bb.22:                               ;   in Loop: Header=BB18_11 Depth=1
	ds_read2_b64 v[10:13], v17 offset1:16
	s_waitcnt lgkmcnt(0)
	v_add_f64 v[4:5], v[10:11], v[12:13]
	ds_write_b64 v17, v[4:5]
.LBB18_23:                              ;   in Loop: Header=BB18_11 Depth=1
	;; [unrolled: 11-line block ×5, first 2 shown]
	s_or_b64 exec, exec, s[22:23]
	s_waitcnt lgkmcnt(0)
	s_barrier
	s_and_saveexec_b64 s[22:23], s[18:19]
	s_cbranch_execz .LBB18_31
; %bb.30:                               ;   in Loop: Header=BB18_11 Depth=1
	ds_read_b128 v[10:13], v20
	s_waitcnt lgkmcnt(0)
	v_add_f64 v[4:5], v[10:11], v[12:13]
	ds_write_b64 v20, v[4:5]
.LBB18_31:                              ;   in Loop: Header=BB18_11 Depth=1
	s_or_b64 exec, exec, s[22:23]
	s_waitcnt lgkmcnt(0)
	s_barrier
	s_and_saveexec_b64 s[22:23], s[18:19]
	s_cbranch_execz .LBB18_10
; %bb.32:                               ;   in Loop: Header=BB18_11 Depth=1
	ds_read_b64 v[4:5], v20
	s_and_saveexec_b64 s[56:57], s[20:21]
	s_cbranch_execz .LBB18_9
; %bb.33:                               ;   in Loop: Header=BB18_11 Depth=1
	s_add_u32 s58, s34, s54
	s_addc_u32 s59, s35, s55
	global_load_dwordx2 v[10:11], v20, s[58:59]
	s_waitcnt vmcnt(0) lgkmcnt(0)
	v_fmac_f64_e32 v[4:5], v[6:7], v[10:11]
	s_branch .LBB18_9
.LBB18_34:
	s_mov_b64 s[0:1], 0
.LBB18_35:
	s_andn2_b64 vcc, exec, s[0:1]
	s_cbranch_vccnz .LBB18_71
; %bb.36:
	s_load_dwordx2 s[8:9], s[4:5], 0x18
	s_sub_u32 s10, s6, s40
	s_subb_u32 s11, s7, s41
	s_lshl_b64 s[0:1], s[6:7], 2
	s_mov_b32 s21, 0
	s_waitcnt lgkmcnt(0)
	s_add_u32 s6, s8, s0
	s_addc_u32 s7, s9, s1
	s_load_dword s20, s[6:7], 0x0
	s_cmp_eq_u64 s[40:41], 0
	s_cselect_b64 s[2:3], -1, 0
	s_cmp_lg_u64 s[40:41], 0
	v_cmp_eq_u32_e64 s[0:1], 0, v0
	s_cselect_b64 s[12:13], -1, 0
	s_and_b64 s[14:15], s[0:1], s[2:3]
	v_pk_mov_b32 v[2:3], 0, 0
	s_and_saveexec_b64 s[2:3], s[14:15]
	s_cbranch_execz .LBB18_40
; %bb.37:
	s_add_u32 s14, s34, s48
	s_addc_u32 s15, s35, s49
	s_load_dwordx2 s[14:15], s[14:15], 0x0
	s_mov_b64 s[16:17], exec
	v_mbcnt_lo_u32_b32 v1, s16, 0
	v_mbcnt_hi_u32_b32 v1, s17, v1
	v_add_f64 v[2:3], v[6:7], -1.0
	v_cmp_eq_u32_e32 vcc, 0, v1
	s_waitcnt vmcnt(0) expcnt(0) lgkmcnt(0)
	s_and_saveexec_b64 s[18:19], vcc
	s_cbranch_execz .LBB18_39
; %bb.38:
	s_lshl_b64 s[22:23], s[10:11], 2
	s_add_u32 s22, s8, s22
	s_addc_u32 s23, s9, s23
	s_bcnt1_i32_b64 s16, s[16:17]
	s_and_b32 s16, s16, 1
	v_mov_b32_e32 v1, 0
	v_mov_b32_e32 v4, s16
	global_atomic_xor v1, v4, s[22:23]
.LBB18_39:
	s_or_b64 exec, exec, s[18:19]
	v_mul_f64 v[2:3], v[2:3], s[14:15]
.LBB18_40:
	s_or_b64 exec, exec, s[2:3]
	s_mul_i32 s2, s41, 0xc00
	s_mul_hi_u32 s3, s40, 0xc00
	s_add_i32 s14, s3, s2
	s_load_dwordx2 s[2:3], s[44:45], 0x8
	s_sub_u32 s16, s42, s46
	s_mul_i32 s15, s40, 0xc00
	s_subb_u32 s17, s43, 0
	s_add_u32 s16, s16, s15
	s_addc_u32 s17, s17, s14
	s_waitcnt lgkmcnt(0)
	s_sub_u32 s2, s2, s46
	v_mov_b32_e32 v1, s17
	v_add_co_u32_e32 v4, vcc, s16, v0
	s_subb_u32 s3, s3, 0
	v_addc_co_u32_e32 v5, vcc, 0, v1, vcc
	v_cmp_gt_i64_e32 vcc, s[2:3], v[4:5]
	s_and_saveexec_b64 s[14:15], vcc
	s_cbranch_execz .LBB18_44
; %bb.41:
	s_add_u32 s16, s16, 0xc00
	s_addc_u32 s17, s17, 0
	v_pk_mov_b32 v[10:11], s[2:3], s[2:3] op_sel:[0,1]
	v_cmp_lt_i64_e32 vcc, s[16:17], v[10:11]
	v_lshlrev_b64 v[12:13], 3, v[4:5]
	s_and_b64 s[18:19], vcc, exec
	v_mov_b32_e32 v1, s29
	v_add_co_u32_e32 v10, vcc, s28, v12
	v_addc_co_u32_e32 v11, vcc, v1, v13, vcc
	v_mov_b32_e32 v1, s27
	v_add_co_u32_e32 v12, vcc, s26, v12
	s_cselect_b32 s17, s17, s3
	s_cselect_b32 s16, s16, s2
	v_addc_co_u32_e32 v13, vcc, v1, v13, vcc
	s_mov_b64 s[18:19], 0
	v_mov_b32_e32 v1, s21
	v_mov_b32_e32 v14, s31
	s_movk_i32 s21, 0x100
.LBB18_42:                              ; =>This Inner Loop Header: Depth=1
	global_load_dwordx2 v[16:17], v[12:13], off
	global_load_dwordx2 v[18:19], v[10:11], off
	s_waitcnt vmcnt(1)
	v_subrev_co_u32_e32 v16, vcc, s46, v16
	v_subb_co_u32_e32 v17, vcc, v17, v1, vcc
	v_lshlrev_b64 v[16:17], 3, v[16:17]
	v_add_co_u32_e32 v16, vcc, s30, v16
	v_addc_co_u32_e32 v17, vcc, v14, v17, vcc
	global_load_dwordx2 v[16:17], v[16:17], off
	v_add_co_u32_e32 v4, vcc, s21, v4
	v_addc_co_u32_e32 v5, vcc, 0, v5, vcc
	v_add_co_u32_e32 v10, vcc, 0x800, v10
	v_addc_co_u32_e32 v11, vcc, 0, v11, vcc
	v_add_co_u32_e32 v12, vcc, 0x800, v12
	v_cmp_le_i64_e64 s[2:3], s[16:17], v[4:5]
	s_waitcnt vmcnt(1)
	v_mul_f64 v[18:19], v[8:9], v[18:19]
	v_addc_co_u32_e32 v13, vcc, 0, v13, vcc
	s_or_b64 s[18:19], s[2:3], s[18:19]
	s_waitcnt vmcnt(0)
	v_fmac_f64_e32 v[2:3], v[18:19], v[16:17]
	s_andn2_b64 exec, exec, s[18:19]
	s_cbranch_execnz .LBB18_42
; %bb.43:
	s_or_b64 exec, exec, s[18:19]
.LBB18_44:
	s_or_b64 exec, exec, s[14:15]
	s_movk_i32 s2, 0x80
	v_lshlrev_b32_e32 v1, 3, v0
	v_cmp_gt_u32_e32 vcc, s2, v0
	ds_write_b64 v1, v[2:3]
	s_waitcnt lgkmcnt(0)
	s_barrier
	s_and_saveexec_b64 s[2:3], vcc
	s_cbranch_execz .LBB18_46
; %bb.45:
	ds_read2st64_b64 v[2:5], v1 offset1:2
	s_waitcnt lgkmcnt(0)
	v_add_f64 v[2:3], v[2:3], v[4:5]
	ds_write_b64 v1, v[2:3]
.LBB18_46:
	s_or_b64 exec, exec, s[2:3]
	v_cmp_gt_u32_e32 vcc, 64, v0
	s_waitcnt lgkmcnt(0)
	s_barrier
	s_and_saveexec_b64 s[2:3], vcc
	s_cbranch_execz .LBB18_48
; %bb.47:
	ds_read2st64_b64 v[2:5], v1 offset1:1
	s_waitcnt lgkmcnt(0)
	v_add_f64 v[2:3], v[2:3], v[4:5]
	ds_write_b64 v1, v[2:3]
.LBB18_48:
	s_or_b64 exec, exec, s[2:3]
	v_cmp_gt_u32_e32 vcc, 32, v0
	s_waitcnt lgkmcnt(0)
	s_barrier
	s_and_saveexec_b64 s[2:3], vcc
	s_cbranch_execz .LBB18_50
; %bb.49:
	ds_read2_b64 v[2:5], v1 offset1:32
	s_waitcnt lgkmcnt(0)
	v_add_f64 v[2:3], v[2:3], v[4:5]
	ds_write_b64 v1, v[2:3]
.LBB18_50:
	s_or_b64 exec, exec, s[2:3]
	v_cmp_gt_u32_e32 vcc, 16, v0
	s_waitcnt lgkmcnt(0)
	s_barrier
	s_and_saveexec_b64 s[2:3], vcc
	s_cbranch_execz .LBB18_52
; %bb.51:
	ds_read2_b64 v[2:5], v1 offset1:16
	s_waitcnt lgkmcnt(0)
	v_add_f64 v[2:3], v[2:3], v[4:5]
	ds_write_b64 v1, v[2:3]
.LBB18_52:
	;; [unrolled: 12-line block ×5, first 2 shown]
	s_or_b64 exec, exec, s[2:3]
	s_waitcnt lgkmcnt(0)
	s_barrier
	s_and_saveexec_b64 s[2:3], s[0:1]
	s_cbranch_execz .LBB18_60
; %bb.59:
	v_mov_b32_e32 v1, 0
	ds_read_b128 v[2:5], v1
	s_waitcnt lgkmcnt(0)
	v_add_f64 v[2:3], v[2:3], v[4:5]
	ds_write_b64 v1, v[2:3]
.LBB18_60:
	s_or_b64 exec, exec, s[2:3]
	s_waitcnt lgkmcnt(0)
	s_barrier
	s_and_saveexec_b64 s[2:3], s[0:1]
	s_cbranch_execz .LBB18_70
; %bb.61:
	s_andn2_b64 vcc, exec, s[12:13]
	s_cbranch_vccnz .LBB18_67
; %bb.62:
	s_lshl_b64 s[0:1], s[10:11], 2
	s_add_u32 s0, s8, s0
	s_addc_u32 s1, s9, s1
	v_mov_b32_e32 v1, 0
	s_branch .LBB18_64
.LBB18_63:                              ;   in Loop: Header=BB18_64 Depth=1
	s_or_b64 exec, exec, s[8:9]
	s_waitcnt vmcnt(0)
	v_readfirstlane_b32 s8, v2
	s_cmp_eq_u32 s8, s20
	s_cbranch_scc0 .LBB18_66
.LBB18_64:                              ; =>This Inner Loop Header: Depth=1
	v_mbcnt_lo_u32_b32 v2, exec_lo, 0
	v_mbcnt_hi_u32_b32 v2, exec_hi, v2
	v_cmp_eq_u32_e32 vcc, 0, v2
                                        ; implicit-def: $vgpr2
	s_and_saveexec_b64 s[8:9], vcc
	s_cbranch_execz .LBB18_63
; %bb.65:                               ;   in Loop: Header=BB18_64 Depth=1
	global_load_dword v2, v1, s[0:1] glc
	s_branch .LBB18_63
.LBB18_66:
	v_mov_b32_e32 v1, 0
	global_load_dword v2, v1, s[6:7]
	s_waitcnt vmcnt(0)
	v_xor_b32_e32 v2, 1, v2
	global_store_dword v1, v2, s[6:7]
.LBB18_67:
	s_mov_b64 s[6:7], exec
	v_mbcnt_lo_u32_b32 v1, s6, 0
	v_mbcnt_hi_u32_b32 v1, s7, v1
	v_cmp_eq_u32_e32 vcc, 0, v1
	s_and_b64 s[0:1], exec, vcc
	s_mov_b64 exec, s[0:1]
	s_cbranch_execz .LBB18_70
; %bb.68:
	s_add_u32 s0, s34, s48
	s_addc_u32 s1, s35, s49
	v_mov_b32_e32 v1, 0
	global_load_dwordx2 v[4:5], v1, s[0:1]
	ds_read_b64 v[2:3], v1
	s_bcnt1_i32_b64 s6, s[6:7]
	v_cvt_f64_u32_e32 v[10:11], s6
	s_mov_b64 s[6:7], 0
	s_waitcnt lgkmcnt(0)
	v_mul_f64 v[10:11], v[2:3], v[10:11]
.LBB18_69:                              ; =>This Inner Loop Header: Depth=1
	s_waitcnt vmcnt(0)
	v_add_f64 v[2:3], v[4:5], v[10:11]
	global_atomic_cmpswap_x2 v[2:3], v1, v[2:5], s[0:1] glc
	s_waitcnt vmcnt(0)
	v_cmp_eq_u64_e32 vcc, v[2:3], v[4:5]
	s_or_b64 s[6:7], vcc, s[6:7]
	v_pk_mov_b32 v[4:5], v[2:3], v[2:3] op_sel:[0,1]
	s_andn2_b64 exec, exec, s[6:7]
	s_cbranch_execnz .LBB18_69
.LBB18_70:
	s_or_b64 exec, exec, s[2:3]
.LBB18_71:
	s_mov_b64 s[2:3], 0
.LBB18_72:
	s_andn2_b64 vcc, exec, s[2:3]
	s_cbranch_vccnz .LBB18_116
; %bb.73:
	s_load_dwordx2 s[0:1], s[4:5], 0x8
	v_subrev_co_u32_e32 v1, vcc, s46, v0
	v_subb_co_u32_e64 v3, s[2:3], 0, 0, vcc
	s_waitcnt lgkmcnt(0)
	v_mov_b32_e32 v4, s43
	v_add_co_u32_e32 v2, vcc, s42, v1
	v_addc_co_u32_e32 v3, vcc, v4, v3, vcc
	v_add_co_u32_e32 v4, vcc, 0x300, v2
	v_addc_co_u32_e32 v5, vcc, 0, v3, vcc
	s_mov_b32 s10, 0
	v_cmp_le_i64_e32 vcc, s[0:1], v[4:5]
	s_and_saveexec_b64 s[0:1], vcc
	s_xor_b64 s[2:3], exec, s[0:1]
	s_cbranch_execz .LBB18_78
; %bb.74:
	s_lshl_b64 s[0:1], s[38:39], 3
	s_add_u32 s0, s24, s0
	s_addc_u32 s1, s25, s1
	s_load_dwordx2 s[0:1], s[0:1], 0x0
	s_waitcnt lgkmcnt(0)
	s_sub_u32 s4, s0, s46
	s_subb_u32 s5, s1, 0
	v_cmp_gt_i64_e32 vcc, s[4:5], v[2:3]
	s_and_saveexec_b64 s[6:7], vcc
	s_cbranch_execz .LBB18_77
; %bb.75:
	v_lshlrev_b64 v[10:11], 3, v[2:3]
	v_mov_b32_e32 v5, s29
	v_add_co_u32_e32 v4, vcc, s28, v10
	v_addc_co_u32_e32 v5, vcc, v5, v11, vcc
	v_mov_b32_e32 v12, s27
	v_add_co_u32_e32 v10, vcc, s26, v10
	v_lshlrev_b32_e32 v1, 3, v0
	v_addc_co_u32_e32 v11, vcc, v12, v11, vcc
	s_mov_b64 s[8:9], 0
	v_mov_b32_e32 v12, s10
	v_mov_b32_e32 v13, s31
	s_movk_i32 s11, 0x100
.LBB18_76:                              ; =>This Inner Loop Header: Depth=1
	global_load_dwordx2 v[14:15], v[10:11], off
	global_load_dwordx2 v[16:17], v[4:5], off
	s_waitcnt vmcnt(1)
	v_subrev_co_u32_e32 v14, vcc, s46, v14
	v_subb_co_u32_e32 v15, vcc, v15, v12, vcc
	v_lshlrev_b64 v[14:15], 3, v[14:15]
	v_add_co_u32_e32 v14, vcc, s30, v14
	v_addc_co_u32_e32 v15, vcc, v13, v15, vcc
	global_load_dwordx2 v[14:15], v[14:15], off
	v_add_co_u32_e32 v2, vcc, s11, v2
	v_addc_co_u32_e32 v3, vcc, 0, v3, vcc
	v_add_co_u32_e32 v4, vcc, 0x800, v4
	v_addc_co_u32_e32 v5, vcc, 0, v5, vcc
	s_waitcnt vmcnt(1)
	v_mul_f64 v[16:17], v[8:9], v[16:17]
	v_add_co_u32_e32 v10, vcc, 0x800, v10
	v_cmp_le_i64_e64 s[0:1], s[4:5], v[2:3]
	v_addc_co_u32_e32 v11, vcc, 0, v11, vcc
	s_or_b64 s[8:9], s[0:1], s[8:9]
	s_waitcnt vmcnt(0)
	v_mul_f64 v[14:15], v[16:17], v[14:15]
	ds_write_b64 v1, v[14:15]
	v_add_u32_e32 v1, 0x800, v1
	s_andn2_b64 exec, exec, s[8:9]
	s_cbranch_execnz .LBB18_76
.LBB18_77:
	s_or_b64 exec, exec, s[6:7]
                                        ; implicit-def: $vgpr2_vgpr3
                                        ; implicit-def: $vgpr8_vgpr9
.LBB18_78:
	s_or_saveexec_b64 s[0:1], s[2:3]
	v_lshlrev_b32_e32 v16, 3, v0
	s_xor_b64 exec, exec, s[0:1]
	s_cbranch_execz .LBB18_80
; %bb.79:
	v_lshlrev_b64 v[2:3], 3, v[2:3]
	v_mov_b32_e32 v1, s27
	v_add_co_u32_e32 v4, vcc, s26, v2
	v_addc_co_u32_e32 v5, vcc, v1, v3, vcc
	global_load_dwordx2 v[10:11], v[4:5], off
	global_load_dwordx2 v[12:13], v[4:5], off offset:2048
	s_movk_i32 s2, 0x1000
	v_add_co_u32_e32 v4, vcc, s2, v4
	v_addc_co_u32_e32 v5, vcc, 0, v5, vcc
	global_load_dwordx2 v[14:15], v[4:5], off
	global_load_dwordx2 v[18:19], v[4:5], off offset:2048
	v_mov_b32_e32 v1, s29
	v_add_co_u32_e32 v2, vcc, s28, v2
	v_addc_co_u32_e32 v3, vcc, v1, v3, vcc
	global_load_dwordx2 v[4:5], v[2:3], off
	global_load_dwordx2 v[20:21], v[2:3], off offset:2048
	v_add_co_u32_e32 v2, vcc, s2, v2
	v_addc_co_u32_e32 v3, vcc, 0, v3, vcc
	v_mov_b32_e32 v17, s10
	global_load_dwordx2 v[22:23], v[2:3], off
	global_load_dwordx2 v[24:25], v[2:3], off offset:2048
	v_mov_b32_e32 v28, s31
	s_waitcnt vmcnt(7)
	v_subrev_co_u32_e32 v2, vcc, s46, v10
	v_subb_co_u32_e32 v3, vcc, v11, v17, vcc
	s_waitcnt vmcnt(6)
	v_subrev_co_u32_e32 v10, vcc, s46, v12
	v_subb_co_u32_e32 v11, vcc, v13, v17, vcc
	s_waitcnt vmcnt(5)
	v_subrev_co_u32_e32 v12, vcc, s46, v14
	v_subb_co_u32_e32 v13, vcc, v15, v17, vcc
	s_waitcnt vmcnt(4)
	v_subrev_co_u32_e32 v14, vcc, s46, v18
	v_lshlrev_b64 v[2:3], 3, v[2:3]
	v_subb_co_u32_e32 v15, vcc, v19, v17, vcc
	v_add_co_u32_e32 v2, vcc, s30, v2
	v_lshlrev_b64 v[10:11], 3, v[10:11]
	v_addc_co_u32_e32 v3, vcc, v28, v3, vcc
	v_add_co_u32_e32 v10, vcc, s30, v10
	v_addc_co_u32_e32 v11, vcc, v28, v11, vcc
	v_lshlrev_b64 v[12:13], 3, v[12:13]
	global_load_dwordx2 v[18:19], v[2:3], off
	global_load_dwordx2 v[26:27], v[10:11], off
	v_add_co_u32_e32 v2, vcc, s30, v12
	v_lshlrev_b64 v[14:15], 3, v[14:15]
	v_addc_co_u32_e32 v3, vcc, v28, v13, vcc
	v_add_co_u32_e32 v10, vcc, s30, v14
	v_addc_co_u32_e32 v11, vcc, v28, v15, vcc
	global_load_dwordx2 v[12:13], v[2:3], off
	global_load_dwordx2 v[14:15], v[10:11], off
	s_waitcnt vmcnt(7)
	v_mul_f64 v[2:3], v[8:9], v[4:5]
	s_waitcnt vmcnt(6)
	v_mul_f64 v[4:5], v[8:9], v[20:21]
	;; [unrolled: 2-line block ×6, first 2 shown]
	ds_write2st64_b64 v16, v[2:3], v[4:5] offset1:4
	s_waitcnt vmcnt(1)
	v_mul_f64 v[2:3], v[10:11], v[12:13]
	s_waitcnt vmcnt(0)
	v_mul_f64 v[4:5], v[8:9], v[14:15]
	ds_write2st64_b64 v16, v[2:3], v[4:5] offset0:8 offset1:12
.LBB18_80:
	s_or_b64 exec, exec, s[0:1]
	v_cmp_lt_i64_e64 s[2:3], s[40:41], 2
	s_mov_b64 s[0:1], -1
	s_and_b64 vcc, exec, s[2:3]
	s_waitcnt lgkmcnt(0)
	s_barrier
	s_cbranch_vccz .LBB18_91
; %bb.81:
	v_mov_b32_e32 v1, s37
	v_add_co_u32_e32 v8, vcc, s36, v0
	v_addc_co_u32_e32 v9, vcc, 0, v1, vcc
	v_cmp_gt_i64_e32 vcc, s[38:39], v[8:9]
	s_and_saveexec_b64 s[2:3], vcc
	s_cbranch_execz .LBB18_90
; %bb.82:
	s_lshl_b32 s6, s42, 3
	s_mov_b64 s[4:5], 0
	v_cmp_neq_f64_e64 s[0:1], 0, v[6:7]
	s_sub_i32 s10, 0, s6
	v_mov_b32_e32 v1, s25
	v_mov_b32_e32 v17, s35
	s_branch .LBB18_84
.LBB18_83:                              ;   in Loop: Header=BB18_84 Depth=1
	s_or_b64 exec, exec, s[6:7]
	v_add_co_u32_e32 v2, vcc, s34, v10
	v_addc_co_u32_e32 v3, vcc, v17, v11, vcc
	v_add_co_u32_e32 v8, vcc, 0x100, v8
	v_addc_co_u32_e32 v9, vcc, 0, v9, vcc
	v_cmp_le_i64_e32 vcc, s[38:39], v[8:9]
	s_or_b64 s[4:5], vcc, s[4:5]
	global_store_dwordx2 v[2:3], v[12:13], off
	s_andn2_b64 exec, exec, s[4:5]
	s_cbranch_execz .LBB18_90
.LBB18_84:                              ; =>This Loop Header: Depth=1
                                        ;     Child Loop BB18_86 Depth 2
	v_lshlrev_b64 v[10:11], 3, v[8:9]
	v_add_co_u32_e32 v2, vcc, s24, v10
	v_addc_co_u32_e32 v3, vcc, v1, v11, vcc
	global_load_dwordx4 v[2:5], v[2:3], off
	v_pk_mov_b32 v[12:13], 0, 0
	s_waitcnt vmcnt(0)
	v_cmp_lt_i64_e32 vcc, v[2:3], v[4:5]
	s_and_saveexec_b64 s[6:7], vcc
	s_cbranch_execz .LBB18_88
; %bb.85:                               ;   in Loop: Header=BB18_84 Depth=1
	v_mov_b32_e32 v12, s43
	v_subrev_co_u32_e32 v4, vcc, s42, v4
	v_subb_co_u32_e32 v5, vcc, v5, v12, vcc
	v_subrev_co_u32_e32 v14, vcc, s42, v2
	v_subb_co_u32_e32 v15, vcc, v3, v12, vcc
	v_lshl_add_u32 v2, v2, 3, s10
	s_mov_b64 s[8:9], 0
	v_pk_mov_b32 v[12:13], 0, 0
.LBB18_86:                              ;   Parent Loop BB18_84 Depth=1
                                        ; =>  This Inner Loop Header: Depth=2
	ds_read_b64 v[18:19], v2
	v_add_co_u32_e32 v14, vcc, 1, v14
	v_addc_co_u32_e32 v15, vcc, 0, v15, vcc
	v_cmp_ge_i64_e32 vcc, v[14:15], v[4:5]
	v_add_u32_e32 v2, 8, v2
	s_or_b64 s[8:9], vcc, s[8:9]
	s_waitcnt lgkmcnt(0)
	v_add_f64 v[12:13], v[12:13], v[18:19]
	s_andn2_b64 exec, exec, s[8:9]
	s_cbranch_execnz .LBB18_86
; %bb.87:                               ;   in Loop: Header=BB18_84 Depth=1
	s_or_b64 exec, exec, s[8:9]
.LBB18_88:                              ;   in Loop: Header=BB18_84 Depth=1
	s_or_b64 exec, exec, s[6:7]
	s_and_saveexec_b64 s[6:7], s[0:1]
	s_cbranch_execz .LBB18_83
; %bb.89:                               ;   in Loop: Header=BB18_84 Depth=1
	v_mov_b32_e32 v3, s35
	v_add_co_u32_e32 v2, vcc, s34, v10
	v_addc_co_u32_e32 v3, vcc, v3, v11, vcc
	global_load_dwordx2 v[2:3], v[2:3], off
	s_waitcnt vmcnt(0)
	v_fmac_f64_e32 v[12:13], v[6:7], v[2:3]
	s_branch .LBB18_83
.LBB18_90:
	s_or_b64 exec, exec, s[2:3]
	s_mov_b64 s[0:1], 0
.LBB18_91:
	s_andn2_b64 vcc, exec, s[0:1]
	s_cbranch_vccnz .LBB18_116
; %bb.92:
	s_flbit_i32_b32 s0, s40
	s_min_u32 s0, s0, 32
	s_sub_i32 s0, 31, s0
	v_lshrrev_b32_e32 v8, s0, v0
	v_mov_b32_e32 v1, s37
	v_add_co_u32_e32 v2, vcc, s36, v8
	v_addc_co_u32_e32 v3, vcc, 0, v1, vcc
	s_add_i32 s0, s40, -1
	v_and_b32_e64 v1, s0, 0
	v_and_b32_e32 v0, s0, v0
	v_cmp_le_i64_e64 s[0:1], s[38:39], v[2:3]
	v_cmp_gt_i64_e32 vcc, s[38:39], v[2:3]
	v_pk_mov_b32 v[4:5], 0, 0
	s_and_saveexec_b64 s[2:3], vcc
	s_cbranch_execz .LBB18_98
; %bb.93:
	v_lshlrev_b32_e32 v4, 3, v8
	global_load_dwordx4 v[10:13], v4, s[44:45]
	v_mov_b32_e32 v4, s43
	v_subrev_co_u32_e32 v5, vcc, s42, v0
	v_subb_co_u32_e32 v14, vcc, v1, v4, vcc
	s_waitcnt vmcnt(0)
	v_subrev_co_u32_e32 v8, vcc, s42, v12
	v_subb_co_u32_e32 v9, vcc, v13, v4, vcc
	v_add_co_u32_e32 v10, vcc, v10, v5
	v_addc_co_u32_e32 v11, vcc, v11, v14, vcc
	v_cmp_lt_i64_e32 vcc, v[10:11], v[8:9]
	v_pk_mov_b32 v[4:5], 0, 0
	s_and_saveexec_b64 s[4:5], vcc
	s_cbranch_execz .LBB18_97
; %bb.94:
	v_lshlrev_b32_e32 v12, 3, v10
	s_lshl_b32 s8, s40, 3
	s_mov_b64 s[6:7], 0
	v_pk_mov_b32 v[4:5], 0, 0
	v_mov_b32_e32 v13, s41
.LBB18_95:                              ; =>This Inner Loop Header: Depth=1
	ds_read_b64 v[14:15], v12
	v_add_co_u32_e32 v10, vcc, s40, v10
	v_addc_co_u32_e32 v11, vcc, v11, v13, vcc
	v_cmp_ge_i64_e32 vcc, v[10:11], v[8:9]
	v_add_u32_e32 v12, s8, v12
	s_or_b64 s[6:7], vcc, s[6:7]
	s_waitcnt lgkmcnt(0)
	v_add_f64 v[4:5], v[4:5], v[14:15]
	s_andn2_b64 exec, exec, s[6:7]
	s_cbranch_execnz .LBB18_95
; %bb.96:
	s_or_b64 exec, exec, s[6:7]
.LBB18_97:
	s_or_b64 exec, exec, s[4:5]
.LBB18_98:
	s_or_b64 exec, exec, s[2:3]
	v_mov_b32_e32 v8, 0x81
	v_mov_b32_e32 v9, 0
	v_cmp_lt_i64_e32 vcc, s[40:41], v[8:9]
	s_and_b64 vcc, exec, vcc
	s_barrier
	ds_write_b64 v16, v[4:5]
	s_waitcnt lgkmcnt(0)
	s_barrier
	s_cbranch_vccnz .LBB18_100
; %bb.99:
	ds_read_b64 v[8:9], v16 offset:1024
	s_waitcnt lgkmcnt(0)
	s_barrier
	v_add_f64 v[4:5], v[4:5], v[8:9]
	ds_write_b64 v16, v[4:5]
.LBB18_100:
	v_mov_b32_e32 v8, 0x41
	v_mov_b32_e32 v9, 0
	v_cmp_lt_i64_e32 vcc, s[40:41], v[8:9]
	s_waitcnt lgkmcnt(0)
	s_barrier
	s_cbranch_vccnz .LBB18_102
; %bb.101:
	ds_read_b64 v[8:9], v16 offset:512
	s_waitcnt lgkmcnt(0)
	s_barrier
	v_add_f64 v[4:5], v[4:5], v[8:9]
	ds_write_b64 v16, v[4:5]
.LBB18_102:
	v_cmp_lt_i64_e64 s[2:3], s[40:41], 33
	s_and_b64 vcc, exec, s[2:3]
	s_waitcnt lgkmcnt(0)
	s_barrier
	s_cbranch_vccnz .LBB18_104
; %bb.103:
	ds_read_b64 v[8:9], v16 offset:256
	s_waitcnt lgkmcnt(0)
	s_barrier
	v_add_f64 v[4:5], v[4:5], v[8:9]
	ds_write_b64 v16, v[4:5]
.LBB18_104:
	v_cmp_lt_i64_e64 s[2:3], s[40:41], 17
	s_and_b64 vcc, exec, s[2:3]
	;; [unrolled: 12-line block ×4, first 2 shown]
	s_waitcnt lgkmcnt(0)
	s_barrier
	s_cbranch_vccnz .LBB18_110
; %bb.109:
	ds_read_b64 v[8:9], v16 offset:32
	s_waitcnt lgkmcnt(0)
	s_barrier
	v_add_f64 v[4:5], v[4:5], v[8:9]
	ds_write_b64 v16, v[4:5]
.LBB18_110:
	s_cmp_eq_u64 s[40:41], 2
	s_waitcnt lgkmcnt(0)
	s_barrier
	s_cbranch_scc1 .LBB18_112
; %bb.111:
	ds_read_b64 v[8:9], v16 offset:16
	s_waitcnt lgkmcnt(0)
	s_barrier
	v_add_f64 v[4:5], v[4:5], v[8:9]
	ds_write_b64 v16, v[4:5]
.LBB18_112:
	s_waitcnt lgkmcnt(0)
	s_barrier
	ds_read_b64 v[8:9], v16 offset:8
	v_cmp_eq_u64_e32 vcc, 0, v[0:1]
	s_xor_b64 s[0:1], s[0:1], -1
	s_and_b64 s[0:1], vcc, s[0:1]
	s_waitcnt lgkmcnt(0)
	v_add_f64 v[4:5], v[4:5], v[8:9]
	s_barrier
	ds_write_b64 v16, v[4:5]
	s_and_b64 exec, exec, s[0:1]
	s_cbranch_execz .LBB18_116
; %bb.113:
	v_cmp_neq_f64_e32 vcc, 0, v[6:7]
	v_lshlrev_b64 v[0:1], 3, v[2:3]
	s_and_saveexec_b64 s[0:1], vcc
	s_cbranch_execz .LBB18_115
; %bb.114:
	v_mov_b32_e32 v3, s35
	v_add_co_u32_e32 v2, vcc, s34, v0
	v_addc_co_u32_e32 v3, vcc, v3, v1, vcc
	global_load_dwordx2 v[2:3], v[2:3], off
	s_waitcnt vmcnt(0)
	v_fmac_f64_e32 v[4:5], v[6:7], v[2:3]
.LBB18_115:
	s_or_b64 exec, exec, s[0:1]
	v_mov_b32_e32 v2, s35
	v_add_co_u32_e32 v0, vcc, s34, v0
	v_addc_co_u32_e32 v1, vcc, v2, v1, vcc
	global_store_dwordx2 v[0:1], v[4:5], off
.LBB18_116:
	s_endpgm
	.section	.rodata,"a",@progbits
	.p2align	6, 0x0
	.amdhsa_kernel _ZN9rocsparseL22csrmvn_adaptive_kernelIllddddEEvbT_PKS1_PjPKT0_NS_24const_host_device_scalarIT4_EES3_S7_PKT1_PKT2_SA_PT3_21rocsparse_index_base_b
		.amdhsa_group_segment_fixed_size 8192
		.amdhsa_private_segment_fixed_size 0
		.amdhsa_kernarg_size 104
		.amdhsa_user_sgpr_count 6
		.amdhsa_user_sgpr_private_segment_buffer 1
		.amdhsa_user_sgpr_dispatch_ptr 0
		.amdhsa_user_sgpr_queue_ptr 0
		.amdhsa_user_sgpr_kernarg_segment_ptr 1
		.amdhsa_user_sgpr_dispatch_id 0
		.amdhsa_user_sgpr_flat_scratch_init 0
		.amdhsa_user_sgpr_kernarg_preload_length 0
		.amdhsa_user_sgpr_kernarg_preload_offset 0
		.amdhsa_user_sgpr_private_segment_size 0
		.amdhsa_uses_dynamic_stack 0
		.amdhsa_system_sgpr_private_segment_wavefront_offset 0
		.amdhsa_system_sgpr_workgroup_id_x 1
		.amdhsa_system_sgpr_workgroup_id_y 0
		.amdhsa_system_sgpr_workgroup_id_z 0
		.amdhsa_system_sgpr_workgroup_info 0
		.amdhsa_system_vgpr_workitem_id 0
		.amdhsa_next_free_vgpr 29
		.amdhsa_next_free_sgpr 63
		.amdhsa_accum_offset 32
		.amdhsa_reserve_vcc 1
		.amdhsa_reserve_flat_scratch 0
		.amdhsa_float_round_mode_32 0
		.amdhsa_float_round_mode_16_64 0
		.amdhsa_float_denorm_mode_32 3
		.amdhsa_float_denorm_mode_16_64 3
		.amdhsa_dx10_clamp 1
		.amdhsa_ieee_mode 1
		.amdhsa_fp16_overflow 0
		.amdhsa_tg_split 0
		.amdhsa_exception_fp_ieee_invalid_op 0
		.amdhsa_exception_fp_denorm_src 0
		.amdhsa_exception_fp_ieee_div_zero 0
		.amdhsa_exception_fp_ieee_overflow 0
		.amdhsa_exception_fp_ieee_underflow 0
		.amdhsa_exception_fp_ieee_inexact 0
		.amdhsa_exception_int_div_zero 0
	.end_amdhsa_kernel
	.section	.text._ZN9rocsparseL22csrmvn_adaptive_kernelIllddddEEvbT_PKS1_PjPKT0_NS_24const_host_device_scalarIT4_EES3_S7_PKT1_PKT2_SA_PT3_21rocsparse_index_base_b,"axG",@progbits,_ZN9rocsparseL22csrmvn_adaptive_kernelIllddddEEvbT_PKS1_PjPKT0_NS_24const_host_device_scalarIT4_EES3_S7_PKT1_PKT2_SA_PT3_21rocsparse_index_base_b,comdat
.Lfunc_end18:
	.size	_ZN9rocsparseL22csrmvn_adaptive_kernelIllddddEEvbT_PKS1_PjPKT0_NS_24const_host_device_scalarIT4_EES3_S7_PKT1_PKT2_SA_PT3_21rocsparse_index_base_b, .Lfunc_end18-_ZN9rocsparseL22csrmvn_adaptive_kernelIllddddEEvbT_PKS1_PjPKT0_NS_24const_host_device_scalarIT4_EES3_S7_PKT1_PKT2_SA_PT3_21rocsparse_index_base_b
                                        ; -- End function
	.section	.AMDGPU.csdata,"",@progbits
; Kernel info:
; codeLenInByte = 4232
; NumSgprs: 67
; NumVgprs: 29
; NumAgprs: 0
; TotalNumVgprs: 29
; ScratchSize: 0
; MemoryBound: 1
; FloatMode: 240
; IeeeMode: 1
; LDSByteSize: 8192 bytes/workgroup (compile time only)
; SGPRBlocks: 8
; VGPRBlocks: 3
; NumSGPRsForWavesPerEU: 67
; NumVGPRsForWavesPerEU: 29
; AccumOffset: 32
; Occupancy: 8
; WaveLimiterHint : 1
; COMPUTE_PGM_RSRC2:SCRATCH_EN: 0
; COMPUTE_PGM_RSRC2:USER_SGPR: 6
; COMPUTE_PGM_RSRC2:TRAP_HANDLER: 0
; COMPUTE_PGM_RSRC2:TGID_X_EN: 1
; COMPUTE_PGM_RSRC2:TGID_Y_EN: 0
; COMPUTE_PGM_RSRC2:TGID_Z_EN: 0
; COMPUTE_PGM_RSRC2:TIDIG_COMP_CNT: 0
; COMPUTE_PGM_RSRC3_GFX90A:ACCUM_OFFSET: 7
; COMPUTE_PGM_RSRC3_GFX90A:TG_SPLIT: 0
	.section	.text._ZN9rocsparseL22partial_scale_y_kernelIlddEEvT_S1_S1_NS_24const_host_device_scalarIT1_EEPT0_b,"axG",@progbits,_ZN9rocsparseL22partial_scale_y_kernelIlddEEvT_S1_S1_NS_24const_host_device_scalarIT1_EEPT0_b,comdat
	.globl	_ZN9rocsparseL22partial_scale_y_kernelIlddEEvT_S1_S1_NS_24const_host_device_scalarIT1_EEPT0_b ; -- Begin function _ZN9rocsparseL22partial_scale_y_kernelIlddEEvT_S1_S1_NS_24const_host_device_scalarIT1_EEPT0_b
	.p2align	8
	.type	_ZN9rocsparseL22partial_scale_y_kernelIlddEEvT_S1_S1_NS_24const_host_device_scalarIT1_EEPT0_b,@function
_ZN9rocsparseL22partial_scale_y_kernelIlddEEvT_S1_S1_NS_24const_host_device_scalarIT1_EEPT0_b: ; @_ZN9rocsparseL22partial_scale_y_kernelIlddEEvT_S1_S1_NS_24const_host_device_scalarIT1_EEPT0_b
; %bb.0:
	s_load_dword s0, s[4:5], 0x28
	s_load_dwordx8 s[8:15], s[4:5], 0x0
	s_waitcnt lgkmcnt(0)
	s_bitcmp1_b32 s0, 0
	s_cselect_b64 s[0:1], -1, 0
	s_and_b64 vcc, exec, s[0:1]
	v_pk_mov_b32 v[2:3], s[14:15], s[14:15] op_sel:[0,1]
	s_cbranch_vccnz .LBB19_2
; %bb.1:
	v_pk_mov_b32 v[2:3], s[14:15], s[14:15] op_sel:[0,1]
	flat_load_dwordx2 v[2:3], v[2:3]
.LBB19_2:
	s_waitcnt vmcnt(0) lgkmcnt(0)
	v_cmp_neq_f64_e32 vcc, 1.0, v[2:3]
	s_and_saveexec_b64 s[0:1], vcc
	s_cbranch_execz .LBB19_15
; %bb.3:
	s_add_u32 s0, s10, s8
	s_addc_u32 s1, s11, s9
	s_sub_u32 s0, s0, s12
	v_lshl_or_b32 v0, s6, 8, v0
	v_mov_b32_e32 v1, 0
	s_subb_u32 s1, s1, s13
	v_cmp_gt_i64_e32 vcc, s[0:1], v[0:1]
	s_and_b64 exec, exec, vcc
	s_cbranch_execz .LBB19_15
; %bb.4:
	s_load_dwordx2 s[2:3], s[4:5], 0x20
	v_cmp_le_i64_e64 s[0:1], s[10:11], v[0:1]
	v_cmp_neq_f64_e32 vcc, 0, v[2:3]
	s_and_saveexec_b64 s[4:5], s[0:1]
	s_xor_b64 s[4:5], exec, s[4:5]
	s_cbranch_execz .LBB19_10
; %bb.5:
	v_mov_b32_e32 v1, s11
	v_subrev_co_u32_e64 v0, s[0:1], s10, v0
	v_subb_co_u32_e64 v1, s[0:1], 0, v1, s[0:1]
	s_lshl_b64 s[0:1], s[12:13], 3
	s_waitcnt lgkmcnt(0)
	s_add_u32 s0, s0, s2
	v_lshlrev_b64 v[0:1], 3, v[0:1]
	s_addc_u32 s1, s1, s3
	v_mov_b32_e32 v4, s1
	v_add_co_u32_e64 v0, s[0:1], s0, v0
	v_addc_co_u32_e64 v1, s[0:1], v4, v1, s[0:1]
	s_and_saveexec_b64 s[0:1], vcc
	s_xor_b64 s[0:1], exec, s[0:1]
	s_cbranch_execz .LBB19_7
; %bb.6:
	global_load_dwordx2 v[4:5], v[0:1], off
	s_waitcnt vmcnt(0)
	v_mul_f64 v[2:3], v[2:3], v[4:5]
	global_store_dwordx2 v[0:1], v[2:3], off
                                        ; implicit-def: $vgpr0_vgpr1
.LBB19_7:
	s_andn2_saveexec_b64 s[0:1], s[0:1]
	s_cbranch_execz .LBB19_9
; %bb.8:
	v_mov_b32_e32 v2, 0
	v_mov_b32_e32 v3, v2
	global_store_dwordx2 v[0:1], v[2:3], off
.LBB19_9:
	s_or_b64 exec, exec, s[0:1]
                                        ; implicit-def: $vgpr0_vgpr1
                                        ; implicit-def: $vgpr2_vgpr3
.LBB19_10:
	s_andn2_saveexec_b64 s[0:1], s[4:5]
	s_cbranch_execz .LBB19_15
; %bb.11:
	v_lshlrev_b64 v[0:1], 3, v[0:1]
	s_waitcnt lgkmcnt(0)
	v_mov_b32_e32 v4, s3
	v_add_co_u32_e64 v0, s[0:1], s2, v0
	v_addc_co_u32_e64 v1, s[0:1], v4, v1, s[0:1]
	s_and_saveexec_b64 s[0:1], vcc
	s_xor_b64 s[0:1], exec, s[0:1]
	s_cbranch_execz .LBB19_13
; %bb.12:
	global_load_dwordx2 v[4:5], v[0:1], off
	s_waitcnt vmcnt(0)
	v_mul_f64 v[2:3], v[2:3], v[4:5]
	global_store_dwordx2 v[0:1], v[2:3], off
                                        ; implicit-def: $vgpr0_vgpr1
.LBB19_13:
	s_andn2_saveexec_b64 s[0:1], s[0:1]
	s_cbranch_execz .LBB19_15
; %bb.14:
	v_mov_b32_e32 v2, 0
	v_mov_b32_e32 v3, v2
	global_store_dwordx2 v[0:1], v[2:3], off
.LBB19_15:
	s_endpgm
	.section	.rodata,"a",@progbits
	.p2align	6, 0x0
	.amdhsa_kernel _ZN9rocsparseL22partial_scale_y_kernelIlddEEvT_S1_S1_NS_24const_host_device_scalarIT1_EEPT0_b
		.amdhsa_group_segment_fixed_size 0
		.amdhsa_private_segment_fixed_size 0
		.amdhsa_kernarg_size 44
		.amdhsa_user_sgpr_count 6
		.amdhsa_user_sgpr_private_segment_buffer 1
		.amdhsa_user_sgpr_dispatch_ptr 0
		.amdhsa_user_sgpr_queue_ptr 0
		.amdhsa_user_sgpr_kernarg_segment_ptr 1
		.amdhsa_user_sgpr_dispatch_id 0
		.amdhsa_user_sgpr_flat_scratch_init 0
		.amdhsa_user_sgpr_kernarg_preload_length 0
		.amdhsa_user_sgpr_kernarg_preload_offset 0
		.amdhsa_user_sgpr_private_segment_size 0
		.amdhsa_uses_dynamic_stack 0
		.amdhsa_system_sgpr_private_segment_wavefront_offset 0
		.amdhsa_system_sgpr_workgroup_id_x 1
		.amdhsa_system_sgpr_workgroup_id_y 0
		.amdhsa_system_sgpr_workgroup_id_z 0
		.amdhsa_system_sgpr_workgroup_info 0
		.amdhsa_system_vgpr_workitem_id 0
		.amdhsa_next_free_vgpr 6
		.amdhsa_next_free_sgpr 16
		.amdhsa_accum_offset 8
		.amdhsa_reserve_vcc 1
		.amdhsa_reserve_flat_scratch 0
		.amdhsa_float_round_mode_32 0
		.amdhsa_float_round_mode_16_64 0
		.amdhsa_float_denorm_mode_32 3
		.amdhsa_float_denorm_mode_16_64 3
		.amdhsa_dx10_clamp 1
		.amdhsa_ieee_mode 1
		.amdhsa_fp16_overflow 0
		.amdhsa_tg_split 0
		.amdhsa_exception_fp_ieee_invalid_op 0
		.amdhsa_exception_fp_denorm_src 0
		.amdhsa_exception_fp_ieee_div_zero 0
		.amdhsa_exception_fp_ieee_overflow 0
		.amdhsa_exception_fp_ieee_underflow 0
		.amdhsa_exception_fp_ieee_inexact 0
		.amdhsa_exception_int_div_zero 0
	.end_amdhsa_kernel
	.section	.text._ZN9rocsparseL22partial_scale_y_kernelIlddEEvT_S1_S1_NS_24const_host_device_scalarIT1_EEPT0_b,"axG",@progbits,_ZN9rocsparseL22partial_scale_y_kernelIlddEEvT_S1_S1_NS_24const_host_device_scalarIT1_EEPT0_b,comdat
.Lfunc_end19:
	.size	_ZN9rocsparseL22partial_scale_y_kernelIlddEEvT_S1_S1_NS_24const_host_device_scalarIT1_EEPT0_b, .Lfunc_end19-_ZN9rocsparseL22partial_scale_y_kernelIlddEEvT_S1_S1_NS_24const_host_device_scalarIT1_EEPT0_b
                                        ; -- End function
	.section	.AMDGPU.csdata,"",@progbits
; Kernel info:
; codeLenInByte = 388
; NumSgprs: 20
; NumVgprs: 6
; NumAgprs: 0
; TotalNumVgprs: 6
; ScratchSize: 0
; MemoryBound: 0
; FloatMode: 240
; IeeeMode: 1
; LDSByteSize: 0 bytes/workgroup (compile time only)
; SGPRBlocks: 2
; VGPRBlocks: 0
; NumSGPRsForWavesPerEU: 20
; NumVGPRsForWavesPerEU: 6
; AccumOffset: 8
; Occupancy: 8
; WaveLimiterHint : 0
; COMPUTE_PGM_RSRC2:SCRATCH_EN: 0
; COMPUTE_PGM_RSRC2:USER_SGPR: 6
; COMPUTE_PGM_RSRC2:TRAP_HANDLER: 0
; COMPUTE_PGM_RSRC2:TGID_X_EN: 1
; COMPUTE_PGM_RSRC2:TGID_Y_EN: 0
; COMPUTE_PGM_RSRC2:TGID_Z_EN: 0
; COMPUTE_PGM_RSRC2:TIDIG_COMP_CNT: 0
; COMPUTE_PGM_RSRC3_GFX90A:ACCUM_OFFSET: 1
; COMPUTE_PGM_RSRC3_GFX90A:TG_SPLIT: 0
	.section	.text._ZN9rocsparseL27csrmvn_symm_adaptive_kernelIllddddEEvbT_S1_PKS1_NS_24const_host_device_scalarIT4_EES3_PKT0_PKT1_PKT2_S6_PT3_21rocsparse_index_base_b,"axG",@progbits,_ZN9rocsparseL27csrmvn_symm_adaptive_kernelIllddddEEvbT_S1_PKS1_NS_24const_host_device_scalarIT4_EES3_PKT0_PKT1_PKT2_S6_PT3_21rocsparse_index_base_b,comdat
	.globl	_ZN9rocsparseL27csrmvn_symm_adaptive_kernelIllddddEEvbT_S1_PKS1_NS_24const_host_device_scalarIT4_EES3_PKT0_PKT1_PKT2_S6_PT3_21rocsparse_index_base_b ; -- Begin function _ZN9rocsparseL27csrmvn_symm_adaptive_kernelIllddddEEvbT_S1_PKS1_NS_24const_host_device_scalarIT4_EES3_PKT0_PKT1_PKT2_S6_PT3_21rocsparse_index_base_b
	.p2align	8
	.type	_ZN9rocsparseL27csrmvn_symm_adaptive_kernelIllddddEEvbT_S1_PKS1_NS_24const_host_device_scalarIT4_EES3_PKT0_PKT1_PKT2_S6_PT3_21rocsparse_index_base_b,@function
_ZN9rocsparseL27csrmvn_symm_adaptive_kernelIllddddEEvbT_S1_PKS1_NS_24const_host_device_scalarIT4_EES3_PKT0_PKT1_PKT2_S6_PT3_21rocsparse_index_base_b: ; @_ZN9rocsparseL27csrmvn_symm_adaptive_kernelIllddddEEvbT_S1_PKS1_NS_24const_host_device_scalarIT4_EES3_PKT0_PKT1_PKT2_S6_PT3_21rocsparse_index_base_b
; %bb.0:
	s_load_dwordx2 s[30:31], s[4:5], 0x58
	s_load_dwordx2 s[8:9], s[4:5], 0x20
	;; [unrolled: 1-line block ×3, first 2 shown]
	s_waitcnt lgkmcnt(0)
	s_bitcmp1_b32 s31, 0
	s_cselect_b64 s[10:11], -1, 0
	s_xor_b64 s[2:3], s[10:11], -1
	s_and_b64 vcc, exec, s[10:11]
	v_pk_mov_b32 v[10:11], s[8:9], s[8:9] op_sel:[0,1]
	s_cbranch_vccnz .LBB20_2
; %bb.1:
	v_pk_mov_b32 v[2:3], s[8:9], s[8:9] op_sel:[0,1]
	flat_load_dwordx2 v[10:11], v[2:3]
.LBB20_2:
	s_andn2_b64 vcc, exec, s[2:3]
	v_pk_mov_b32 v[2:3], s[0:1], s[0:1] op_sel:[0,1]
	s_cbranch_vccnz .LBB20_4
; %bb.3:
	v_pk_mov_b32 v[2:3], s[0:1], s[0:1] op_sel:[0,1]
	flat_load_dwordx2 v[2:3], v[2:3]
.LBB20_4:
	s_waitcnt vmcnt(0) lgkmcnt(0)
	v_cmp_neq_f64_e32 vcc, 0, v[10:11]
	v_cmp_neq_f64_e64 s[0:1], 1.0, v[2:3]
	s_or_b64 s[0:1], vcc, s[0:1]
	s_and_saveexec_b64 s[2:3], s[0:1]
	s_cbranch_execz .LBB20_170
; %bb.5:
	s_load_dwordx2 s[0:1], s[4:5], 0x18
	s_mov_b32 s31, 0
	s_mov_b32 s2, s31
	;; [unrolled: 1-line block ×3, first 2 shown]
	s_ashr_i32 s7, s6, 31
	v_pk_mov_b32 v[2:3], s[2:3], s[2:3] op_sel:[0,1]
	s_lshl_b64 s[2:3], s[6:7], 3
	s_waitcnt lgkmcnt(0)
	s_add_u32 s0, s0, s2
	v_lshlrev_b32_e32 v18, 3, v0
	s_addc_u32 s1, s1, s3
	ds_write2st64_b64 v18, v[2:3], v[2:3] offset1:4
	ds_write2st64_b64 v18, v[2:3], v[2:3] offset0:8 offset1:12
	s_waitcnt lgkmcnt(0)
	s_barrier
	s_load_dwordx4 s[24:27], s[0:1], 0x0
	s_load_dwordx8 s[16:23], s[4:5], 0x28
	s_load_dwordx2 s[14:15], s[4:5], 0x50
	s_mov_b64 s[0:1], -1
	s_waitcnt lgkmcnt(0)
	s_sub_u32 s28, s26, s24
	s_subb_u32 s29, s27, s25
	v_cmp_gt_i64_e64 s[2:3], s[28:29], 2
	s_and_b64 vcc, exec, s[2:3]
	s_cbranch_vccnz .LBB20_43
; %bb.6:
	v_pk_mov_b32 v[2:3], s[24:25], s[24:25] op_sel:[0,1]
	v_cmp_gt_i64_e32 vcc, s[26:27], v[2:3]
	v_subrev_co_u32_e64 v1, s[0:1], s30, v0
	v_subb_co_u32_e64 v12, s[0:1], 0, 0, s[0:1]
	s_cbranch_vccnz .LBB20_8
; %bb.7:
	s_lshl_b64 s[0:1], s[24:25], 3
	s_add_u32 s0, s16, s0
	s_addc_u32 s1, s17, s1
	s_load_dwordx2 s[34:35], s[0:1], 0x0
	s_cbranch_execz .LBB20_9
	s_branch .LBB20_32
.LBB20_8:
                                        ; implicit-def: $sgpr34_sgpr35
.LBB20_9:
	s_lshl_b64 s[12:13], s[24:25], 3
	s_add_u32 s12, s16, s12
	s_addc_u32 s13, s17, s13
	s_waitcnt lgkmcnt(0)
	s_load_dwordx2 s[34:35], s[12:13], 0x0
	s_movk_i32 s33, 0x100
	s_add_u32 s48, s16, 8
	v_cmp_gt_u32_e64 s[0:1], s33, v0
	v_cmp_gt_u32_e64 s[2:3], 64, v0
	;; [unrolled: 1-line block ×4, first 2 shown]
	v_cmp_eq_u32_e64 s[10:11], 0, v0
	s_addc_u32 s49, s17, 0
	v_mov_b32_e32 v13, s31
	v_mov_b32_e32 v14, s23
	;; [unrolled: 1-line block ×3, first 2 shown]
	s_waitcnt lgkmcnt(0)
	s_mov_b64 s[38:39], s[34:35]
	s_mov_b64 s[36:37], s[24:25]
	s_branch .LBB20_11
.LBB20_10:                              ;   in Loop: Header=BB20_11 Depth=1
	s_or_b64 exec, exec, s[12:13]
	s_add_u32 s36, s36, 1
	s_addc_u32 s37, s37, 0
	v_pk_mov_b32 v[2:3], s[26:27], s[26:27] op_sel:[0,1]
	v_cmp_ge_i64_e32 vcc, s[36:37], v[2:3]
	s_cbranch_vccnz .LBB20_32
.LBB20_11:                              ; =>This Loop Header: Depth=1
                                        ;     Child Loop BB20_13 Depth 2
                                        ;     Child Loop BB20_27 Depth 2
	;; [unrolled: 1-line block ×3, first 2 shown]
	s_lshl_b64 s[40:41], s[36:37], 3
	s_mov_b64 s[12:13], s[38:39]
	s_add_u32 s38, s48, s40
	s_addc_u32 s39, s49, s41
	s_load_dwordx2 s[38:39], s[38:39], 0x0
	v_mov_b32_e32 v3, s13
	v_add_co_u32_e32 v2, vcc, s12, v1
	v_addc_co_u32_e32 v3, vcc, v3, v12, vcc
	s_waitcnt lgkmcnt(0)
	s_sub_u32 s42, s38, s30
	s_subb_u32 s43, s39, 0
	v_cmp_gt_i64_e32 vcc, s[42:43], v[2:3]
	v_pk_mov_b32 v[4:5], 0, 0
	s_and_saveexec_b64 s[44:45], vcc
	s_cbranch_execz .LBB20_15
; %bb.12:                               ;   in Loop: Header=BB20_11 Depth=1
	v_lshlrev_b64 v[4:5], 3, v[2:3]
	v_mov_b32_e32 v7, s19
	v_add_co_u32_e32 v6, vcc, s18, v4
	v_addc_co_u32_e32 v7, vcc, v7, v5, vcc
	v_mov_b32_e32 v9, s21
	v_add_co_u32_e32 v8, vcc, s20, v4
	v_addc_co_u32_e32 v9, vcc, v9, v5, vcc
	s_mov_b64 s[46:47], 0
	v_pk_mov_b32 v[4:5], 0, 0
.LBB20_13:                              ;   Parent Loop BB20_11 Depth=1
                                        ; =>  This Inner Loop Header: Depth=2
	global_load_dwordx2 v[16:17], v[6:7], off
	global_load_dwordx2 v[20:21], v[8:9], off
	s_waitcnt vmcnt(1)
	v_subrev_co_u32_e32 v16, vcc, s30, v16
	v_subb_co_u32_e32 v17, vcc, v17, v13, vcc
	v_lshlrev_b64 v[16:17], 3, v[16:17]
	v_add_co_u32_e32 v16, vcc, s22, v16
	v_addc_co_u32_e32 v17, vcc, v14, v17, vcc
	global_load_dwordx2 v[16:17], v[16:17], off
	v_add_co_u32_e32 v2, vcc, s33, v2
	v_addc_co_u32_e32 v3, vcc, 0, v3, vcc
	v_add_co_u32_e32 v6, vcc, 0x800, v6
	v_addc_co_u32_e32 v7, vcc, 0, v7, vcc
	v_add_co_u32_e32 v8, vcc, 0x800, v8
	v_cmp_le_i64_e64 s[12:13], s[42:43], v[2:3]
	v_addc_co_u32_e32 v9, vcc, 0, v9, vcc
	s_or_b64 s[46:47], s[12:13], s[46:47]
	s_waitcnt vmcnt(0)
	v_fmac_f64_e32 v[4:5], v[20:21], v[16:17]
	s_andn2_b64 exec, exec, s[46:47]
	s_cbranch_execnz .LBB20_13
; %bb.14:                               ;   in Loop: Header=BB20_11 Depth=1
	s_or_b64 exec, exec, s[46:47]
.LBB20_15:                              ;   in Loop: Header=BB20_11 Depth=1
	s_or_b64 exec, exec, s[44:45]
	ds_write_b64 v18, v[4:5]
	s_waitcnt lgkmcnt(0)
	s_barrier
	s_and_saveexec_b64 s[12:13], s[0:1]
	s_cbranch_execz .LBB20_17
; %bb.16:                               ;   in Loop: Header=BB20_11 Depth=1
	ds_read2st64_b64 v[2:5], v18 offset1:4
	ds_read2st64_b64 v[6:9], v18 offset0:8 offset1:12
	s_waitcnt lgkmcnt(0)
	v_add_f64 v[4:5], v[4:5], v[6:7]
	v_add_f64 v[4:5], v[4:5], v[8:9]
	;; [unrolled: 1-line block ×3, first 2 shown]
	ds_write_b64 v18, v[2:3]
.LBB20_17:                              ;   in Loop: Header=BB20_11 Depth=1
	s_or_b64 exec, exec, s[12:13]
	s_waitcnt lgkmcnt(0)
	s_barrier
	s_and_saveexec_b64 s[12:13], s[2:3]
	s_cbranch_execz .LBB20_19
; %bb.18:                               ;   in Loop: Header=BB20_11 Depth=1
	ds_read2st64_b64 v[2:5], v18 offset1:1
	ds_read2st64_b64 v[6:9], v18 offset0:2 offset1:3
	s_waitcnt lgkmcnt(0)
	v_add_f64 v[4:5], v[4:5], v[6:7]
	v_add_f64 v[4:5], v[4:5], v[8:9]
	;; [unrolled: 1-line block ×3, first 2 shown]
	ds_write_b64 v18, v[2:3]
.LBB20_19:                              ;   in Loop: Header=BB20_11 Depth=1
	s_or_b64 exec, exec, s[12:13]
	s_waitcnt lgkmcnt(0)
	s_barrier
	s_and_saveexec_b64 s[12:13], s[6:7]
	s_cbranch_execz .LBB20_21
; %bb.20:                               ;   in Loop: Header=BB20_11 Depth=1
	ds_read2_b64 v[2:5], v18 offset1:16
	ds_read2_b64 v[6:9], v18 offset0:32 offset1:48
	s_waitcnt lgkmcnt(0)
	v_add_f64 v[4:5], v[4:5], v[6:7]
	v_add_f64 v[4:5], v[4:5], v[8:9]
	;; [unrolled: 1-line block ×3, first 2 shown]
	ds_write_b64 v18, v[2:3]
.LBB20_21:                              ;   in Loop: Header=BB20_11 Depth=1
	s_or_b64 exec, exec, s[12:13]
	s_waitcnt lgkmcnt(0)
	s_barrier
	s_and_saveexec_b64 s[12:13], s[8:9]
	s_cbranch_execz .LBB20_23
; %bb.22:                               ;   in Loop: Header=BB20_11 Depth=1
	ds_read2_b64 v[2:5], v18 offset1:4
	ds_read2_b64 v[6:9], v18 offset0:8 offset1:12
	s_waitcnt lgkmcnt(0)
	v_add_f64 v[4:5], v[4:5], v[6:7]
	v_add_f64 v[4:5], v[4:5], v[8:9]
	;; [unrolled: 1-line block ×3, first 2 shown]
	ds_write_b64 v18, v[2:3]
.LBB20_23:                              ;   in Loop: Header=BB20_11 Depth=1
	s_or_b64 exec, exec, s[12:13]
	s_waitcnt lgkmcnt(0)
	s_barrier
	s_and_saveexec_b64 s[12:13], s[10:11]
	s_cbranch_execz .LBB20_25
; %bb.24:                               ;   in Loop: Header=BB20_11 Depth=1
	ds_read2_b64 v[2:5], v15 offset0:1 offset1:2
	ds_read_b64 v[6:7], v15 offset:24
	ds_read_b64 v[8:9], v18
	s_waitcnt lgkmcnt(2)
	v_add_f64 v[2:3], v[2:3], v[4:5]
	s_waitcnt lgkmcnt(1)
	v_add_f64 v[2:3], v[2:3], v[6:7]
	;; [unrolled: 2-line block ×3, first 2 shown]
	ds_write_b64 v18, v[2:3]
.LBB20_25:                              ;   in Loop: Header=BB20_11 Depth=1
	s_or_b64 exec, exec, s[12:13]
	s_waitcnt lgkmcnt(0)
	s_barrier
	s_and_saveexec_b64 s[12:13], s[10:11]
	s_cbranch_execz .LBB20_10
; %bb.26:                               ;   in Loop: Header=BB20_11 Depth=1
	ds_read_b64 v[2:3], v15
	v_mov_b32_e32 v6, 0
	s_mov_b64 s[42:43], exec
	v_bfrev_b32_e32 v7, 1
	s_waitcnt lgkmcnt(0)
	v_mul_f64 v[2:3], v[10:11], v[2:3]
.LBB20_27:                              ;   Parent Loop BB20_11 Depth=1
                                        ; =>  This Inner Loop Header: Depth=2
	s_ff1_i32_b64 s46, s[42:43]
	v_readlane_b32 s45, v3, s46
	v_readlane_b32 s44, v2, s46
	s_lshl_b64 s[46:47], 1, s46
	s_andn2_b64 s[42:43], s[42:43], s[46:47]
	s_cmp_lg_u64 s[42:43], 0
	v_add_f64 v[6:7], v[6:7], s[44:45]
	s_cbranch_scc1 .LBB20_27
; %bb.28:                               ;   in Loop: Header=BB20_11 Depth=1
	v_mbcnt_lo_u32_b32 v2, exec_lo, 0
	v_mbcnt_hi_u32_b32 v2, exec_hi, v2
	v_cmp_eq_u32_e32 vcc, 0, v2
	s_and_saveexec_b64 s[42:43], vcc
	s_xor_b64 s[42:43], exec, s[42:43]
	s_cbranch_execz .LBB20_10
; %bb.29:                               ;   in Loop: Header=BB20_11 Depth=1
	s_add_u32 s40, s14, s40
	s_addc_u32 s41, s15, s41
	global_load_dwordx2 v[4:5], v15, s[40:41]
	s_mov_b64 s[42:43], 0
.LBB20_30:                              ;   Parent Loop BB20_11 Depth=1
                                        ; =>  This Inner Loop Header: Depth=2
	s_waitcnt vmcnt(0)
	v_add_f64 v[2:3], v[4:5], v[6:7]
	global_atomic_cmpswap_x2 v[2:3], v15, v[2:5], s[40:41] glc
	s_waitcnt vmcnt(0)
	v_cmp_eq_u64_e32 vcc, v[2:3], v[4:5]
	s_or_b64 s[42:43], vcc, s[42:43]
	v_pk_mov_b32 v[4:5], v[2:3], v[2:3] op_sel:[0,1]
	s_andn2_b64 exec, exec, s[42:43]
	s_cbranch_execnz .LBB20_30
; %bb.31:                               ;   in Loop: Header=BB20_11 Depth=1
	s_or_b64 exec, exec, s[42:43]
	s_branch .LBB20_10
.LBB20_32:
	s_lshl_b64 s[0:1], s[26:27], 3
	s_add_u32 s0, s16, s0
	s_addc_u32 s1, s17, s1
	s_load_dwordx2 s[0:1], s[0:1], 0x0
	s_waitcnt lgkmcnt(0)
	v_mov_b32_e32 v2, s35
	v_add_co_u32_e32 v6, vcc, s34, v1
	v_addc_co_u32_e32 v7, vcc, v2, v12, vcc
	s_sub_u32 s6, s0, s30
	s_subb_u32 s7, s1, 0
	v_cmp_gt_i64_e32 vcc, s[6:7], v[6:7]
	s_and_saveexec_b64 s[8:9], vcc
	s_cbranch_execz .LBB20_42
; %bb.33:
	s_add_u32 s10, s26, -1
	s_addc_u32 s11, s27, -1
	s_add_u32 s0, s26, -2
	s_addc_u32 s1, s27, -1
	v_pk_mov_b32 v[2:3], s[24:25], s[24:25] op_sel:[0,1]
	s_cmp_lg_u64 s[0:1], s[24:25]
	v_cmp_gt_i64_e32 vcc, s[10:11], v[2:3]
	s_cselect_b64 s[0:1], -1, 0
	s_and_b64 s[0:1], vcc, s[0:1]
	v_cndmask_b32_e64 v1, 0, 1, s[0:1]
	s_mov_b64 s[12:13], 0
	v_cmp_ne_u32_e64 s[0:1], 1, v1
	v_mov_b32_e32 v1, s17
	v_mov_b32_e32 v14, s31
	;; [unrolled: 1-line block ×3, first 2 shown]
	s_branch .LBB20_35
.LBB20_34:                              ;   in Loop: Header=BB20_35 Depth=1
	s_or_b64 exec, exec, s[2:3]
	v_add_co_u32_e32 v6, vcc, 0x100, v6
	v_addc_co_u32_e32 v7, vcc, 0, v7, vcc
	v_cmp_le_i64_e32 vcc, s[6:7], v[6:7]
	s_or_b64 s[12:13], vcc, s[12:13]
	s_andn2_b64 exec, exec, s[12:13]
	s_cbranch_execz .LBB20_42
.LBB20_35:                              ; =>This Loop Header: Depth=1
                                        ;     Child Loop BB20_37 Depth 2
                                        ;     Child Loop BB20_41 Depth 2
	s_and_b64 vcc, exec, s[0:1]
	v_pk_mov_b32 v[2:3], s[24:25], s[24:25] op_sel:[0,1]
	v_pk_mov_b32 v[4:5], s[10:11], s[10:11] op_sel:[0,1]
	s_cbranch_vccnz .LBB20_39
; %bb.36:                               ;   in Loop: Header=BB20_35 Depth=1
	s_mov_b64 s[34:35], 0
	v_pk_mov_b32 v[2:3], s[24:25], s[24:25] op_sel:[0,1]
	v_pk_mov_b32 v[4:5], s[10:11], s[10:11] op_sel:[0,1]
.LBB20_37:                              ;   Parent Loop BB20_35 Depth=1
                                        ; =>  This Inner Loop Header: Depth=2
	v_add_co_u32_e32 v8, vcc, v4, v2
	v_addc_co_u32_e32 v9, vcc, v5, v3, vcc
	v_lshrrev_b32_e32 v12, 31, v9
	v_add_co_u32_e32 v8, vcc, v8, v12
	v_addc_co_u32_e32 v9, vcc, 0, v9, vcc
	v_ashrrev_i64 v[8:9], 1, v[8:9]
	v_lshlrev_b64 v[12:13], 3, v[8:9]
	v_mov_b32_e32 v16, s17
	v_add_co_u32_e32 v12, vcc, s16, v12
	v_addc_co_u32_e32 v13, vcc, v16, v13, vcc
	global_load_dwordx2 v[12:13], v[12:13], off
	v_mov_b32_e32 v16, s31
	s_waitcnt vmcnt(0)
	v_subrev_co_u32_e32 v12, vcc, s30, v12
	v_subb_co_u32_e32 v13, vcc, v13, v16, vcc
	v_cmp_gt_i64_e32 vcc, v[12:13], v[6:7]
	v_cndmask_b32_e32 v4, v4, v8, vcc
	v_cndmask_b32_e32 v5, v5, v9, vcc
	;; [unrolled: 1-line block ×3, first 2 shown]
	v_add_co_u32_e64 v8, s[2:3], -1, v4
	v_cndmask_b32_e32 v3, v9, v3, vcc
	v_addc_co_u32_e64 v9, s[2:3], -1, v5, s[2:3]
	v_cmp_ge_i64_e32 vcc, v[2:3], v[4:5]
	v_cmp_eq_u64_e64 s[2:3], v[2:3], v[8:9]
	s_or_b64 s[2:3], vcc, s[2:3]
	s_and_b64 s[2:3], exec, s[2:3]
	s_or_b64 s[34:35], s[2:3], s[34:35]
	s_andn2_b64 exec, exec, s[34:35]
	s_cbranch_execnz .LBB20_37
; %bb.38:                               ;   in Loop: Header=BB20_35 Depth=1
	s_or_b64 exec, exec, s[34:35]
.LBB20_39:                              ;   in Loop: Header=BB20_35 Depth=1
	v_lshlrev_b64 v[8:9], 3, v[4:5]
	v_add_co_u32_e32 v8, vcc, s16, v8
	v_addc_co_u32_e32 v9, vcc, v1, v9, vcc
	global_load_dwordx2 v[12:13], v[8:9], off
	v_lshlrev_b64 v[8:9], 3, v[6:7]
	v_add_co_u32_e32 v16, vcc, s18, v8
	v_addc_co_u32_e32 v17, vcc, v15, v9, vcc
	global_load_dwordx2 v[16:17], v[16:17], off
	s_waitcnt vmcnt(1)
	v_subrev_co_u32_e32 v12, vcc, s30, v12
	v_subb_co_u32_e32 v13, vcc, v13, v14, vcc
	v_cmp_gt_i64_e32 vcc, v[12:13], v[6:7]
	v_cndmask_b32_e32 v3, v5, v3, vcc
	v_cndmask_b32_e32 v2, v4, v2, vcc
	s_waitcnt vmcnt(0)
	v_subrev_co_u32_e32 v4, vcc, s30, v16
	v_subb_co_u32_e32 v5, vcc, v17, v14, vcc
	v_cmp_ne_u64_e32 vcc, v[4:5], v[2:3]
	s_and_saveexec_b64 s[2:3], vcc
	s_cbranch_execz .LBB20_34
; %bb.40:                               ;   in Loop: Header=BB20_35 Depth=1
	v_mov_b32_e32 v12, s21
	v_add_co_u32_e32 v8, vcc, s20, v8
	v_addc_co_u32_e32 v9, vcc, v12, v9, vcc
	v_lshlrev_b64 v[2:3], 3, v[2:3]
	global_load_dwordx2 v[12:13], v[8:9], off
	v_mov_b32_e32 v8, s23
	v_add_co_u32_e32 v2, vcc, s22, v2
	v_lshlrev_b64 v[4:5], 3, v[4:5]
	v_addc_co_u32_e32 v3, vcc, v8, v3, vcc
	v_mov_b32_e32 v16, s15
	v_add_co_u32_e32 v8, vcc, s14, v4
	global_load_dwordx2 v[2:3], v[2:3], off
	v_addc_co_u32_e32 v9, vcc, v16, v5, vcc
	global_load_dwordx2 v[4:5], v[8:9], off
	s_mov_b64 s[34:35], 0
	s_waitcnt vmcnt(2)
	v_mul_f64 v[12:13], v[10:11], v[12:13]
	s_waitcnt vmcnt(1)
	v_mul_f64 v[12:13], v[12:13], v[2:3]
.LBB20_41:                              ;   Parent Loop BB20_35 Depth=1
                                        ; =>  This Inner Loop Header: Depth=2
	s_waitcnt vmcnt(0)
	v_add_f64 v[2:3], v[4:5], v[12:13]
	global_atomic_cmpswap_x2 v[2:3], v[8:9], v[2:5], off glc
	s_waitcnt vmcnt(0)
	v_cmp_eq_u64_e32 vcc, v[2:3], v[4:5]
	s_or_b64 s[34:35], vcc, s[34:35]
	v_pk_mov_b32 v[4:5], v[2:3], v[2:3] op_sel:[0,1]
	s_andn2_b64 exec, exec, s[34:35]
	s_cbranch_execnz .LBB20_41
	s_branch .LBB20_34
.LBB20_42:
	s_or_b64 exec, exec, s[8:9]
	s_mov_b64 s[0:1], 0
.LBB20_43:
	s_and_b64 vcc, exec, s[0:1]
	s_cbranch_vccz .LBB20_170
; %bb.44:
	s_load_dword s0, s[4:5], 0x6c
	s_mov_b32 s31, 0
	v_pk_mov_b32 v[2:3], s[28:29], s[28:29] op_sel:[0,1]
	s_mov_b32 s13, s31
	s_mov_b64 s[34:35], 0
	s_waitcnt lgkmcnt(0)
	s_and_b32 s12, s0, 0xffff
	v_cmp_lt_u64_e32 vcc, s[12:13], v[2:3]
	s_cbranch_vccnz .LBB20_46
; %bb.45:
	v_cvt_f32_u32_e32 v1, s28
	s_sub_i32 s0, 0, s28
	v_rcp_iflag_f32_e32 v1, v1
	v_mul_f32_e32 v1, 0x4f7ffffe, v1
	v_cvt_u32_f32_e32 v1, v1
	v_readfirstlane_b32 s1, v1
	s_mul_i32 s0, s0, s1
	s_mul_hi_u32 s0, s1, s0
	s_add_i32 s1, s1, s0
	s_mul_hi_u32 s0, s12, s1
	s_mul_i32 s2, s0, s28
	s_sub_i32 s2, s12, s2
	s_add_i32 s1, s0, 1
	s_sub_i32 s3, s2, s28
	s_cmp_ge_u32 s2, s28
	s_cselect_b32 s0, s1, s0
	s_cselect_b32 s2, s3, s2
	s_add_i32 s1, s0, 1
	s_cmp_ge_u32 s2, s28
	s_cselect_b32 s34, s1, s0
.LBB20_46:
	s_lshl_b64 s[0:1], s[24:25], 3
	s_add_u32 s10, s16, s0
	s_addc_u32 s11, s17, s1
	s_load_dwordx2 s[8:9], s[10:11], 0x0
	v_subrev_co_u32_e32 v2, vcc, s30, v0
	s_load_dwordx4 s[4:7], s[4:5], 0x8
	v_subb_co_u32_e64 v3, s[0:1], 0, 0, vcc
	s_waitcnt lgkmcnt(0)
	v_mov_b32_e32 v4, s9
	v_add_co_u32_e32 v6, vcc, s8, v2
	v_addc_co_u32_e32 v7, vcc, v4, v3, vcc
	v_add_co_u32_e32 v8, vcc, 0x300, v6
	v_addc_co_u32_e32 v9, vcc, 0, v7, vcc
	v_mov_b32_e32 v1, 0
	v_cmp_le_i64_e64 s[0:1], s[4:5], v[8:9]
	s_and_saveexec_b64 s[2:3], s[0:1]
	s_xor_b64 s[2:3], exec, s[2:3]
	s_cbranch_execnz .LBB20_49
; %bb.47:
	s_or_saveexec_b64 s[2:3], s[2:3]
	v_lshlrev_b64 v[2:3], 3, v[6:7]
	s_xor_b64 exec, exec, s[2:3]
	s_cbranch_execnz .LBB20_53
.LBB20_48:
	s_or_b64 exec, exec, s[2:3]
	v_cmp_gt_i64_e32 vcc, s[6:7], v[0:1]
	s_and_saveexec_b64 s[2:3], vcc
	s_cbranch_execnz .LBB20_54
	s_branch .LBB20_56
.LBB20_49:
	s_lshl_b64 s[4:5], s[26:27], 3
	s_add_u32 s4, s16, s4
	s_addc_u32 s5, s17, s5
	s_load_dwordx2 s[4:5], s[4:5], 0x0
	s_waitcnt lgkmcnt(0)
	s_sub_u32 s4, s4, s8
	s_subb_u32 s5, s5, s9
	v_cmp_gt_i64_e32 vcc, s[4:5], v[0:1]
	s_and_saveexec_b64 s[36:37], vcc
	s_cbranch_execz .LBB20_52
; %bb.50:
	v_lshlrev_b64 v[2:3], 3, v[6:7]
	v_mov_b32_e32 v4, s21
	v_add_co_u32_e32 v2, vcc, s20, v2
	v_addc_co_u32_e32 v3, vcc, v4, v3, vcc
	s_mov_b64 s[38:39], 0
	v_mov_b32_e32 v12, v18
	v_pk_mov_b32 v[4:5], v[0:1], v[0:1] op_sel:[0,1]
.LBB20_51:                              ; =>This Inner Loop Header: Depth=1
	global_load_dwordx2 v[14:15], v[2:3], off
	v_add_co_u32_e32 v2, vcc, 0x800, v2
	v_addc_co_u32_e32 v3, vcc, 0, v3, vcc
	v_add_co_u32_e32 v4, vcc, 0x100, v4
	v_addc_co_u32_e32 v5, vcc, 0, v5, vcc
	v_cmp_le_i64_e32 vcc, s[4:5], v[4:5]
	s_or_b64 s[38:39], vcc, s[38:39]
	s_waitcnt vmcnt(0)
	v_mul_f64 v[14:15], v[10:11], v[14:15]
	ds_write_b64 v12, v[14:15]
	v_add_u32_e32 v12, 0x800, v12
	s_andn2_b64 exec, exec, s[38:39]
	s_cbranch_execnz .LBB20_51
.LBB20_52:
	s_or_b64 exec, exec, s[36:37]
                                        ; implicit-def: $vgpr10_vgpr11
	s_or_saveexec_b64 s[2:3], s[2:3]
	v_lshlrev_b64 v[2:3], 3, v[6:7]
	s_xor_b64 exec, exec, s[2:3]
	s_cbranch_execz .LBB20_48
.LBB20_53:
	v_mov_b32_e32 v5, s21
	v_add_co_u32_e32 v4, vcc, s20, v2
	v_addc_co_u32_e32 v5, vcc, v5, v3, vcc
	global_load_dwordx2 v[12:13], v[4:5], off
	global_load_dwordx2 v[14:15], v[4:5], off offset:2048
	v_add_co_u32_e32 v4, vcc, 0x1000, v4
	v_addc_co_u32_e32 v5, vcc, 0, v5, vcc
	global_load_dwordx2 v[16:17], v[4:5], off
	global_load_dwordx2 v[20:21], v[4:5], off offset:2048
	s_waitcnt vmcnt(3)
	v_mul_f64 v[4:5], v[10:11], v[12:13]
	s_waitcnt vmcnt(2)
	v_mul_f64 v[12:13], v[10:11], v[14:15]
	ds_write2st64_b64 v18, v[4:5], v[12:13] offset1:4
	s_waitcnt vmcnt(1)
	v_mul_f64 v[4:5], v[10:11], v[16:17]
	s_waitcnt vmcnt(0)
	v_mul_f64 v[10:11], v[10:11], v[20:21]
	ds_write2st64_b64 v18, v[4:5], v[10:11] offset0:8 offset1:12
	s_or_b64 exec, exec, s[2:3]
	v_cmp_gt_i64_e32 vcc, s[6:7], v[0:1]
	s_and_saveexec_b64 s[2:3], vcc
	s_cbranch_execz .LBB20_56
.LBB20_54:
	v_mov_b32_e32 v4, 0x2000
	v_lshl_add_u32 v12, v0, 3, v4
	v_mov_b32_e32 v4, 0
	s_mov_b64 s[4:5], 0
	v_mov_b32_e32 v5, v4
	v_pk_mov_b32 v[10:11], v[0:1], v[0:1] op_sel:[0,1]
.LBB20_55:                              ; =>This Inner Loop Header: Depth=1
	v_add_co_u32_e32 v10, vcc, 0x100, v10
	v_addc_co_u32_e32 v11, vcc, 0, v11, vcc
	v_cmp_le_i64_e32 vcc, s[6:7], v[10:11]
	ds_write_b64 v12, v[4:5]
	s_or_b64 s[4:5], vcc, s[4:5]
	v_add_u32_e32 v12, 0x800, v12
	s_andn2_b64 exec, exec, s[4:5]
	s_cbranch_execnz .LBB20_55
.LBB20_56:
	s_or_b64 exec, exec, s[2:3]
	s_sub_u32 s4, s26, s6
	v_pk_mov_b32 v[4:5], s[6:7], s[6:7] op_sel:[0,1]
	s_subb_u32 s5, s27, s7
	v_cmp_ge_i64_e32 vcc, s[26:27], v[4:5]
	s_and_b64 s[2:3], vcc, exec
	s_cselect_b32 s5, s5, 0
	s_cselect_b32 s4, s4, 0
	s_waitcnt lgkmcnt(0)
	s_barrier
	s_and_saveexec_b64 s[2:3], s[0:1]
	s_xor_b64 s[20:21], exec, s[2:3]
	s_cbranch_execz .LBB20_75
; %bb.57:
	s_lshl_b64 s[0:1], s[26:27], 3
	s_add_u32 s0, s16, s0
	s_addc_u32 s1, s17, s1
	s_load_dwordx2 s[0:1], s[0:1], 0x0
	s_waitcnt lgkmcnt(0)
	s_sub_u32 s36, s0, s8
	s_subb_u32 s37, s1, s9
	v_cmp_gt_i64_e32 vcc, s[36:37], v[0:1]
	s_and_saveexec_b64 s[38:39], vcc
	s_cbranch_execz .LBB20_74
; %bb.58:
	s_add_u32 s40, s26, -1
	s_addc_u32 s41, s27, -1
	s_add_u32 s2, s26, -2
	s_addc_u32 s3, s27, -1
	v_pk_mov_b32 v[2:3], s[24:25], s[24:25] op_sel:[0,1]
	s_cmp_lg_u64 s[2:3], s[24:25]
	v_cmp_gt_i64_e32 vcc, s[40:41], v[2:3]
	s_cselect_b64 s[2:3], -1, 0
	s_and_b64 s[2:3], vcc, s[2:3]
	s_sub_u32 s42, s0, s30
	v_cndmask_b32_e64 v2, 0, 1, s[2:3]
	s_subb_u32 s43, s1, 0
	s_mov_b64 s[44:45], 0
	v_cmp_ne_u32_e64 s[0:1], 1, v2
	v_mov_b32_e32 v16, s17
	v_mov_b32_e32 v17, s31
	;; [unrolled: 1-line block ×4, first 2 shown]
	s_mov_b64 s[46:47], 0
	s_branch .LBB20_61
.LBB20_59:                              ;   in Loop: Header=BB20_61 Depth=1
	s_or_b64 exec, exec, s[2:3]
.LBB20_60:                              ;   in Loop: Header=BB20_61 Depth=1
	s_or_b64 exec, exec, s[48:49]
	v_lshlrev_b64 v[2:3], 3, v[8:9]
	v_mov_b32_e32 v4, s23
	v_add_co_u32_e32 v2, vcc, s22, v2
	v_addc_co_u32_e32 v3, vcc, v4, v3, vcc
	global_load_dwordx2 v[2:3], v[2:3], off
	s_add_u32 s46, s46, 0x100
	s_addc_u32 s47, s47, 0
	v_mov_b32_e32 v5, s47
	v_add_co_u32_e32 v4, vcc, s46, v0
	v_addc_co_u32_e32 v5, vcc, 0, v5, vcc
	v_cmp_le_i64_e32 vcc, s[36:37], v[4:5]
	v_lshlrev_b32_e32 v8, 3, v21
	s_or_b64 s[44:45], vcc, s[44:45]
	s_waitcnt vmcnt(0) lgkmcnt(0)
	v_mul_f64 v[2:3], v[2:3], v[10:11]
	ds_write_b64 v8, v[2:3]
	s_andn2_b64 exec, exec, s[44:45]
	s_cbranch_execz .LBB20_74
.LBB20_61:                              ; =>This Loop Header: Depth=1
                                        ;     Child Loop BB20_63 Depth 2
                                        ;     Child Loop BB20_70 Depth 2
	v_mov_b32_e32 v3, s47
	v_add_co_u32_e32 v2, vcc, s46, v6
	v_addc_co_u32_e32 v3, vcc, v3, v7, vcc
	s_and_b64 vcc, exec, s[0:1]
	v_pk_mov_b32 v[4:5], s[24:25], s[24:25] op_sel:[0,1]
	v_pk_mov_b32 v[10:11], s[40:41], s[40:41] op_sel:[0,1]
	s_cbranch_vccnz .LBB20_65
; %bb.62:                               ;   in Loop: Header=BB20_61 Depth=1
	s_mov_b64 s[48:49], 0
	v_pk_mov_b32 v[4:5], s[24:25], s[24:25] op_sel:[0,1]
	v_pk_mov_b32 v[10:11], s[40:41], s[40:41] op_sel:[0,1]
.LBB20_63:                              ;   Parent Loop BB20_61 Depth=1
                                        ; =>  This Inner Loop Header: Depth=2
	v_add_co_u32_e32 v8, vcc, v10, v4
	v_addc_co_u32_e32 v9, vcc, v11, v5, vcc
	v_lshrrev_b32_e32 v12, 31, v9
	v_add_co_u32_e32 v8, vcc, v8, v12
	v_addc_co_u32_e32 v9, vcc, 0, v9, vcc
	v_ashrrev_i64 v[8:9], 1, v[8:9]
	v_lshlrev_b64 v[12:13], 3, v[8:9]
	v_mov_b32_e32 v14, s17
	v_add_co_u32_e32 v12, vcc, s16, v12
	v_addc_co_u32_e32 v13, vcc, v14, v13, vcc
	global_load_dwordx2 v[12:13], v[12:13], off
	v_mov_b32_e32 v14, s31
	s_waitcnt vmcnt(0)
	v_subrev_co_u32_e32 v12, vcc, s30, v12
	v_subb_co_u32_e32 v13, vcc, v13, v14, vcc
	v_cmp_gt_i64_e32 vcc, v[12:13], v[2:3]
	v_cndmask_b32_e32 v10, v10, v8, vcc
	v_cndmask_b32_e32 v11, v11, v9, vcc
	;; [unrolled: 1-line block ×3, first 2 shown]
	v_add_co_u32_e64 v8, s[2:3], -1, v10
	v_cndmask_b32_e32 v5, v9, v5, vcc
	v_addc_co_u32_e64 v9, s[2:3], -1, v11, s[2:3]
	v_cmp_ge_i64_e32 vcc, v[4:5], v[10:11]
	v_cmp_eq_u64_e64 s[2:3], v[4:5], v[8:9]
	s_or_b64 s[2:3], vcc, s[2:3]
	s_and_b64 s[2:3], exec, s[2:3]
	s_or_b64 s[48:49], s[2:3], s[48:49]
	s_andn2_b64 exec, exec, s[48:49]
	s_cbranch_execnz .LBB20_63
; %bb.64:                               ;   in Loop: Header=BB20_61 Depth=1
	s_or_b64 exec, exec, s[48:49]
.LBB20_65:                              ;   in Loop: Header=BB20_61 Depth=1
	v_lshlrev_b64 v[8:9], 3, v[10:11]
	v_add_co_u32_e32 v8, vcc, s16, v8
	v_addc_co_u32_e32 v9, vcc, v16, v9, vcc
	v_lshlrev_b64 v[12:13], 3, v[2:3]
	global_load_dwordx2 v[8:9], v[8:9], off
	v_add_co_u32_e32 v12, vcc, s18, v12
	v_addc_co_u32_e32 v13, vcc, v19, v13, vcc
	global_load_dwordx2 v[12:13], v[12:13], off
	v_add_co_u32_e32 v21, vcc, s46, v0
	v_cmp_le_i64_e32 vcc, s[42:43], v[2:3]
	s_waitcnt vmcnt(1)
	v_subrev_co_u32_e64 v14, s[2:3], s30, v8
	v_subb_co_u32_e64 v15, s[2:3], v9, v17, s[2:3]
	s_waitcnt vmcnt(0)
	v_subrev_co_u32_e64 v8, s[2:3], s30, v12
	v_subb_co_u32_e64 v9, s[2:3], v13, v17, s[2:3]
	v_cmp_gt_i64_e64 s[2:3], v[14:15], v[2:3]
	v_cndmask_b32_e64 v3, v11, v5, s[2:3]
	v_cndmask_b32_e64 v2, v10, v4, s[2:3]
	v_cmp_eq_u64_e64 s[2:3], v[8:9], v[2:3]
	s_or_b64 s[2:3], s[2:3], vcc
	v_lshlrev_b32_e32 v14, 3, v21
                                        ; implicit-def: $vgpr10_vgpr11
	s_and_saveexec_b64 s[48:49], s[2:3]
	s_xor_b64 s[2:3], exec, s[48:49]
	s_cbranch_execz .LBB20_67
; %bb.66:                               ;   in Loop: Header=BB20_61 Depth=1
	ds_read_b64 v[10:11], v14
                                        ; implicit-def: $vgpr14
                                        ; implicit-def: $vgpr2_vgpr3
.LBB20_67:                              ;   in Loop: Header=BB20_61 Depth=1
	s_andn2_saveexec_b64 s[48:49], s[2:3]
	s_cbranch_execz .LBB20_60
; %bb.68:                               ;   in Loop: Header=BB20_61 Depth=1
	v_cmp_gt_i64_e32 vcc, s[4:5], v[8:9]
	v_cmp_le_i64_e64 s[2:3], s[26:27], v[8:9]
	s_or_b64 s[2:3], vcc, s[2:3]
	v_lshlrev_b64 v[2:3], 3, v[2:3]
                                        ; implicit-def: $vgpr10_vgpr11
	s_and_saveexec_b64 s[50:51], s[2:3]
	s_xor_b64 s[2:3], exec, s[50:51]
	s_cbranch_execz .LBB20_72
; %bb.69:                               ;   in Loop: Header=BB20_61 Depth=1
	s_waitcnt lgkmcnt(0)
	v_mov_b32_e32 v11, s23
	v_add_co_u32_e32 v2, vcc, s22, v2
	v_lshlrev_b64 v[4:5], 3, v[8:9]
	v_addc_co_u32_e32 v3, vcc, v11, v3, vcc
	v_mov_b32_e32 v10, s15
	v_add_co_u32_e32 v12, vcc, s14, v4
	global_load_dwordx2 v[2:3], v[2:3], off
	v_addc_co_u32_e32 v13, vcc, v10, v5, vcc
	global_load_dwordx2 v[4:5], v[12:13], off
	ds_read_b64 v[10:11], v14
	s_mov_b64 s[50:51], 0
	s_waitcnt vmcnt(1) lgkmcnt(0)
	v_mul_f64 v[14:15], v[10:11], v[2:3]
.LBB20_70:                              ;   Parent Loop BB20_61 Depth=1
                                        ; =>  This Inner Loop Header: Depth=2
	s_waitcnt vmcnt(0)
	v_add_f64 v[2:3], v[4:5], v[14:15]
	global_atomic_cmpswap_x2 v[2:3], v[12:13], v[2:5], off glc
	s_waitcnt vmcnt(0)
	v_cmp_eq_u64_e32 vcc, v[2:3], v[4:5]
	s_or_b64 s[50:51], vcc, s[50:51]
	v_pk_mov_b32 v[4:5], v[2:3], v[2:3] op_sel:[0,1]
	s_andn2_b64 exec, exec, s[50:51]
	s_cbranch_execnz .LBB20_70
; %bb.71:                               ;   in Loop: Header=BB20_61 Depth=1
	s_or_b64 exec, exec, s[50:51]
                                        ; implicit-def: $vgpr14
                                        ; implicit-def: $vgpr2_vgpr3
.LBB20_72:                              ;   in Loop: Header=BB20_61 Depth=1
	s_andn2_saveexec_b64 s[2:3], s[2:3]
	s_cbranch_execz .LBB20_59
; %bb.73:                               ;   in Loop: Header=BB20_61 Depth=1
	v_mov_b32_e32 v4, s23
	v_add_co_u32_e32 v2, vcc, s22, v2
	v_addc_co_u32_e32 v3, vcc, v4, v3, vcc
	global_load_dwordx2 v[2:3], v[2:3], off
	s_waitcnt lgkmcnt(0)
	ds_read_b64 v[10:11], v14
	v_subrev_u32_e32 v4, s4, v8
	v_lshl_add_u32 v4, v4, 3, v20
	s_waitcnt vmcnt(0) lgkmcnt(0)
	v_mul_f64 v[2:3], v[10:11], v[2:3]
	ds_add_f64 v4, v[2:3]
	s_branch .LBB20_59
.LBB20_74:
	s_or_b64 exec, exec, s[38:39]
                                        ; implicit-def: $vgpr8_vgpr9
                                        ; implicit-def: $vgpr6
                                        ; implicit-def: $vgpr2_vgpr3
.LBB20_75:
	s_andn2_saveexec_b64 s[20:21], s[20:21]
	s_cbranch_execz .LBB20_125
; %bb.76:
	s_add_u32 s36, s26, -1
	s_addc_u32 s37, s27, -1
	s_add_u32 s0, s26, -2
	s_addc_u32 s1, s27, -1
	v_pk_mov_b32 v[4:5], s[24:25], s[24:25] op_sel:[0,1]
	s_cmp_eq_u64 s[0:1], s[24:25]
	v_cmp_le_i64_e32 vcc, s[36:37], v[4:5]
	s_cselect_b64 s[0:1], -1, 0
	s_or_b64 s[2:3], vcc, s[0:1]
	s_and_b64 vcc, exec, s[2:3]
	v_pk_mov_b32 v[12:13], s[36:37], s[36:37] op_sel:[0,1]
	s_cbranch_vccnz .LBB20_80
; %bb.77:
	s_mov_b64 s[38:39], 0
	v_pk_mov_b32 v[4:5], s[24:25], s[24:25] op_sel:[0,1]
	v_pk_mov_b32 v[12:13], s[36:37], s[36:37] op_sel:[0,1]
	v_mov_b32_e32 v10, s17
	v_mov_b32_e32 v11, s31
.LBB20_78:                              ; =>This Inner Loop Header: Depth=1
	v_add_co_u32_e32 v14, vcc, v12, v4
	v_addc_co_u32_e32 v15, vcc, v13, v5, vcc
	v_lshrrev_b32_e32 v16, 31, v15
	v_add_co_u32_e32 v14, vcc, v14, v16
	v_addc_co_u32_e32 v15, vcc, 0, v15, vcc
	v_ashrrev_i64 v[14:15], 1, v[14:15]
	v_lshlrev_b64 v[16:17], 3, v[14:15]
	v_add_co_u32_e32 v16, vcc, s16, v16
	v_addc_co_u32_e32 v17, vcc, v10, v17, vcc
	global_load_dwordx2 v[16:17], v[16:17], off
	s_waitcnt vmcnt(0)
	v_subrev_co_u32_e32 v16, vcc, s30, v16
	v_subb_co_u32_e32 v17, vcc, v17, v11, vcc
	v_cmp_gt_i64_e32 vcc, v[16:17], v[6:7]
	v_cndmask_b32_e32 v12, v12, v14, vcc
	v_cndmask_b32_e32 v13, v13, v15, vcc
	v_cndmask_b32_e32 v4, v14, v4, vcc
	v_add_co_u32_e64 v14, s[0:1], -1, v12
	v_cndmask_b32_e32 v5, v15, v5, vcc
	v_addc_co_u32_e64 v15, s[0:1], -1, v13, s[0:1]
	v_cmp_ge_i64_e32 vcc, v[4:5], v[12:13]
	v_cmp_eq_u64_e64 s[0:1], v[4:5], v[14:15]
	s_or_b64 s[0:1], vcc, s[0:1]
	s_and_b64 s[0:1], exec, s[0:1]
	s_or_b64 s[38:39], s[0:1], s[38:39]
	s_andn2_b64 exec, exec, s[38:39]
	s_cbranch_execnz .LBB20_78
; %bb.79:
	s_or_b64 exec, exec, s[38:39]
.LBB20_80:
	v_lshlrev_b64 v[10:11], 3, v[12:13]
	v_mov_b32_e32 v14, s17
	v_add_co_u32_e32 v10, vcc, s16, v10
	v_addc_co_u32_e32 v11, vcc, v14, v11, vcc
	global_load_dwordx2 v[14:15], v[10:11], off
	v_mov_b32_e32 v11, s19
	v_add_co_u32_e32 v10, vcc, s18, v2
	v_addc_co_u32_e32 v11, vcc, v11, v3, vcc
	global_load_dwordx2 v[16:17], v[10:11], off
	v_mov_b32_e32 v19, s31
	s_xor_b64 s[2:3], s[2:3], -1
	s_lshl_b64 s[0:1], s[26:27], 3
	s_add_u32 s18, s16, s0
	s_addc_u32 s19, s17, s1
	s_waitcnt vmcnt(1)
	v_subrev_co_u32_e32 v2, vcc, s30, v14
	v_subb_co_u32_e32 v3, vcc, v15, v19, vcc
	v_cmp_gt_i64_e32 vcc, v[2:3], v[6:7]
	v_cndmask_b32_e32 v3, v13, v5, vcc
	v_cndmask_b32_e32 v2, v12, v4, vcc
	s_waitcnt vmcnt(0)
	v_subrev_co_u32_e32 v12, vcc, s30, v16
	v_subb_co_u32_e32 v13, vcc, v17, v19, vcc
	v_cmp_ne_u64_e32 vcc, v[12:13], v[2:3]
	s_and_saveexec_b64 s[38:39], vcc
	s_cbranch_execz .LBB20_88
; %bb.81:
	s_load_dwordx2 s[0:1], s[18:19], 0x0
	s_waitcnt lgkmcnt(0)
	s_sub_u32 s0, s0, s30
	s_subb_u32 s1, s1, 0
	v_cmp_gt_i64_e32 vcc, s[0:1], v[6:7]
	s_and_b64 exec, exec, vcc
	s_cbranch_execz .LBB20_88
; %bb.82:
	v_cmp_gt_i64_e32 vcc, s[4:5], v[12:13]
	v_cmp_le_i64_e64 s[0:1], s[26:27], v[12:13]
	s_or_b64 s[0:1], vcc, s[0:1]
	v_lshlrev_b64 v[2:3], 3, v[2:3]
	s_and_saveexec_b64 s[40:41], s[0:1]
	s_xor_b64 s[0:1], exec, s[40:41]
	s_cbranch_execz .LBB20_86
; %bb.83:
	v_mov_b32_e32 v14, s23
	v_add_co_u32_e32 v2, vcc, s22, v2
	v_lshlrev_b64 v[4:5], 3, v[12:13]
	v_addc_co_u32_e32 v3, vcc, v14, v3, vcc
	v_mov_b32_e32 v15, s15
	v_add_co_u32_e32 v14, vcc, s14, v4
	global_load_dwordx2 v[2:3], v[2:3], off
	v_addc_co_u32_e32 v15, vcc, v15, v5, vcc
	global_load_dwordx2 v[4:5], v[14:15], off
	ds_read_b64 v[16:17], v18
	s_mov_b64 s[40:41], 0
	s_waitcnt vmcnt(1) lgkmcnt(0)
	v_mul_f64 v[16:17], v[16:17], v[2:3]
.LBB20_84:                              ; =>This Inner Loop Header: Depth=1
	s_waitcnt vmcnt(0)
	v_add_f64 v[2:3], v[4:5], v[16:17]
	global_atomic_cmpswap_x2 v[2:3], v[14:15], v[2:5], off glc
	s_waitcnt vmcnt(0)
	v_cmp_eq_u64_e32 vcc, v[2:3], v[4:5]
	s_or_b64 s[40:41], vcc, s[40:41]
	v_pk_mov_b32 v[4:5], v[2:3], v[2:3] op_sel:[0,1]
	s_andn2_b64 exec, exec, s[40:41]
	s_cbranch_execnz .LBB20_84
; %bb.85:
	s_or_b64 exec, exec, s[40:41]
                                        ; implicit-def: $vgpr2_vgpr3
.LBB20_86:
	s_andn2_saveexec_b64 s[0:1], s[0:1]
	s_cbranch_execz .LBB20_88
; %bb.87:
	v_mov_b32_e32 v4, s23
	v_add_co_u32_e32 v2, vcc, s22, v2
	v_addc_co_u32_e32 v3, vcc, v4, v3, vcc
	global_load_dwordx2 v[2:3], v[2:3], off
	ds_read_b64 v[4:5], v18
	v_subrev_u32_e32 v14, s4, v12
	v_mov_b32_e32 v15, 0x2000
	v_lshl_add_u32 v14, v14, 3, v15
	s_waitcnt vmcnt(0) lgkmcnt(0)
	v_mul_f64 v[2:3], v[4:5], v[2:3]
	ds_add_f64 v14, v[2:3]
.LBB20_88:
	s_or_b64 exec, exec, s[38:39]
	v_lshlrev_b64 v[2:3], 3, v[12:13]
	v_mov_b32_e32 v4, s23
	v_add_co_u32_e32 v2, vcc, s22, v2
	v_addc_co_u32_e32 v3, vcc, v4, v3, vcc
	global_load_dwordx2 v[12:13], v[2:3], off
	ds_read_b64 v[14:15], v18
	v_add_co_u32_e32 v2, vcc, 0x100, v6
	v_cndmask_b32_e64 v16, 0, 1, s[2:3]
	v_addc_co_u32_e32 v3, vcc, 0, v7, vcc
	v_pk_mov_b32 v[4:5], s[24:25], s[24:25] op_sel:[0,1]
	v_cmp_ne_u32_e64 s[0:1], 1, v16
	s_andn2_b64 vcc, exec, s[2:3]
	s_waitcnt vmcnt(0) lgkmcnt(0)
	v_mul_f64 v[12:13], v[12:13], v[14:15]
	ds_write_b64 v18, v[12:13]
	v_pk_mov_b32 v[12:13], s[36:37], s[36:37] op_sel:[0,1]
	s_cbranch_vccnz .LBB20_92
; %bb.89:
	s_mov_b64 s[38:39], 0
	v_pk_mov_b32 v[4:5], s[24:25], s[24:25] op_sel:[0,1]
	v_pk_mov_b32 v[12:13], s[36:37], s[36:37] op_sel:[0,1]
	v_mov_b32_e32 v14, s17
	v_mov_b32_e32 v15, s31
.LBB20_90:                              ; =>This Inner Loop Header: Depth=1
	v_add_co_u32_e32 v16, vcc, v12, v4
	v_addc_co_u32_e32 v17, vcc, v13, v5, vcc
	v_lshrrev_b32_e32 v19, 31, v17
	v_add_co_u32_e32 v16, vcc, v16, v19
	v_addc_co_u32_e32 v17, vcc, 0, v17, vcc
	v_ashrrev_i64 v[16:17], 1, v[16:17]
	v_lshlrev_b64 v[20:21], 3, v[16:17]
	v_add_co_u32_e32 v20, vcc, s16, v20
	v_addc_co_u32_e32 v21, vcc, v14, v21, vcc
	global_load_dwordx2 v[20:21], v[20:21], off
	s_waitcnt vmcnt(0)
	v_subrev_co_u32_e32 v20, vcc, s30, v20
	v_subb_co_u32_e32 v21, vcc, v21, v15, vcc
	v_cmp_gt_i64_e32 vcc, v[20:21], v[2:3]
	v_cndmask_b32_e32 v12, v12, v16, vcc
	v_cndmask_b32_e32 v13, v13, v17, vcc
	;; [unrolled: 1-line block ×3, first 2 shown]
	v_add_co_u32_e64 v16, s[2:3], -1, v12
	v_cndmask_b32_e32 v5, v17, v5, vcc
	v_addc_co_u32_e64 v17, s[2:3], -1, v13, s[2:3]
	v_cmp_ge_i64_e32 vcc, v[4:5], v[12:13]
	v_cmp_eq_u64_e64 s[2:3], v[4:5], v[16:17]
	s_or_b64 s[2:3], vcc, s[2:3]
	s_and_b64 s[2:3], exec, s[2:3]
	s_or_b64 s[38:39], s[2:3], s[38:39]
	s_andn2_b64 exec, exec, s[38:39]
	s_cbranch_execnz .LBB20_90
; %bb.91:
	s_or_b64 exec, exec, s[38:39]
.LBB20_92:
	v_lshlrev_b64 v[14:15], 3, v[12:13]
	v_mov_b32_e32 v16, s17
	v_add_co_u32_e32 v14, vcc, s16, v14
	v_addc_co_u32_e32 v15, vcc, v16, v15, vcc
	global_load_dwordx2 v[16:17], v[14:15], off
	global_load_dwordx2 v[20:21], v[10:11], off offset:2048
	v_mov_b32_e32 v19, s31
	s_waitcnt vmcnt(1)
	v_subrev_co_u32_e32 v14, vcc, s30, v16
	v_subb_co_u32_e32 v15, vcc, v17, v19, vcc
	v_cmp_gt_i64_e32 vcc, v[14:15], v[2:3]
	v_cndmask_b32_e32 v5, v13, v5, vcc
	v_cndmask_b32_e32 v4, v12, v4, vcc
	s_waitcnt vmcnt(0)
	v_subrev_co_u32_e32 v12, vcc, s30, v20
	v_subb_co_u32_e32 v13, vcc, v21, v19, vcc
	v_cmp_ne_u64_e32 vcc, v[12:13], v[4:5]
	s_and_saveexec_b64 s[38:39], vcc
	s_cbranch_execz .LBB20_100
; %bb.93:
	s_load_dwordx2 s[2:3], s[18:19], 0x0
	s_waitcnt lgkmcnt(0)
	s_sub_u32 s2, s2, s30
	s_subb_u32 s3, s3, 0
	v_cmp_gt_i64_e32 vcc, s[2:3], v[2:3]
	s_and_b64 exec, exec, vcc
	s_cbranch_execz .LBB20_100
; %bb.94:
	v_cmp_gt_i64_e32 vcc, s[4:5], v[12:13]
	v_cmp_le_i64_e64 s[2:3], s[26:27], v[12:13]
	s_or_b64 s[2:3], vcc, s[2:3]
	v_lshlrev_b64 v[2:3], 3, v[4:5]
	s_and_saveexec_b64 s[40:41], s[2:3]
	s_xor_b64 s[2:3], exec, s[40:41]
	s_cbranch_execz .LBB20_98
; %bb.95:
	v_mov_b32_e32 v14, s23
	v_add_co_u32_e32 v2, vcc, s22, v2
	v_lshlrev_b64 v[4:5], 3, v[12:13]
	v_addc_co_u32_e32 v3, vcc, v14, v3, vcc
	v_mov_b32_e32 v15, s15
	v_add_co_u32_e32 v14, vcc, s14, v4
	global_load_dwordx2 v[2:3], v[2:3], off
	v_addc_co_u32_e32 v15, vcc, v15, v5, vcc
	global_load_dwordx2 v[4:5], v[14:15], off
	ds_read_b64 v[16:17], v18 offset:2048
	s_mov_b64 s[40:41], 0
	s_waitcnt vmcnt(1) lgkmcnt(0)
	v_mul_f64 v[16:17], v[16:17], v[2:3]
.LBB20_96:                              ; =>This Inner Loop Header: Depth=1
	s_waitcnt vmcnt(0)
	v_add_f64 v[2:3], v[4:5], v[16:17]
	global_atomic_cmpswap_x2 v[2:3], v[14:15], v[2:5], off glc
	s_waitcnt vmcnt(0)
	v_cmp_eq_u64_e32 vcc, v[2:3], v[4:5]
	s_or_b64 s[40:41], vcc, s[40:41]
	v_pk_mov_b32 v[4:5], v[2:3], v[2:3] op_sel:[0,1]
	s_andn2_b64 exec, exec, s[40:41]
	s_cbranch_execnz .LBB20_96
; %bb.97:
	s_or_b64 exec, exec, s[40:41]
                                        ; implicit-def: $vgpr2_vgpr3
.LBB20_98:
	s_andn2_saveexec_b64 s[2:3], s[2:3]
	s_cbranch_execz .LBB20_100
; %bb.99:
	v_mov_b32_e32 v4, s23
	v_add_co_u32_e32 v2, vcc, s22, v2
	v_addc_co_u32_e32 v3, vcc, v4, v3, vcc
	global_load_dwordx2 v[2:3], v[2:3], off
	ds_read_b64 v[4:5], v18 offset:2048
	v_subrev_u32_e32 v14, s4, v12
	v_mov_b32_e32 v15, 0x2000
	v_lshl_add_u32 v14, v14, 3, v15
	s_waitcnt vmcnt(0) lgkmcnt(0)
	v_mul_f64 v[2:3], v[4:5], v[2:3]
	ds_add_f64 v14, v[2:3]
.LBB20_100:
	s_or_b64 exec, exec, s[38:39]
	v_lshlrev_b64 v[2:3], 3, v[12:13]
	v_mov_b32_e32 v4, s23
	v_add_co_u32_e32 v2, vcc, s22, v2
	v_addc_co_u32_e32 v3, vcc, v4, v3, vcc
	global_load_dwordx2 v[12:13], v[2:3], off
	ds_read_b64 v[14:15], v18 offset:2048
	v_add_co_u32_e32 v2, vcc, 0x200, v6
	v_addc_co_u32_e32 v3, vcc, 0, v7, vcc
	v_pk_mov_b32 v[4:5], s[24:25], s[24:25] op_sel:[0,1]
	s_and_b64 vcc, exec, s[0:1]
	s_waitcnt vmcnt(0) lgkmcnt(0)
	v_mul_f64 v[6:7], v[12:13], v[14:15]
	ds_write_b64 v18, v[6:7] offset:2048
	v_pk_mov_b32 v[6:7], s[36:37], s[36:37] op_sel:[0,1]
	s_cbranch_vccnz .LBB20_104
; %bb.101:
	s_mov_b64 s[38:39], 0
	v_pk_mov_b32 v[4:5], s[24:25], s[24:25] op_sel:[0,1]
	v_pk_mov_b32 v[6:7], s[36:37], s[36:37] op_sel:[0,1]
	v_mov_b32_e32 v12, s17
	v_mov_b32_e32 v13, s31
.LBB20_102:                             ; =>This Inner Loop Header: Depth=1
	v_add_co_u32_e32 v14, vcc, v6, v4
	v_addc_co_u32_e32 v15, vcc, v7, v5, vcc
	v_lshrrev_b32_e32 v16, 31, v15
	v_add_co_u32_e32 v14, vcc, v14, v16
	v_addc_co_u32_e32 v15, vcc, 0, v15, vcc
	v_ashrrev_i64 v[14:15], 1, v[14:15]
	v_lshlrev_b64 v[16:17], 3, v[14:15]
	v_add_co_u32_e32 v16, vcc, s16, v16
	v_addc_co_u32_e32 v17, vcc, v12, v17, vcc
	global_load_dwordx2 v[16:17], v[16:17], off
	s_waitcnt vmcnt(0)
	v_subrev_co_u32_e32 v16, vcc, s30, v16
	v_subb_co_u32_e32 v17, vcc, v17, v13, vcc
	v_cmp_gt_i64_e32 vcc, v[16:17], v[2:3]
	v_cndmask_b32_e32 v6, v6, v14, vcc
	v_cndmask_b32_e32 v7, v7, v15, vcc
	;; [unrolled: 1-line block ×3, first 2 shown]
	v_add_co_u32_e64 v14, s[2:3], -1, v6
	v_cndmask_b32_e32 v5, v15, v5, vcc
	v_addc_co_u32_e64 v15, s[2:3], -1, v7, s[2:3]
	v_cmp_ge_i64_e32 vcc, v[4:5], v[6:7]
	v_cmp_eq_u64_e64 s[2:3], v[4:5], v[14:15]
	s_or_b64 s[2:3], vcc, s[2:3]
	s_and_b64 s[2:3], exec, s[2:3]
	s_or_b64 s[38:39], s[2:3], s[38:39]
	s_andn2_b64 exec, exec, s[38:39]
	s_cbranch_execnz .LBB20_102
; %bb.103:
	s_or_b64 exec, exec, s[38:39]
.LBB20_104:
	v_lshlrev_b64 v[12:13], 3, v[6:7]
	v_mov_b32_e32 v14, s17
	v_add_co_u32_e32 v12, vcc, s16, v12
	v_addc_co_u32_e32 v13, vcc, v14, v13, vcc
	global_load_dwordx2 v[12:13], v[12:13], off
	v_add_co_u32_e32 v14, vcc, 0x1000, v10
	v_addc_co_u32_e32 v15, vcc, 0, v11, vcc
	global_load_dwordx2 v[14:15], v[14:15], off
	v_mov_b32_e32 v16, s31
	s_waitcnt vmcnt(1)
	v_subrev_co_u32_e32 v12, vcc, s30, v12
	v_subb_co_u32_e32 v13, vcc, v13, v16, vcc
	v_cmp_gt_i64_e32 vcc, v[12:13], v[2:3]
	v_cndmask_b32_e32 v5, v7, v5, vcc
	v_cndmask_b32_e32 v4, v6, v4, vcc
	s_waitcnt vmcnt(0)
	v_subrev_co_u32_e32 v6, vcc, s30, v14
	v_subb_co_u32_e32 v7, vcc, v15, v16, vcc
	v_cmp_ne_u64_e32 vcc, v[6:7], v[4:5]
	s_and_saveexec_b64 s[38:39], vcc
	s_cbranch_execz .LBB20_112
; %bb.105:
	s_load_dwordx2 s[2:3], s[18:19], 0x0
	s_waitcnt lgkmcnt(0)
	s_sub_u32 s2, s2, s30
	s_subb_u32 s3, s3, 0
	v_cmp_gt_i64_e32 vcc, s[2:3], v[2:3]
	s_and_b64 exec, exec, vcc
	s_cbranch_execz .LBB20_112
; %bb.106:
	v_cmp_gt_i64_e32 vcc, s[4:5], v[6:7]
	v_cmp_le_i64_e64 s[2:3], s[26:27], v[6:7]
	s_or_b64 s[2:3], vcc, s[2:3]
	v_lshlrev_b64 v[2:3], 3, v[4:5]
	s_and_saveexec_b64 s[40:41], s[2:3]
	s_xor_b64 s[2:3], exec, s[40:41]
	s_cbranch_execz .LBB20_110
; %bb.107:
	v_mov_b32_e32 v12, s23
	v_add_co_u32_e32 v2, vcc, s22, v2
	v_lshlrev_b64 v[4:5], 3, v[6:7]
	v_addc_co_u32_e32 v3, vcc, v12, v3, vcc
	v_mov_b32_e32 v13, s15
	v_add_co_u32_e32 v12, vcc, s14, v4
	global_load_dwordx2 v[2:3], v[2:3], off
	v_addc_co_u32_e32 v13, vcc, v13, v5, vcc
	global_load_dwordx2 v[4:5], v[12:13], off
	ds_read_b64 v[14:15], v18 offset:4096
	s_mov_b64 s[40:41], 0
	s_waitcnt vmcnt(1) lgkmcnt(0)
	v_mul_f64 v[14:15], v[14:15], v[2:3]
.LBB20_108:                             ; =>This Inner Loop Header: Depth=1
	s_waitcnt vmcnt(0)
	v_add_f64 v[2:3], v[4:5], v[14:15]
	global_atomic_cmpswap_x2 v[2:3], v[12:13], v[2:5], off glc
	s_waitcnt vmcnt(0)
	v_cmp_eq_u64_e32 vcc, v[2:3], v[4:5]
	s_or_b64 s[40:41], vcc, s[40:41]
	v_pk_mov_b32 v[4:5], v[2:3], v[2:3] op_sel:[0,1]
	s_andn2_b64 exec, exec, s[40:41]
	s_cbranch_execnz .LBB20_108
; %bb.109:
	s_or_b64 exec, exec, s[40:41]
                                        ; implicit-def: $vgpr2_vgpr3
.LBB20_110:
	s_andn2_saveexec_b64 s[2:3], s[2:3]
	s_cbranch_execz .LBB20_112
; %bb.111:
	v_mov_b32_e32 v4, s23
	v_add_co_u32_e32 v2, vcc, s22, v2
	v_addc_co_u32_e32 v3, vcc, v4, v3, vcc
	global_load_dwordx2 v[2:3], v[2:3], off
	ds_read_b64 v[4:5], v18 offset:4096
	v_subrev_u32_e32 v12, s4, v6
	v_mov_b32_e32 v13, 0x2000
	v_lshl_add_u32 v12, v12, 3, v13
	s_waitcnt vmcnt(0) lgkmcnt(0)
	v_mul_f64 v[2:3], v[4:5], v[2:3]
	ds_add_f64 v12, v[2:3]
.LBB20_112:
	s_or_b64 exec, exec, s[38:39]
	v_lshlrev_b64 v[2:3], 3, v[6:7]
	v_mov_b32_e32 v4, s23
	v_add_co_u32_e32 v2, vcc, s22, v2
	v_addc_co_u32_e32 v3, vcc, v4, v3, vcc
	global_load_dwordx2 v[4:5], v[2:3], off
	ds_read_b64 v[6:7], v18 offset:4096
	s_and_b64 vcc, exec, s[0:1]
	v_pk_mov_b32 v[2:3], s[24:25], s[24:25] op_sel:[0,1]
	s_waitcnt vmcnt(0) lgkmcnt(0)
	v_mul_f64 v[4:5], v[4:5], v[6:7]
	ds_write_b64 v18, v[4:5] offset:4096
	v_pk_mov_b32 v[4:5], s[36:37], s[36:37] op_sel:[0,1]
	s_cbranch_vccnz .LBB20_116
; %bb.113:
	s_mov_b64 s[2:3], 0
	v_pk_mov_b32 v[2:3], s[24:25], s[24:25] op_sel:[0,1]
	v_pk_mov_b32 v[4:5], s[36:37], s[36:37] op_sel:[0,1]
	v_mov_b32_e32 v6, s17
	v_mov_b32_e32 v7, s31
.LBB20_114:                             ; =>This Inner Loop Header: Depth=1
	v_add_co_u32_e32 v12, vcc, v4, v2
	v_addc_co_u32_e32 v13, vcc, v5, v3, vcc
	v_lshrrev_b32_e32 v14, 31, v13
	v_add_co_u32_e32 v12, vcc, v12, v14
	v_addc_co_u32_e32 v13, vcc, 0, v13, vcc
	v_ashrrev_i64 v[12:13], 1, v[12:13]
	v_lshlrev_b64 v[14:15], 3, v[12:13]
	v_add_co_u32_e32 v14, vcc, s16, v14
	v_addc_co_u32_e32 v15, vcc, v6, v15, vcc
	global_load_dwordx2 v[14:15], v[14:15], off
	s_waitcnt vmcnt(0)
	v_subrev_co_u32_e32 v14, vcc, s30, v14
	v_subb_co_u32_e32 v15, vcc, v15, v7, vcc
	v_cmp_gt_i64_e32 vcc, v[14:15], v[8:9]
	v_cndmask_b32_e32 v4, v4, v12, vcc
	v_cndmask_b32_e32 v5, v5, v13, vcc
	;; [unrolled: 1-line block ×3, first 2 shown]
	v_add_co_u32_e64 v12, s[0:1], -1, v4
	v_cndmask_b32_e32 v3, v13, v3, vcc
	v_addc_co_u32_e64 v13, s[0:1], -1, v5, s[0:1]
	v_cmp_ge_i64_e32 vcc, v[2:3], v[4:5]
	v_cmp_eq_u64_e64 s[0:1], v[2:3], v[12:13]
	s_or_b64 s[0:1], vcc, s[0:1]
	s_and_b64 s[0:1], exec, s[0:1]
	s_or_b64 s[2:3], s[0:1], s[2:3]
	s_andn2_b64 exec, exec, s[2:3]
	s_cbranch_execnz .LBB20_114
; %bb.115:
	s_or_b64 exec, exec, s[2:3]
.LBB20_116:
	v_lshlrev_b64 v[6:7], 3, v[4:5]
	v_mov_b32_e32 v12, s17
	v_add_co_u32_e32 v6, vcc, s16, v6
	v_addc_co_u32_e32 v7, vcc, v12, v7, vcc
	global_load_dwordx2 v[6:7], v[6:7], off
	v_add_co_u32_e32 v10, vcc, 0x1000, v10
	v_addc_co_u32_e32 v11, vcc, 0, v11, vcc
	global_load_dwordx2 v[10:11], v[10:11], off offset:2048
	v_mov_b32_e32 v12, s31
	s_waitcnt vmcnt(1)
	v_subrev_co_u32_e32 v6, vcc, s30, v6
	v_subb_co_u32_e32 v7, vcc, v7, v12, vcc
	v_cmp_gt_i64_e32 vcc, v[6:7], v[8:9]
	v_cndmask_b32_e32 v3, v5, v3, vcc
	v_cndmask_b32_e32 v2, v4, v2, vcc
	s_waitcnt vmcnt(0)
	v_subrev_co_u32_e32 v6, vcc, s30, v10
	v_subb_co_u32_e32 v7, vcc, v11, v12, vcc
	v_cmp_ne_u64_e32 vcc, v[6:7], v[2:3]
	s_and_saveexec_b64 s[2:3], vcc
	s_cbranch_execz .LBB20_124
; %bb.117:
	s_load_dwordx2 s[0:1], s[18:19], 0x0
	s_waitcnt lgkmcnt(0)
	s_sub_u32 s0, s0, s30
	s_subb_u32 s1, s1, 0
	v_cmp_gt_i64_e32 vcc, s[0:1], v[8:9]
	s_and_b64 exec, exec, vcc
	s_cbranch_execz .LBB20_124
; %bb.118:
	v_cmp_gt_i64_e32 vcc, s[4:5], v[6:7]
	v_cmp_le_i64_e64 s[0:1], s[26:27], v[6:7]
	s_or_b64 s[0:1], vcc, s[0:1]
	v_lshlrev_b64 v[2:3], 3, v[2:3]
	s_and_saveexec_b64 s[18:19], s[0:1]
	s_xor_b64 s[0:1], exec, s[18:19]
	s_cbranch_execz .LBB20_122
; %bb.119:
	v_mov_b32_e32 v8, s23
	v_add_co_u32_e32 v2, vcc, s22, v2
	v_lshlrev_b64 v[4:5], 3, v[6:7]
	v_addc_co_u32_e32 v3, vcc, v8, v3, vcc
	v_mov_b32_e32 v9, s15
	v_add_co_u32_e32 v8, vcc, s14, v4
	global_load_dwordx2 v[2:3], v[2:3], off
	v_addc_co_u32_e32 v9, vcc, v9, v5, vcc
	global_load_dwordx2 v[4:5], v[8:9], off
	ds_read_b64 v[10:11], v18 offset:6144
	s_mov_b64 s[18:19], 0
	s_waitcnt vmcnt(1) lgkmcnt(0)
	v_mul_f64 v[10:11], v[10:11], v[2:3]
.LBB20_120:                             ; =>This Inner Loop Header: Depth=1
	s_waitcnt vmcnt(0)
	v_add_f64 v[2:3], v[4:5], v[10:11]
	global_atomic_cmpswap_x2 v[2:3], v[8:9], v[2:5], off glc
	s_waitcnt vmcnt(0)
	v_cmp_eq_u64_e32 vcc, v[2:3], v[4:5]
	s_or_b64 s[18:19], vcc, s[18:19]
	v_pk_mov_b32 v[4:5], v[2:3], v[2:3] op_sel:[0,1]
	s_andn2_b64 exec, exec, s[18:19]
	s_cbranch_execnz .LBB20_120
; %bb.121:
	s_or_b64 exec, exec, s[18:19]
                                        ; implicit-def: $vgpr2_vgpr3
.LBB20_122:
	s_andn2_saveexec_b64 s[0:1], s[0:1]
	s_cbranch_execz .LBB20_124
; %bb.123:
	v_mov_b32_e32 v4, s23
	v_add_co_u32_e32 v2, vcc, s22, v2
	v_addc_co_u32_e32 v3, vcc, v4, v3, vcc
	global_load_dwordx2 v[2:3], v[2:3], off
	ds_read_b64 v[4:5], v18 offset:6144
	v_subrev_u32_e32 v8, s4, v6
	v_mov_b32_e32 v9, 0x2000
	v_lshl_add_u32 v8, v8, 3, v9
	s_waitcnt vmcnt(0) lgkmcnt(0)
	v_mul_f64 v[2:3], v[4:5], v[2:3]
	ds_add_f64 v8, v[2:3]
.LBB20_124:
	s_or_b64 exec, exec, s[2:3]
	v_lshlrev_b64 v[2:3], 3, v[6:7]
	v_mov_b32_e32 v4, s23
	v_add_co_u32_e32 v2, vcc, s22, v2
	v_addc_co_u32_e32 v3, vcc, v4, v3, vcc
	global_load_dwordx2 v[2:3], v[2:3], off
	ds_read_b64 v[4:5], v18 offset:6144
	s_waitcnt vmcnt(0) lgkmcnt(0)
	v_mul_f64 v[2:3], v[2:3], v[4:5]
	ds_write_b64 v18, v[2:3] offset:6144
.LBB20_125:
	s_or_b64 exec, exec, s[20:21]
	v_pk_mov_b32 v[2:3], s[6:7], s[6:7] op_sel:[0,1]
	v_cmp_lt_i64_e32 vcc, s[26:27], v[2:3]
	s_and_b64 s[0:1], vcc, exec
	s_cselect_b32 s18, s26, s6
	s_cselect_b32 s0, s27, s7
	s_sub_u32 s2, s18, s28
	s_subb_u32 s3, s0, s29
	v_cmp_gt_i64_e32 vcc, s[2:3], v[0:1]
	s_waitcnt lgkmcnt(0)
	s_barrier
	s_and_saveexec_b64 s[0:1], vcc
	s_cbranch_execz .LBB20_130
; %bb.126:
	s_lshl_b64 s[4:5], s[4:5], 3
	s_add_u32 s19, s14, s4
	s_addc_u32 s6, s15, s5
	s_mov_b64 s[4:5], 0
	v_mov_b32_e32 v12, s6
	v_mov_b32_e32 v13, 0x2000
	v_pk_mov_b32 v[6:7], v[0:1], v[0:1] op_sel:[0,1]
.LBB20_127:                             ; =>This Loop Header: Depth=1
                                        ;     Child Loop BB20_128 Depth 2
	v_lshlrev_b64 v[2:3], 3, v[6:7]
	v_add_co_u32_e32 v8, vcc, s19, v2
	v_addc_co_u32_e32 v9, vcc, v12, v3, vcc
	global_load_dwordx2 v[4:5], v[8:9], off
	v_lshl_add_u32 v2, v6, 3, v13
	ds_read_b64 v[10:11], v2
	s_mov_b64 s[6:7], 0
.LBB20_128:                             ;   Parent Loop BB20_127 Depth=1
                                        ; =>  This Inner Loop Header: Depth=2
	s_waitcnt vmcnt(0) lgkmcnt(0)
	v_add_f64 v[2:3], v[4:5], v[10:11]
	global_atomic_cmpswap_x2 v[2:3], v[8:9], v[2:5], off glc
	s_waitcnt vmcnt(0)
	v_cmp_eq_u64_e32 vcc, v[2:3], v[4:5]
	s_or_b64 s[6:7], vcc, s[6:7]
	v_pk_mov_b32 v[4:5], v[2:3], v[2:3] op_sel:[0,1]
	s_andn2_b64 exec, exec, s[6:7]
	s_cbranch_execnz .LBB20_128
; %bb.129:                              ;   in Loop: Header=BB20_127 Depth=1
	s_or_b64 exec, exec, s[6:7]
	v_add_co_u32_e32 v6, vcc, 0x100, v6
	v_addc_co_u32_e32 v7, vcc, 0, v7, vcc
	v_cmp_le_i64_e32 vcc, s[2:3], v[6:7]
	s_or_b64 s[4:5], vcc, s[4:5]
	s_andn2_b64 exec, exec, s[4:5]
	s_cbranch_execnz .LBB20_127
.LBB20_130:
	s_or_b64 exec, exec, s[0:1]
	s_add_i32 s0, s34, -1
	s_ashr_i32 s1, s0, 1
	s_or_b32 s0, s1, s0
	s_ashr_i32 s1, s0, 2
	s_or_b32 s0, s1, s0
	;; [unrolled: 2-line block ×5, first 2 shown]
	s_add_i32 s3, s3, 1
	s_ashr_i32 s20, s3, 1
	v_mov_b32_e32 v2, s25
	v_add_co_u32_e32 v6, vcc, s24, v0
	v_addc_co_u32_e32 v7, vcc, 0, v2, vcc
	s_cmp_gt_i32 s20, 1
	s_mov_b64 s[0:1], -1
	s_barrier
	s_cbranch_scc1 .LBB20_141
; %bb.131:
	v_cmp_gt_i64_e32 vcc, s[26:27], v[6:7]
	s_and_saveexec_b64 s[0:1], vcc
	s_cbranch_execz .LBB20_140
; %bb.132:
	s_sub_i32 s4, s18, s26
	s_lshl_b32 s4, s4, 3
	s_add_i32 s21, s4, 0x2000
	s_lshl_b32 s4, s8, 3
	s_sub_i32 s22, 0, s4
	s_mov_b64 s[4:5], 0
	v_mov_b32_e32 v16, s17
	v_mov_b32_e32 v17, s15
	v_mov_b32_e32 v19, s13
	v_pk_mov_b32 v[8:9], v[6:7], v[6:7] op_sel:[0,1]
.LBB20_133:                             ; =>This Loop Header: Depth=1
                                        ;     Child Loop BB20_135 Depth 2
                                        ;     Child Loop BB20_138 Depth 2
	v_lshlrev_b64 v[10:11], 3, v[8:9]
	v_add_co_u32_e32 v2, vcc, s16, v10
	v_addc_co_u32_e32 v3, vcc, v16, v11, vcc
	global_load_dwordx4 v[2:5], v[2:3], off
	v_pk_mov_b32 v[12:13], 0, 0
	s_waitcnt vmcnt(0)
	v_cmp_lt_i64_e32 vcc, v[2:3], v[4:5]
	s_and_saveexec_b64 s[6:7], vcc
	s_cbranch_execz .LBB20_137
; %bb.134:                              ;   in Loop: Header=BB20_133 Depth=1
	v_mov_b32_e32 v12, s9
	v_subrev_co_u32_e32 v4, vcc, s8, v4
	v_subb_co_u32_e32 v5, vcc, v5, v12, vcc
	v_subrev_co_u32_e32 v14, vcc, s8, v2
	v_subb_co_u32_e32 v15, vcc, v3, v12, vcc
	v_lshl_add_u32 v2, v2, 3, s22
	s_mov_b64 s[18:19], 0
	v_pk_mov_b32 v[12:13], 0, 0
.LBB20_135:                             ;   Parent Loop BB20_133 Depth=1
                                        ; =>  This Inner Loop Header: Depth=2
	ds_read_b64 v[20:21], v2
	v_add_co_u32_e32 v14, vcc, 1, v14
	v_addc_co_u32_e32 v15, vcc, 0, v15, vcc
	v_cmp_ge_i64_e32 vcc, v[14:15], v[4:5]
	v_add_u32_e32 v2, 8, v2
	s_or_b64 s[18:19], vcc, s[18:19]
	s_waitcnt lgkmcnt(0)
	v_add_f64 v[12:13], v[12:13], v[20:21]
	s_andn2_b64 exec, exec, s[18:19]
	s_cbranch_execnz .LBB20_135
; %bb.136:                              ;   in Loop: Header=BB20_133 Depth=1
	s_or_b64 exec, exec, s[18:19]
.LBB20_137:                             ;   in Loop: Header=BB20_133 Depth=1
	s_or_b64 exec, exec, s[6:7]
	v_add_co_u32_e32 v10, vcc, s14, v10
	v_addc_co_u32_e32 v11, vcc, v17, v11, vcc
	global_load_dwordx2 v[4:5], v[10:11], off
	v_lshl_add_u32 v2, v8, 3, s21
	ds_read_b64 v[2:3], v2
	s_mov_b64 s[6:7], 0
	s_waitcnt lgkmcnt(0)
	v_add_f64 v[12:13], v[12:13], v[2:3]
.LBB20_138:                             ;   Parent Loop BB20_133 Depth=1
                                        ; =>  This Inner Loop Header: Depth=2
	s_waitcnt vmcnt(0)
	v_add_f64 v[2:3], v[4:5], v[12:13]
	global_atomic_cmpswap_x2 v[2:3], v[10:11], v[2:5], off glc
	s_waitcnt vmcnt(0)
	v_cmp_eq_u64_e32 vcc, v[2:3], v[4:5]
	s_or_b64 s[6:7], vcc, s[6:7]
	v_pk_mov_b32 v[4:5], v[2:3], v[2:3] op_sel:[0,1]
	s_andn2_b64 exec, exec, s[6:7]
	s_cbranch_execnz .LBB20_138
; %bb.139:                              ;   in Loop: Header=BB20_133 Depth=1
	s_or_b64 exec, exec, s[6:7]
	v_add_co_u32_e32 v8, vcc, s12, v8
	v_addc_co_u32_e32 v9, vcc, v9, v19, vcc
	v_cmp_le_i64_e32 vcc, s[26:27], v[8:9]
	s_or_b64 s[4:5], vcc, s[4:5]
	s_andn2_b64 exec, exec, s[4:5]
	s_cbranch_execnz .LBB20_133
.LBB20_140:
	s_or_b64 exec, exec, s[0:1]
	s_mov_b64 s[0:1], 0
.LBB20_141:
	s_andn2_b64 vcc, exec, s[0:1]
	s_cbranch_vccnz .LBB20_170
; %bb.142:
	v_cvt_f32_u32_e32 v14, s20
	s_sub_i32 s6, 0, s20
	v_mov_b32_e32 v11, 0
	v_mov_b32_e32 v4, s11
	v_rcp_iflag_f32_e32 v2, v14
	v_mov_b32_e32 v12, s9
	v_mul_f32_e32 v2, 0x4f7ffffe, v2
	v_cvt_u32_f32_e32 v2, v2
	v_mul_lo_u32 v3, s6, v2
	v_mul_hi_u32 v3, v2, v3
	v_add_u32_e32 v2, v2, v3
	v_mul_hi_u32 v2, v0, v2
	v_mul_lo_u32 v3, v2, s20
	v_sub_u32_e32 v3, v0, v3
	v_add_u32_e32 v5, 1, v2
	v_cmp_le_u32_e32 vcc, s20, v3
	v_cndmask_b32_e32 v2, v2, v5, vcc
	v_subrev_u32_e32 v5, s20, v3
	v_cndmask_b32_e32 v3, v3, v5, vcc
	v_add_u32_e32 v5, 1, v2
	v_cmp_le_u32_e32 vcc, s20, v3
	v_cndmask_b32_e32 v10, v2, v5, vcc
	v_lshlrev_b64 v[2:3], 3, v[10:11]
	v_add_co_u32_e32 v2, vcc, s10, v2
	v_addc_co_u32_e32 v3, vcc, v4, v3, vcc
	global_load_dwordx4 v[2:5], v[2:3], off
	s_waitcnt vmcnt(0)
	v_subrev_co_u32_e32 v8, vcc, s8, v2
	v_subb_co_u32_e32 v9, vcc, v3, v12, vcc
	v_subrev_co_u32_e32 v19, vcc, s8, v4
	v_subb_co_u32_e32 v20, vcc, v5, v12, vcc
	v_sub_co_u32_e32 v3, vcc, v19, v8
	v_subb_co_u32_e32 v13, vcc, v20, v9, vcc
	v_mov_b32_e32 v12, v11
	v_cmp_ne_u64_e32 vcc, 0, v[12:13]
                                        ; implicit-def: $vgpr4_vgpr5
	s_and_saveexec_b64 s[0:1], vcc
	s_xor_b64 s[4:5], exec, s[0:1]
	s_cbranch_execz .LBB20_144
; %bb.143:
	v_cvt_f32_ubyte0_e32 v4, 0
	v_madmk_f32 v4, v4, 0x4f800000, v14
	v_rcp_f32_e32 v4, v4
	s_sub_u32 s0, 0, s20
	s_subb_u32 s1, 0, 0
	v_mul_f32_e32 v4, 0x5f7ffffc, v4
	v_mul_f32_e32 v5, 0x2f800000, v4
	v_trunc_f32_e32 v5, v5
	v_madmk_f32 v4, v5, 0xcf800000, v4
	v_cvt_u32_f32_e32 v5, v5
	v_cvt_u32_f32_e32 v4, v4
	v_mul_lo_u32 v12, s0, v5
	v_mul_hi_u32 v15, s0, v4
	v_mul_lo_u32 v14, s1, v4
	v_add_u32_e32 v12, v15, v12
	v_add_u32_e32 v12, v12, v14
	v_mul_lo_u32 v16, s0, v4
	v_mul_lo_u32 v15, v4, v12
	v_mul_hi_u32 v17, v4, v16
	v_mul_hi_u32 v14, v4, v12
	v_add_co_u32_e32 v15, vcc, v17, v15
	v_addc_co_u32_e32 v14, vcc, 0, v14, vcc
	v_mul_hi_u32 v21, v5, v16
	v_mul_lo_u32 v16, v5, v16
	v_add_co_u32_e32 v15, vcc, v15, v16
	v_mul_hi_u32 v17, v5, v12
	v_addc_co_u32_e32 v14, vcc, v14, v21, vcc
	v_addc_co_u32_e32 v15, vcc, 0, v17, vcc
	v_mul_lo_u32 v12, v5, v12
	v_add_co_u32_e32 v12, vcc, v14, v12
	v_addc_co_u32_e32 v14, vcc, 0, v15, vcc
	v_add_co_u32_e32 v4, vcc, v4, v12
	v_addc_co_u32_e32 v5, vcc, v5, v14, vcc
	v_mul_lo_u32 v12, s0, v5
	v_mul_hi_u32 v14, s0, v4
	v_add_u32_e32 v12, v14, v12
	v_mul_lo_u32 v14, s1, v4
	v_add_u32_e32 v12, v12, v14
	v_mul_lo_u32 v15, s0, v4
	v_mul_hi_u32 v16, v5, v15
	v_mul_lo_u32 v17, v5, v15
	v_mul_lo_u32 v22, v4, v12
	v_mul_hi_u32 v15, v4, v15
	v_mul_hi_u32 v21, v4, v12
	v_add_co_u32_e32 v15, vcc, v15, v22
	v_addc_co_u32_e32 v21, vcc, 0, v21, vcc
	v_add_co_u32_e32 v15, vcc, v15, v17
	v_mul_hi_u32 v14, v5, v12
	v_addc_co_u32_e32 v15, vcc, v21, v16, vcc
	v_addc_co_u32_e32 v14, vcc, 0, v14, vcc
	v_mul_lo_u32 v12, v5, v12
	v_add_co_u32_e32 v12, vcc, v15, v12
	v_addc_co_u32_e32 v14, vcc, 0, v14, vcc
	v_add_co_u32_e32 v12, vcc, v4, v12
	v_addc_co_u32_e32 v14, vcc, v5, v14, vcc
	v_ashrrev_i32_e32 v15, 31, v13
	v_add_co_u32_e32 v3, vcc, v3, v15
	v_addc_co_u32_e32 v4, vcc, v13, v15, vcc
	v_xor_b32_e32 v3, v3, v15
	v_xor_b32_e32 v16, v4, v15
	v_mad_u64_u32 v[4:5], s[0:1], v3, v14, 0
	v_mul_hi_u32 v13, v3, v12
	v_add_co_u32_e32 v17, vcc, v13, v4
	v_addc_co_u32_e32 v21, vcc, 0, v5, vcc
	v_mad_u64_u32 v[12:13], s[0:1], v16, v12, 0
	v_add_co_u32_e32 v12, vcc, v17, v12
	v_mad_u64_u32 v[4:5], s[0:1], v16, v14, 0
	v_addc_co_u32_e32 v12, vcc, v21, v13, vcc
	v_addc_co_u32_e32 v5, vcc, 0, v5, vcc
	v_add_co_u32_e32 v14, vcc, v12, v4
	v_addc_co_u32_e32 v17, vcc, 0, v5, vcc
	v_mad_u64_u32 v[4:5], s[0:1], s20, v14, 0
	v_mov_b32_e32 v12, v5
	v_mad_u64_u32 v[12:13], s[0:1], s20, v17, v[12:13]
	v_sub_co_u32_e32 v3, vcc, v3, v4
	v_subb_co_u32_e32 v4, vcc, v16, v12, vcc
	v_subrev_co_u32_e32 v5, vcc, s20, v3
	v_subbrev_co_u32_e32 v12, vcc, 0, v4, vcc
	v_cmp_le_u32_e32 vcc, s20, v5
	v_cndmask_b32_e64 v5, 0, -1, vcc
	v_cmp_eq_u32_e32 vcc, 0, v12
	v_cndmask_b32_e32 v5, -1, v5, vcc
	v_add_co_u32_e32 v12, vcc, 2, v14
	v_addc_co_u32_e32 v13, vcc, 0, v17, vcc
	v_add_co_u32_e32 v16, vcc, 1, v14
	v_cmp_le_u32_e64 s[0:1], s20, v3
	v_addc_co_u32_e32 v21, vcc, 0, v17, vcc
	v_cndmask_b32_e64 v3, 0, -1, s[0:1]
	v_cmp_eq_u32_e64 s[0:1], 0, v4
	v_cmp_ne_u32_e32 vcc, 0, v5
	v_cndmask_b32_e64 v3, -1, v3, s[0:1]
	v_cmp_ne_u32_e64 s[0:1], 0, v3
	v_cndmask_b32_e32 v4, v16, v12, vcc
	v_cndmask_b32_e32 v5, v21, v13, vcc
	v_cndmask_b32_e64 v4, v14, v4, s[0:1]
	v_cndmask_b32_e64 v3, v17, v5, s[0:1]
	v_xor_b32_e32 v4, v4, v15
	v_xor_b32_e32 v3, v3, v15
	v_sub_co_u32_e32 v4, vcc, v4, v15
	v_subb_co_u32_e32 v5, vcc, v3, v15, vcc
                                        ; implicit-def: $vgpr3
.LBB20_144:
	s_andn2_saveexec_b64 s[0:1], s[4:5]
	s_cbranch_execz .LBB20_146
; %bb.145:
	v_cvt_f32_u32_e32 v4, s20
	v_rcp_iflag_f32_e32 v4, v4
	v_mul_f32_e32 v4, 0x4f7ffffe, v4
	v_cvt_u32_f32_e32 v4, v4
	v_mul_lo_u32 v5, s6, v4
	v_mul_hi_u32 v5, v4, v5
	v_add_u32_e32 v4, v4, v5
	v_mul_hi_u32 v4, v3, v4
	v_mul_lo_u32 v5, v4, s20
	v_sub_u32_e32 v3, v3, v5
	v_add_u32_e32 v12, 1, v4
	v_subrev_u32_e32 v5, s20, v3
	v_cmp_le_u32_e32 vcc, s20, v3
	v_cndmask_b32_e32 v3, v3, v5, vcc
	v_cndmask_b32_e32 v4, v4, v12, vcc
	v_add_u32_e32 v5, 1, v4
	v_cmp_le_u32_e32 vcc, s20, v3
	v_cndmask_b32_e32 v4, v4, v5, vcc
	v_mov_b32_e32 v5, 0
.LBB20_146:
	s_or_b64 exec, exec, s[0:1]
	v_cmp_gt_i64_e32 vcc, s[28:29], v[10:11]
	v_pk_mov_b32 v[12:13], 0, 0
	s_and_saveexec_b64 s[0:1], vcc
	s_cbranch_execz .LBB20_160
; %bb.147:
	s_add_i32 s4, s20, -1
	v_and_b32_e32 v10, s4, v0
	v_cmp_lt_i64_e32 vcc, 0, v[4:5]
	v_pk_mov_b32 v[12:13], 0, 0
	s_and_saveexec_b64 s[4:5], vcc
	s_cbranch_execz .LBB20_157
; %bb.148:
	v_cmp_lt_u64_e32 vcc, 3, v[4:5]
	v_pk_mov_b32 v[14:15], 0, 0
	v_pk_mov_b32 v[12:13], 0, 0
	s_and_saveexec_b64 s[6:7], vcc
	s_cbranch_execz .LBB20_152
; %bb.149:
	s_lshl_b32 s10, s8, 3
	s_lshl_b32 s11, s20, 4
	;; [unrolled: 1-line block ×3, first 2 shown]
	v_lshlrev_b32_e32 v3, 3, v2
	s_sub_i32 s17, s11, s10
	s_mul_i32 s11, s20, 24
	v_and_b32_e32 v15, 0x7fffffff, v5
	v_and_b32_e32 v14, -4, v4
	s_sub_i32 s9, s9, s10
	v_lshl_add_u32 v3, v10, 3, v3
	s_lshl_b32 s16, s20, 5
	s_sub_i32 s18, s11, s10
	s_sub_i32 s19, 0, s10
	s_mov_b64 s[10:11], 0
	v_pk_mov_b32 v[12:13], 0, 0
	s_mov_b64 s[12:13], 0
.LBB20_150:                             ; =>This Inner Loop Header: Depth=1
	v_add_u32_e32 v11, s19, v3
	v_add_u32_e32 v24, s17, v3
	v_add_u32_e32 v26, s18, v3
	v_add_u32_e32 v21, s9, v3
	ds_read_b64 v[16:17], v11
	ds_read_b64 v[22:23], v21
	;; [unrolled: 1-line block ×4, first 2 shown]
	s_add_u32 s12, s12, 4
	s_waitcnt lgkmcnt(3)
	v_add_f64 v[12:13], v[12:13], v[16:17]
	s_addc_u32 s13, s13, 0
	s_waitcnt lgkmcnt(2)
	v_add_f64 v[12:13], v[12:13], v[22:23]
	v_cmp_eq_u64_e32 vcc, s[12:13], v[14:15]
	s_waitcnt lgkmcnt(1)
	v_add_f64 v[12:13], v[12:13], v[24:25]
	v_add_u32_e32 v3, s16, v3
	s_or_b64 s[10:11], vcc, s[10:11]
	s_waitcnt lgkmcnt(0)
	v_add_f64 v[12:13], v[12:13], v[26:27]
	s_andn2_b64 exec, exec, s[10:11]
	s_cbranch_execnz .LBB20_150
; %bb.151:
	s_or_b64 exec, exec, s[10:11]
.LBB20_152:
	s_or_b64 exec, exec, s[6:7]
	v_and_b32_e32 v16, 3, v4
	v_mov_b32_e32 v17, 0
	s_mov_b64 s[10:11], 0
	v_cmp_ne_u64_e32 vcc, 0, v[16:17]
	s_and_saveexec_b64 s[6:7], vcc
	s_cbranch_execz .LBB20_156
; %bb.153:
	v_mul_lo_u32 v3, s20, v14
	v_add3_u32 v2, v10, v3, v2
	v_subrev_u32_e32 v2, s8, v2
	v_lshlrev_b32_e32 v2, 3, v2
	s_lshl_b32 s8, s20, 3
.LBB20_154:                             ; =>This Inner Loop Header: Depth=1
	ds_read_b64 v[14:15], v2
	v_add_co_u32_e32 v16, vcc, -1, v16
	v_addc_co_u32_e32 v17, vcc, -1, v17, vcc
	v_cmp_eq_u64_e32 vcc, 0, v[16:17]
	v_add_u32_e32 v2, s8, v2
	s_or_b64 s[10:11], vcc, s[10:11]
	s_waitcnt lgkmcnt(0)
	v_add_f64 v[12:13], v[12:13], v[14:15]
	s_andn2_b64 exec, exec, s[10:11]
	s_cbranch_execnz .LBB20_154
; %bb.155:
	s_or_b64 exec, exec, s[10:11]
.LBB20_156:
	s_or_b64 exec, exec, s[6:7]
.LBB20_157:
	s_or_b64 exec, exec, s[4:5]
	v_mad_u64_u32 v[2:3], s[4:5], v4, s20, v[8:9]
	v_mov_b32_e32 v4, v3
	v_mad_u64_u32 v[4:5], s[4:5], v5, s20, v[4:5]
	v_mov_b32_e32 v3, v4
	v_sub_co_u32_e32 v4, vcc, v19, v2
	v_mov_b32_e32 v11, 0
	v_subb_co_u32_e32 v5, vcc, v20, v3, vcc
	v_cmp_gt_i64_e32 vcc, v[4:5], v[10:11]
	s_and_saveexec_b64 s[4:5], vcc
	s_cbranch_execz .LBB20_159
; %bb.158:
	v_add_lshl_u32 v2, v10, v2, 3
	ds_read_b64 v[2:3], v2
	s_waitcnt lgkmcnt(0)
	v_add_f64 v[12:13], v[12:13], v[2:3]
.LBB20_159:
	s_or_b64 exec, exec, s[4:5]
.LBB20_160:
	s_or_b64 exec, exec, s[0:1]
	v_cmp_gt_i64_e32 vcc, s[28:29], v[0:1]
	s_barrier
	ds_write_b64 v18, v[12:13]
	s_waitcnt lgkmcnt(0)
	s_barrier
	s_and_b64 exec, exec, vcc
	s_cbranch_execz .LBB20_170
; %bb.161:
	s_cmp_lt_u32 s20, 8
	v_mul_lo_u32 v1, s20, v0
	s_cbranch_scc1 .LBB20_164
; %bb.162:
	s_and_b32 s0, s20, 0x7ffffff8
	v_lshlrev_b32_e32 v2, 3, v1
	s_mov_b32 s1, 0
	v_pk_mov_b32 v[4:5], 0, 0
.LBB20_163:                             ; =>This Inner Loop Header: Depth=1
	ds_read2_b64 v[8:11], v2 offset1:1
	ds_read2_b64 v[12:15], v2 offset0:2 offset1:3
	ds_read2_b64 v[16:19], v2 offset0:4 offset1:5
	ds_read2_b64 v[20:23], v2 offset0:6 offset1:7
	s_add_i32 s1, s1, 8
	s_waitcnt lgkmcnt(3)
	v_add_f64 v[4:5], v[4:5], v[8:9]
	v_add_f64 v[4:5], v[4:5], v[10:11]
	s_waitcnt lgkmcnt(2)
	v_add_f64 v[4:5], v[4:5], v[12:13]
	v_add_f64 v[4:5], v[4:5], v[14:15]
	;; [unrolled: 3-line block ×3, first 2 shown]
	s_waitcnt lgkmcnt(0)
	v_add_f64 v[4:5], v[4:5], v[20:21]
	v_add_u32_e32 v2, 64, v2
	s_cmp_eq_u32 s0, s1
	v_add_f64 v[4:5], v[4:5], v[22:23]
	s_cbranch_scc0 .LBB20_163
	s_branch .LBB20_165
.LBB20_164:
	s_mov_b32 s0, 0
	v_pk_mov_b32 v[4:5], 0, 0
.LBB20_165:
	s_bfe_u32 s1, s3, 0x30001
	s_cmp_eq_u32 s1, 0
	s_cbranch_scc1 .LBB20_168
; %bb.166:
	v_add_lshl_u32 v1, s0, v1, 3
.LBB20_167:                             ; =>This Inner Loop Header: Depth=1
	ds_read_b64 v[2:3], v1
	s_add_i32 s1, s1, -1
	v_add_u32_e32 v1, 8, v1
	s_cmp_lg_u32 s1, 0
	s_waitcnt lgkmcnt(0)
	v_add_f64 v[4:5], v[4:5], v[2:3]
	s_cbranch_scc1 .LBB20_167
.LBB20_168:
	v_lshlrev_b64 v[2:3], 3, v[6:7]
	v_mov_b32_e32 v1, s15
	v_add_co_u32_e32 v6, vcc, s14, v2
	v_addc_co_u32_e32 v7, vcc, v1, v3, vcc
	global_load_dwordx2 v[2:3], v[6:7], off
	s_lshl_b32 s0, s2, 3
	s_addk_i32 s0, 0x2000
	v_lshl_add_u32 v0, v0, 3, s0
	ds_read_b64 v[0:1], v0
	s_mov_b64 s[0:1], 0
	s_waitcnt lgkmcnt(0)
	v_add_f64 v[4:5], v[4:5], v[0:1]
.LBB20_169:                             ; =>This Inner Loop Header: Depth=1
	s_waitcnt vmcnt(0)
	v_add_f64 v[0:1], v[2:3], v[4:5]
	global_atomic_cmpswap_x2 v[0:1], v[6:7], v[0:3], off glc
	s_waitcnt vmcnt(0)
	v_cmp_eq_u64_e32 vcc, v[0:1], v[2:3]
	s_or_b64 s[0:1], vcc, s[0:1]
	v_pk_mov_b32 v[2:3], v[0:1], v[0:1] op_sel:[0,1]
	s_andn2_b64 exec, exec, s[0:1]
	s_cbranch_execnz .LBB20_169
.LBB20_170:
	s_endpgm
	.section	.rodata,"a",@progbits
	.p2align	6, 0x0
	.amdhsa_kernel _ZN9rocsparseL27csrmvn_symm_adaptive_kernelIllddddEEvbT_S1_PKS1_NS_24const_host_device_scalarIT4_EES3_PKT0_PKT1_PKT2_S6_PT3_21rocsparse_index_base_b
		.amdhsa_group_segment_fixed_size 8192
		.amdhsa_private_segment_fixed_size 0
		.amdhsa_kernarg_size 352
		.amdhsa_user_sgpr_count 6
		.amdhsa_user_sgpr_private_segment_buffer 1
		.amdhsa_user_sgpr_dispatch_ptr 0
		.amdhsa_user_sgpr_queue_ptr 0
		.amdhsa_user_sgpr_kernarg_segment_ptr 1
		.amdhsa_user_sgpr_dispatch_id 0
		.amdhsa_user_sgpr_flat_scratch_init 0
		.amdhsa_user_sgpr_kernarg_preload_length 0
		.amdhsa_user_sgpr_kernarg_preload_offset 0
		.amdhsa_user_sgpr_private_segment_size 0
		.amdhsa_uses_dynamic_stack 0
		.amdhsa_system_sgpr_private_segment_wavefront_offset 0
		.amdhsa_system_sgpr_workgroup_id_x 1
		.amdhsa_system_sgpr_workgroup_id_y 0
		.amdhsa_system_sgpr_workgroup_id_z 0
		.amdhsa_system_sgpr_workgroup_info 0
		.amdhsa_system_vgpr_workitem_id 0
		.amdhsa_next_free_vgpr 28
		.amdhsa_next_free_sgpr 52
		.amdhsa_accum_offset 28
		.amdhsa_reserve_vcc 1
		.amdhsa_reserve_flat_scratch 0
		.amdhsa_float_round_mode_32 0
		.amdhsa_float_round_mode_16_64 0
		.amdhsa_float_denorm_mode_32 3
		.amdhsa_float_denorm_mode_16_64 3
		.amdhsa_dx10_clamp 1
		.amdhsa_ieee_mode 1
		.amdhsa_fp16_overflow 0
		.amdhsa_tg_split 0
		.amdhsa_exception_fp_ieee_invalid_op 0
		.amdhsa_exception_fp_denorm_src 0
		.amdhsa_exception_fp_ieee_div_zero 0
		.amdhsa_exception_fp_ieee_overflow 0
		.amdhsa_exception_fp_ieee_underflow 0
		.amdhsa_exception_fp_ieee_inexact 0
		.amdhsa_exception_int_div_zero 0
	.end_amdhsa_kernel
	.section	.text._ZN9rocsparseL27csrmvn_symm_adaptive_kernelIllddddEEvbT_S1_PKS1_NS_24const_host_device_scalarIT4_EES3_PKT0_PKT1_PKT2_S6_PT3_21rocsparse_index_base_b,"axG",@progbits,_ZN9rocsparseL27csrmvn_symm_adaptive_kernelIllddddEEvbT_S1_PKS1_NS_24const_host_device_scalarIT4_EES3_PKT0_PKT1_PKT2_S6_PT3_21rocsparse_index_base_b,comdat
.Lfunc_end20:
	.size	_ZN9rocsparseL27csrmvn_symm_adaptive_kernelIllddddEEvbT_S1_PKS1_NS_24const_host_device_scalarIT4_EES3_PKT0_PKT1_PKT2_S6_PT3_21rocsparse_index_base_b, .Lfunc_end20-_ZN9rocsparseL27csrmvn_symm_adaptive_kernelIllddddEEvbT_S1_PKS1_NS_24const_host_device_scalarIT4_EES3_PKT0_PKT1_PKT2_S6_PT3_21rocsparse_index_base_b
                                        ; -- End function
	.section	.AMDGPU.csdata,"",@progbits
; Kernel info:
; codeLenInByte = 8380
; NumSgprs: 56
; NumVgprs: 28
; NumAgprs: 0
; TotalNumVgprs: 28
; ScratchSize: 0
; MemoryBound: 0
; FloatMode: 240
; IeeeMode: 1
; LDSByteSize: 8192 bytes/workgroup (compile time only)
; SGPRBlocks: 6
; VGPRBlocks: 3
; NumSGPRsForWavesPerEU: 56
; NumVGPRsForWavesPerEU: 28
; AccumOffset: 28
; Occupancy: 8
; WaveLimiterHint : 1
; COMPUTE_PGM_RSRC2:SCRATCH_EN: 0
; COMPUTE_PGM_RSRC2:USER_SGPR: 6
; COMPUTE_PGM_RSRC2:TRAP_HANDLER: 0
; COMPUTE_PGM_RSRC2:TGID_X_EN: 1
; COMPUTE_PGM_RSRC2:TGID_Y_EN: 0
; COMPUTE_PGM_RSRC2:TGID_Z_EN: 0
; COMPUTE_PGM_RSRC2:TIDIG_COMP_CNT: 0
; COMPUTE_PGM_RSRC3_GFX90A:ACCUM_OFFSET: 6
; COMPUTE_PGM_RSRC3_GFX90A:TG_SPLIT: 0
	.section	.text._ZL33csrmvn_symm_large_adaptive_kernelIllddddEvbT_PKS0_N9rocsparse24const_host_device_scalarIT4_EES2_PKT0_PKT1_PKT2_S6_PT3_21rocsparse_index_base_b,"axG",@progbits,_ZL33csrmvn_symm_large_adaptive_kernelIllddddEvbT_PKS0_N9rocsparse24const_host_device_scalarIT4_EES2_PKT0_PKT1_PKT2_S6_PT3_21rocsparse_index_base_b,comdat
	.globl	_ZL33csrmvn_symm_large_adaptive_kernelIllddddEvbT_PKS0_N9rocsparse24const_host_device_scalarIT4_EES2_PKT0_PKT1_PKT2_S6_PT3_21rocsparse_index_base_b ; -- Begin function _ZL33csrmvn_symm_large_adaptive_kernelIllddddEvbT_PKS0_N9rocsparse24const_host_device_scalarIT4_EES2_PKT0_PKT1_PKT2_S6_PT3_21rocsparse_index_base_b
	.p2align	8
	.type	_ZL33csrmvn_symm_large_adaptive_kernelIllddddEvbT_PKS0_N9rocsparse24const_host_device_scalarIT4_EES2_PKT0_PKT1_PKT2_S6_PT3_21rocsparse_index_base_b,@function
_ZL33csrmvn_symm_large_adaptive_kernelIllddddEvbT_PKS0_N9rocsparse24const_host_device_scalarIT4_EES2_PKT0_PKT1_PKT2_S6_PT3_21rocsparse_index_base_b: ; @_ZL33csrmvn_symm_large_adaptive_kernelIllddddEvbT_PKS0_N9rocsparse24const_host_device_scalarIT4_EES2_PKT0_PKT1_PKT2_S6_PT3_21rocsparse_index_base_b
; %bb.0:
	s_load_dwordx2 s[24:25], s[4:5], 0x50
	s_load_dwordx2 s[8:9], s[4:5], 0x18
	;; [unrolled: 1-line block ×3, first 2 shown]
	s_waitcnt lgkmcnt(0)
	s_bitcmp1_b32 s25, 0
	s_cselect_b64 s[10:11], -1, 0
	s_xor_b64 s[2:3], s[10:11], -1
	s_and_b64 vcc, exec, s[10:11]
	v_pk_mov_b32 v[4:5], s[8:9], s[8:9] op_sel:[0,1]
	s_cbranch_vccnz .LBB21_2
; %bb.1:
	v_pk_mov_b32 v[2:3], s[8:9], s[8:9] op_sel:[0,1]
	flat_load_dwordx2 v[4:5], v[2:3]
.LBB21_2:
	s_andn2_b64 vcc, exec, s[2:3]
	v_pk_mov_b32 v[2:3], s[0:1], s[0:1] op_sel:[0,1]
	s_cbranch_vccnz .LBB21_4
; %bb.3:
	v_pk_mov_b32 v[2:3], s[0:1], s[0:1] op_sel:[0,1]
	flat_load_dwordx2 v[2:3], v[2:3]
.LBB21_4:
	s_waitcnt vmcnt(0) lgkmcnt(0)
	v_cmp_neq_f64_e32 vcc, 0, v[4:5]
	v_cmp_neq_f64_e64 s[0:1], 1.0, v[2:3]
	s_or_b64 s[0:1], vcc, s[0:1]
	s_and_saveexec_b64 s[2:3], s[0:1]
	s_cbranch_execz .LBB21_41
; %bb.5:
	s_load_dwordx2 s[0:1], s[4:5], 0x10
	s_ashr_i32 s7, s6, 31
	s_mov_b32 s2, 0
	s_lshl_b64 s[6:7], s[6:7], 3
	s_mov_b32 s3, s2
	s_waitcnt lgkmcnt(0)
	s_add_u32 s0, s0, s6
	v_lshlrev_b32_e32 v10, 3, v0
	v_pk_mov_b32 v[2:3], s[2:3], s[2:3] op_sel:[0,1]
	s_addc_u32 s1, s1, s7
	ds_write2st64_b64 v10, v[2:3], v[2:3] offset1:4
	ds_write2st64_b64 v10, v[2:3], v[2:3] offset0:8 offset1:12
	s_waitcnt lgkmcnt(0)
	s_barrier
	s_load_dwordx4 s[20:23], s[0:1], 0x0
	s_load_dwordx8 s[12:19], s[4:5], 0x20
	s_load_dwordx2 s[26:27], s[4:5], 0x48
	v_subrev_co_u32_e64 v11, s[0:1], s24, v0
	s_waitcnt lgkmcnt(0)
	v_pk_mov_b32 v[2:3], s[22:23], s[22:23] op_sel:[0,1]
	v_cmp_lt_i64_e32 vcc, s[20:21], v[2:3]
	s_mov_b32 s25, s2
	v_subb_co_u32_e64 v12, s[0:1], 0, 0, s[0:1]
	s_cbranch_vccnz .LBB21_7
; %bb.6:
	s_lshl_b64 s[0:1], s[20:21], 3
	s_add_u32 s0, s12, s0
	s_addc_u32 s1, s13, s1
	s_load_dwordx2 s[28:29], s[0:1], 0x0
	s_cbranch_execz .LBB21_8
	s_branch .LBB21_31
.LBB21_7:
                                        ; implicit-def: $sgpr28_sgpr29
.LBB21_8:
	s_lshl_b64 s[10:11], s[20:21], 3
	s_add_u32 s10, s12, s10
	s_addc_u32 s11, s13, s11
	s_waitcnt lgkmcnt(0)
	s_load_dwordx2 s[28:29], s[10:11], 0x0
	s_movk_i32 s33, 0x100
	s_add_u32 s44, s12, 8
	v_cmp_gt_u32_e64 s[0:1], s33, v0
	v_cmp_gt_u32_e64 s[2:3], 64, v0
	;; [unrolled: 1-line block ×4, first 2 shown]
	v_cmp_eq_u32_e64 s[8:9], 0, v0
	s_addc_u32 s45, s13, 0
	v_mov_b32_e32 v13, s25
	v_mov_b32_e32 v14, s19
	;; [unrolled: 1-line block ×3, first 2 shown]
	s_waitcnt lgkmcnt(0)
	s_mov_b64 s[34:35], s[28:29]
	s_mov_b64 s[30:31], s[20:21]
	s_branch .LBB21_10
.LBB21_9:                               ;   in Loop: Header=BB21_10 Depth=1
	s_or_b64 exec, exec, s[10:11]
	s_add_u32 s30, s30, 1
	s_addc_u32 s31, s31, 0
	v_pk_mov_b32 v[0:1], s[22:23], s[22:23] op_sel:[0,1]
	v_cmp_ge_i64_e32 vcc, s[30:31], v[0:1]
	s_cbranch_vccnz .LBB21_31
.LBB21_10:                              ; =>This Loop Header: Depth=1
                                        ;     Child Loop BB21_12 Depth 2
                                        ;     Child Loop BB21_26 Depth 2
	;; [unrolled: 1-line block ×3, first 2 shown]
	s_lshl_b64 s[36:37], s[30:31], 3
	s_mov_b64 s[10:11], s[34:35]
	s_add_u32 s34, s44, s36
	s_addc_u32 s35, s45, s37
	s_load_dwordx2 s[34:35], s[34:35], 0x0
	v_mov_b32_e32 v1, s11
	v_add_co_u32_e32 v0, vcc, s10, v11
	v_addc_co_u32_e32 v1, vcc, v1, v12, vcc
	s_waitcnt lgkmcnt(0)
	s_sub_u32 s38, s34, s24
	s_subb_u32 s39, s35, 0
	v_cmp_gt_i64_e32 vcc, s[38:39], v[0:1]
	v_pk_mov_b32 v[2:3], 0, 0
	s_and_saveexec_b64 s[40:41], vcc
	s_cbranch_execz .LBB21_14
; %bb.11:                               ;   in Loop: Header=BB21_10 Depth=1
	v_lshlrev_b64 v[2:3], 3, v[0:1]
	v_mov_b32_e32 v7, s15
	v_add_co_u32_e32 v6, vcc, s14, v2
	v_addc_co_u32_e32 v7, vcc, v7, v3, vcc
	v_mov_b32_e32 v9, s17
	v_add_co_u32_e32 v8, vcc, s16, v2
	v_addc_co_u32_e32 v9, vcc, v9, v3, vcc
	s_mov_b64 s[42:43], 0
	v_pk_mov_b32 v[2:3], 0, 0
.LBB21_12:                              ;   Parent Loop BB21_10 Depth=1
                                        ; =>  This Inner Loop Header: Depth=2
	global_load_dwordx2 v[16:17], v[6:7], off
	global_load_dwordx2 v[18:19], v[8:9], off
	s_waitcnt vmcnt(1)
	v_subrev_co_u32_e32 v16, vcc, s24, v16
	v_subb_co_u32_e32 v17, vcc, v17, v13, vcc
	v_lshlrev_b64 v[16:17], 3, v[16:17]
	v_add_co_u32_e32 v16, vcc, s18, v16
	v_addc_co_u32_e32 v17, vcc, v14, v17, vcc
	global_load_dwordx2 v[16:17], v[16:17], off
	v_add_co_u32_e32 v0, vcc, s33, v0
	v_addc_co_u32_e32 v1, vcc, 0, v1, vcc
	v_add_co_u32_e32 v6, vcc, 0x800, v6
	v_addc_co_u32_e32 v7, vcc, 0, v7, vcc
	v_add_co_u32_e32 v8, vcc, 0x800, v8
	v_cmp_le_i64_e64 s[10:11], s[38:39], v[0:1]
	v_addc_co_u32_e32 v9, vcc, 0, v9, vcc
	s_or_b64 s[42:43], s[10:11], s[42:43]
	s_waitcnt vmcnt(0)
	v_fmac_f64_e32 v[2:3], v[18:19], v[16:17]
	s_andn2_b64 exec, exec, s[42:43]
	s_cbranch_execnz .LBB21_12
; %bb.13:                               ;   in Loop: Header=BB21_10 Depth=1
	s_or_b64 exec, exec, s[42:43]
.LBB21_14:                              ;   in Loop: Header=BB21_10 Depth=1
	s_or_b64 exec, exec, s[40:41]
	ds_write_b64 v10, v[2:3]
	s_waitcnt lgkmcnt(0)
	s_barrier
	s_and_saveexec_b64 s[10:11], s[0:1]
	s_cbranch_execz .LBB21_16
; %bb.15:                               ;   in Loop: Header=BB21_10 Depth=1
	ds_read2st64_b64 v[0:3], v10 offset1:4
	ds_read2st64_b64 v[6:9], v10 offset0:8 offset1:12
	s_waitcnt lgkmcnt(0)
	v_add_f64 v[2:3], v[2:3], v[6:7]
	v_add_f64 v[2:3], v[2:3], v[8:9]
	v_add_f64 v[0:1], v[0:1], v[2:3]
	ds_write_b64 v10, v[0:1]
.LBB21_16:                              ;   in Loop: Header=BB21_10 Depth=1
	s_or_b64 exec, exec, s[10:11]
	s_waitcnt lgkmcnt(0)
	s_barrier
	s_and_saveexec_b64 s[10:11], s[2:3]
	s_cbranch_execz .LBB21_18
; %bb.17:                               ;   in Loop: Header=BB21_10 Depth=1
	ds_read2st64_b64 v[0:3], v10 offset1:1
	ds_read2st64_b64 v[6:9], v10 offset0:2 offset1:3
	s_waitcnt lgkmcnt(0)
	v_add_f64 v[2:3], v[2:3], v[6:7]
	v_add_f64 v[2:3], v[2:3], v[8:9]
	;; [unrolled: 1-line block ×3, first 2 shown]
	ds_write_b64 v10, v[0:1]
.LBB21_18:                              ;   in Loop: Header=BB21_10 Depth=1
	s_or_b64 exec, exec, s[10:11]
	s_waitcnt lgkmcnt(0)
	s_barrier
	s_and_saveexec_b64 s[10:11], s[4:5]
	s_cbranch_execz .LBB21_20
; %bb.19:                               ;   in Loop: Header=BB21_10 Depth=1
	ds_read2_b64 v[0:3], v10 offset1:16
	ds_read2_b64 v[6:9], v10 offset0:32 offset1:48
	s_waitcnt lgkmcnt(0)
	v_add_f64 v[2:3], v[2:3], v[6:7]
	v_add_f64 v[2:3], v[2:3], v[8:9]
	;; [unrolled: 1-line block ×3, first 2 shown]
	ds_write_b64 v10, v[0:1]
.LBB21_20:                              ;   in Loop: Header=BB21_10 Depth=1
	s_or_b64 exec, exec, s[10:11]
	s_waitcnt lgkmcnt(0)
	s_barrier
	s_and_saveexec_b64 s[10:11], s[6:7]
	s_cbranch_execz .LBB21_22
; %bb.21:                               ;   in Loop: Header=BB21_10 Depth=1
	ds_read2_b64 v[0:3], v10 offset1:4
	ds_read2_b64 v[6:9], v10 offset0:8 offset1:12
	s_waitcnt lgkmcnt(0)
	v_add_f64 v[2:3], v[2:3], v[6:7]
	v_add_f64 v[2:3], v[2:3], v[8:9]
	v_add_f64 v[0:1], v[0:1], v[2:3]
	ds_write_b64 v10, v[0:1]
.LBB21_22:                              ;   in Loop: Header=BB21_10 Depth=1
	s_or_b64 exec, exec, s[10:11]
	s_waitcnt lgkmcnt(0)
	s_barrier
	s_and_saveexec_b64 s[10:11], s[8:9]
	s_cbranch_execz .LBB21_24
; %bb.23:                               ;   in Loop: Header=BB21_10 Depth=1
	ds_read2_b64 v[0:3], v15 offset0:1 offset1:2
	ds_read_b64 v[6:7], v15 offset:24
	ds_read_b64 v[8:9], v10
	s_waitcnt lgkmcnt(2)
	v_add_f64 v[0:1], v[0:1], v[2:3]
	s_waitcnt lgkmcnt(1)
	v_add_f64 v[0:1], v[0:1], v[6:7]
	;; [unrolled: 2-line block ×3, first 2 shown]
	ds_write_b64 v10, v[0:1]
.LBB21_24:                              ;   in Loop: Header=BB21_10 Depth=1
	s_or_b64 exec, exec, s[10:11]
	s_waitcnt lgkmcnt(0)
	s_barrier
	s_and_saveexec_b64 s[10:11], s[8:9]
	s_cbranch_execz .LBB21_9
; %bb.25:                               ;   in Loop: Header=BB21_10 Depth=1
	ds_read_b64 v[0:1], v15
	v_mov_b32_e32 v6, 0
	s_mov_b64 s[38:39], exec
	v_bfrev_b32_e32 v7, 1
	s_waitcnt lgkmcnt(0)
	v_mul_f64 v[0:1], v[4:5], v[0:1]
.LBB21_26:                              ;   Parent Loop BB21_10 Depth=1
                                        ; =>  This Inner Loop Header: Depth=2
	s_ff1_i32_b64 s42, s[38:39]
	v_readlane_b32 s41, v1, s42
	v_readlane_b32 s40, v0, s42
	s_lshl_b64 s[42:43], 1, s42
	s_andn2_b64 s[38:39], s[38:39], s[42:43]
	s_cmp_lg_u64 s[38:39], 0
	v_add_f64 v[6:7], v[6:7], s[40:41]
	s_cbranch_scc1 .LBB21_26
; %bb.27:                               ;   in Loop: Header=BB21_10 Depth=1
	v_mbcnt_lo_u32_b32 v0, exec_lo, 0
	v_mbcnt_hi_u32_b32 v0, exec_hi, v0
	v_cmp_eq_u32_e32 vcc, 0, v0
	s_and_saveexec_b64 s[38:39], vcc
	s_xor_b64 s[38:39], exec, s[38:39]
	s_cbranch_execz .LBB21_9
; %bb.28:                               ;   in Loop: Header=BB21_10 Depth=1
	s_add_u32 s36, s26, s36
	s_addc_u32 s37, s27, s37
	global_load_dwordx2 v[2:3], v15, s[36:37]
	s_mov_b64 s[38:39], 0
.LBB21_29:                              ;   Parent Loop BB21_10 Depth=1
                                        ; =>  This Inner Loop Header: Depth=2
	s_waitcnt vmcnt(0)
	v_add_f64 v[0:1], v[2:3], v[6:7]
	global_atomic_cmpswap_x2 v[0:1], v15, v[0:3], s[36:37] glc
	s_waitcnt vmcnt(0)
	v_cmp_eq_u64_e32 vcc, v[0:1], v[2:3]
	s_or_b64 s[38:39], vcc, s[38:39]
	v_pk_mov_b32 v[2:3], v[0:1], v[0:1] op_sel:[0,1]
	s_andn2_b64 exec, exec, s[38:39]
	s_cbranch_execnz .LBB21_29
; %bb.30:                               ;   in Loop: Header=BB21_10 Depth=1
	s_or_b64 exec, exec, s[38:39]
	s_branch .LBB21_9
.LBB21_31:
	s_lshl_b64 s[0:1], s[22:23], 3
	s_add_u32 s0, s12, s0
	s_addc_u32 s1, s13, s1
	s_load_dwordx2 s[0:1], s[0:1], 0x0
	s_waitcnt lgkmcnt(0)
	v_mov_b32_e32 v0, s29
	v_add_co_u32_e32 v6, vcc, s28, v11
	v_addc_co_u32_e32 v7, vcc, v0, v12, vcc
	s_sub_u32 s4, s0, s24
	s_subb_u32 s5, s1, 0
	v_cmp_gt_i64_e32 vcc, s[4:5], v[6:7]
	s_and_b64 exec, exec, vcc
	s_cbranch_execz .LBB21_41
; %bb.32:
	s_add_u32 s6, s22, -1
	s_addc_u32 s7, s23, -1
	s_add_u32 s0, s22, -2
	s_addc_u32 s1, s23, -1
	v_pk_mov_b32 v[0:1], s[20:21], s[20:21] op_sel:[0,1]
	s_cmp_lg_u64 s[0:1], s[20:21]
	v_cmp_gt_i64_e32 vcc, s[6:7], v[0:1]
	s_cselect_b64 s[0:1], -1, 0
	s_and_b64 s[0:1], vcc, s[0:1]
	v_cndmask_b32_e64 v0, 0, 1, s[0:1]
	s_mov_b64 s[8:9], 0
	v_cmp_ne_u32_e64 s[0:1], 1, v0
	v_mov_b32_e32 v12, s13
	v_mov_b32_e32 v13, s25
	;; [unrolled: 1-line block ×3, first 2 shown]
	s_branch .LBB21_34
.LBB21_33:                              ;   in Loop: Header=BB21_34 Depth=1
	s_or_b64 exec, exec, s[2:3]
	v_add_co_u32_e32 v6, vcc, 0x100, v6
	v_addc_co_u32_e32 v7, vcc, 0, v7, vcc
	v_cmp_le_i64_e32 vcc, s[4:5], v[6:7]
	s_or_b64 s[8:9], vcc, s[8:9]
	s_andn2_b64 exec, exec, s[8:9]
	s_cbranch_execz .LBB21_41
.LBB21_34:                              ; =>This Loop Header: Depth=1
                                        ;     Child Loop BB21_36 Depth 2
                                        ;     Child Loop BB21_40 Depth 2
	s_and_b64 vcc, exec, s[0:1]
	v_pk_mov_b32 v[0:1], s[20:21], s[20:21] op_sel:[0,1]
	v_pk_mov_b32 v[2:3], s[6:7], s[6:7] op_sel:[0,1]
	s_cbranch_vccnz .LBB21_38
; %bb.35:                               ;   in Loop: Header=BB21_34 Depth=1
	s_mov_b64 s[10:11], 0
	v_pk_mov_b32 v[0:1], s[20:21], s[20:21] op_sel:[0,1]
	v_pk_mov_b32 v[2:3], s[6:7], s[6:7] op_sel:[0,1]
.LBB21_36:                              ;   Parent Loop BB21_34 Depth=1
                                        ; =>  This Inner Loop Header: Depth=2
	v_add_co_u32_e32 v8, vcc, v2, v0
	v_addc_co_u32_e32 v9, vcc, v3, v1, vcc
	v_lshrrev_b32_e32 v10, 31, v9
	v_add_co_u32_e32 v8, vcc, v8, v10
	v_addc_co_u32_e32 v9, vcc, 0, v9, vcc
	v_ashrrev_i64 v[8:9], 1, v[8:9]
	v_lshlrev_b64 v[10:11], 3, v[8:9]
	v_mov_b32_e32 v15, s13
	v_add_co_u32_e32 v10, vcc, s12, v10
	v_addc_co_u32_e32 v11, vcc, v15, v11, vcc
	global_load_dwordx2 v[10:11], v[10:11], off
	v_mov_b32_e32 v15, s25
	s_waitcnt vmcnt(0)
	v_subrev_co_u32_e32 v10, vcc, s24, v10
	v_subb_co_u32_e32 v11, vcc, v11, v15, vcc
	v_cmp_gt_i64_e32 vcc, v[10:11], v[6:7]
	v_cndmask_b32_e32 v2, v2, v8, vcc
	v_cndmask_b32_e32 v3, v3, v9, vcc
	;; [unrolled: 1-line block ×3, first 2 shown]
	v_add_co_u32_e64 v8, s[2:3], -1, v2
	v_cndmask_b32_e32 v1, v9, v1, vcc
	v_addc_co_u32_e64 v9, s[2:3], -1, v3, s[2:3]
	v_cmp_ge_i64_e32 vcc, v[0:1], v[2:3]
	v_cmp_eq_u64_e64 s[2:3], v[0:1], v[8:9]
	s_or_b64 s[2:3], vcc, s[2:3]
	s_and_b64 s[2:3], exec, s[2:3]
	s_or_b64 s[10:11], s[2:3], s[10:11]
	s_andn2_b64 exec, exec, s[10:11]
	s_cbranch_execnz .LBB21_36
; %bb.37:                               ;   in Loop: Header=BB21_34 Depth=1
	s_or_b64 exec, exec, s[10:11]
.LBB21_38:                              ;   in Loop: Header=BB21_34 Depth=1
	v_lshlrev_b64 v[8:9], 3, v[2:3]
	v_add_co_u32_e32 v8, vcc, s12, v8
	v_addc_co_u32_e32 v9, vcc, v12, v9, vcc
	global_load_dwordx2 v[10:11], v[8:9], off
	v_lshlrev_b64 v[8:9], 3, v[6:7]
	v_add_co_u32_e32 v16, vcc, s14, v8
	v_addc_co_u32_e32 v17, vcc, v14, v9, vcc
	global_load_dwordx2 v[16:17], v[16:17], off
	s_waitcnt vmcnt(1)
	v_subrev_co_u32_e32 v10, vcc, s24, v10
	v_subb_co_u32_e32 v11, vcc, v11, v13, vcc
	v_cmp_gt_i64_e32 vcc, v[10:11], v[6:7]
	v_cndmask_b32_e32 v1, v3, v1, vcc
	v_cndmask_b32_e32 v0, v2, v0, vcc
	s_waitcnt vmcnt(0)
	v_subrev_co_u32_e32 v2, vcc, s24, v16
	v_subb_co_u32_e32 v3, vcc, v17, v13, vcc
	v_cmp_ne_u64_e32 vcc, v[2:3], v[0:1]
	s_and_saveexec_b64 s[2:3], vcc
	s_cbranch_execz .LBB21_33
; %bb.39:                               ;   in Loop: Header=BB21_34 Depth=1
	v_mov_b32_e32 v10, s17
	v_add_co_u32_e32 v8, vcc, s16, v8
	v_addc_co_u32_e32 v9, vcc, v10, v9, vcc
	v_lshlrev_b64 v[0:1], 3, v[0:1]
	global_load_dwordx2 v[10:11], v[8:9], off
	v_mov_b32_e32 v8, s19
	v_add_co_u32_e32 v0, vcc, s18, v0
	v_lshlrev_b64 v[2:3], 3, v[2:3]
	v_addc_co_u32_e32 v1, vcc, v8, v1, vcc
	v_mov_b32_e32 v15, s27
	v_add_co_u32_e32 v8, vcc, s26, v2
	global_load_dwordx2 v[0:1], v[0:1], off
	v_addc_co_u32_e32 v9, vcc, v15, v3, vcc
	global_load_dwordx2 v[2:3], v[8:9], off
	s_mov_b64 s[10:11], 0
	s_waitcnt vmcnt(2)
	v_mul_f64 v[10:11], v[4:5], v[10:11]
	s_waitcnt vmcnt(1)
	v_mul_f64 v[10:11], v[10:11], v[0:1]
.LBB21_40:                              ;   Parent Loop BB21_34 Depth=1
                                        ; =>  This Inner Loop Header: Depth=2
	s_waitcnt vmcnt(0)
	v_add_f64 v[0:1], v[2:3], v[10:11]
	global_atomic_cmpswap_x2 v[0:1], v[8:9], v[0:3], off glc
	s_waitcnt vmcnt(0)
	v_cmp_eq_u64_e32 vcc, v[0:1], v[2:3]
	s_or_b64 s[10:11], vcc, s[10:11]
	v_pk_mov_b32 v[2:3], v[0:1], v[0:1] op_sel:[0,1]
	s_andn2_b64 exec, exec, s[10:11]
	s_cbranch_execnz .LBB21_40
	s_branch .LBB21_33
.LBB21_41:
	s_endpgm
	.section	.rodata,"a",@progbits
	.p2align	6, 0x0
	.amdhsa_kernel _ZL33csrmvn_symm_large_adaptive_kernelIllddddEvbT_PKS0_N9rocsparse24const_host_device_scalarIT4_EES2_PKT0_PKT1_PKT2_S6_PT3_21rocsparse_index_base_b
		.amdhsa_group_segment_fixed_size 8192
		.amdhsa_private_segment_fixed_size 0
		.amdhsa_kernarg_size 88
		.amdhsa_user_sgpr_count 6
		.amdhsa_user_sgpr_private_segment_buffer 1
		.amdhsa_user_sgpr_dispatch_ptr 0
		.amdhsa_user_sgpr_queue_ptr 0
		.amdhsa_user_sgpr_kernarg_segment_ptr 1
		.amdhsa_user_sgpr_dispatch_id 0
		.amdhsa_user_sgpr_flat_scratch_init 0
		.amdhsa_user_sgpr_kernarg_preload_length 0
		.amdhsa_user_sgpr_kernarg_preload_offset 0
		.amdhsa_user_sgpr_private_segment_size 0
		.amdhsa_uses_dynamic_stack 0
		.amdhsa_system_sgpr_private_segment_wavefront_offset 0
		.amdhsa_system_sgpr_workgroup_id_x 1
		.amdhsa_system_sgpr_workgroup_id_y 0
		.amdhsa_system_sgpr_workgroup_id_z 0
		.amdhsa_system_sgpr_workgroup_info 0
		.amdhsa_system_vgpr_workitem_id 0
		.amdhsa_next_free_vgpr 20
		.amdhsa_next_free_sgpr 46
		.amdhsa_accum_offset 20
		.amdhsa_reserve_vcc 1
		.amdhsa_reserve_flat_scratch 0
		.amdhsa_float_round_mode_32 0
		.amdhsa_float_round_mode_16_64 0
		.amdhsa_float_denorm_mode_32 3
		.amdhsa_float_denorm_mode_16_64 3
		.amdhsa_dx10_clamp 1
		.amdhsa_ieee_mode 1
		.amdhsa_fp16_overflow 0
		.amdhsa_tg_split 0
		.amdhsa_exception_fp_ieee_invalid_op 0
		.amdhsa_exception_fp_denorm_src 0
		.amdhsa_exception_fp_ieee_div_zero 0
		.amdhsa_exception_fp_ieee_overflow 0
		.amdhsa_exception_fp_ieee_underflow 0
		.amdhsa_exception_fp_ieee_inexact 0
		.amdhsa_exception_int_div_zero 0
	.end_amdhsa_kernel
	.section	.text._ZL33csrmvn_symm_large_adaptive_kernelIllddddEvbT_PKS0_N9rocsparse24const_host_device_scalarIT4_EES2_PKT0_PKT1_PKT2_S6_PT3_21rocsparse_index_base_b,"axG",@progbits,_ZL33csrmvn_symm_large_adaptive_kernelIllddddEvbT_PKS0_N9rocsparse24const_host_device_scalarIT4_EES2_PKT0_PKT1_PKT2_S6_PT3_21rocsparse_index_base_b,comdat
.Lfunc_end21:
	.size	_ZL33csrmvn_symm_large_adaptive_kernelIllddddEvbT_PKS0_N9rocsparse24const_host_device_scalarIT4_EES2_PKT0_PKT1_PKT2_S6_PT3_21rocsparse_index_base_b, .Lfunc_end21-_ZL33csrmvn_symm_large_adaptive_kernelIllddddEvbT_PKS0_N9rocsparse24const_host_device_scalarIT4_EES2_PKT0_PKT1_PKT2_S6_PT3_21rocsparse_index_base_b
                                        ; -- End function
	.section	.AMDGPU.csdata,"",@progbits
; Kernel info:
; codeLenInByte = 1852
; NumSgprs: 50
; NumVgprs: 20
; NumAgprs: 0
; TotalNumVgprs: 20
; ScratchSize: 0
; MemoryBound: 0
; FloatMode: 240
; IeeeMode: 1
; LDSByteSize: 8192 bytes/workgroup (compile time only)
; SGPRBlocks: 6
; VGPRBlocks: 2
; NumSGPRsForWavesPerEU: 50
; NumVGPRsForWavesPerEU: 20
; AccumOffset: 20
; Occupancy: 8
; WaveLimiterHint : 1
; COMPUTE_PGM_RSRC2:SCRATCH_EN: 0
; COMPUTE_PGM_RSRC2:USER_SGPR: 6
; COMPUTE_PGM_RSRC2:TRAP_HANDLER: 0
; COMPUTE_PGM_RSRC2:TGID_X_EN: 1
; COMPUTE_PGM_RSRC2:TGID_Y_EN: 0
; COMPUTE_PGM_RSRC2:TGID_Z_EN: 0
; COMPUTE_PGM_RSRC2:TIDIG_COMP_CNT: 0
; COMPUTE_PGM_RSRC3_GFX90A:ACCUM_OFFSET: 4
; COMPUTE_PGM_RSRC3_GFX90A:TG_SPLIT: 0
	.section	.text._ZN9rocsparseL22csrmvn_adaptive_kernelIii21rocsparse_complex_numIfES2_S2_S2_EEvbT_PKS3_PjPKT0_NS_24const_host_device_scalarIT4_EES5_S9_PKT1_PKT2_SC_PT3_21rocsparse_index_base_b,"axG",@progbits,_ZN9rocsparseL22csrmvn_adaptive_kernelIii21rocsparse_complex_numIfES2_S2_S2_EEvbT_PKS3_PjPKT0_NS_24const_host_device_scalarIT4_EES5_S9_PKT1_PKT2_SC_PT3_21rocsparse_index_base_b,comdat
	.globl	_ZN9rocsparseL22csrmvn_adaptive_kernelIii21rocsparse_complex_numIfES2_S2_S2_EEvbT_PKS3_PjPKT0_NS_24const_host_device_scalarIT4_EES5_S9_PKT1_PKT2_SC_PT3_21rocsparse_index_base_b ; -- Begin function _ZN9rocsparseL22csrmvn_adaptive_kernelIii21rocsparse_complex_numIfES2_S2_S2_EEvbT_PKS3_PjPKT0_NS_24const_host_device_scalarIT4_EES5_S9_PKT1_PKT2_SC_PT3_21rocsparse_index_base_b
	.p2align	8
	.type	_ZN9rocsparseL22csrmvn_adaptive_kernelIii21rocsparse_complex_numIfES2_S2_S2_EEvbT_PKS3_PjPKT0_NS_24const_host_device_scalarIT4_EES5_S9_PKT1_PKT2_SC_PT3_21rocsparse_index_base_b,@function
_ZN9rocsparseL22csrmvn_adaptive_kernelIii21rocsparse_complex_numIfES2_S2_S2_EEvbT_PKS3_PjPKT0_NS_24const_host_device_scalarIT4_EES5_S9_PKT1_PKT2_SC_PT3_21rocsparse_index_base_b: ; @_ZN9rocsparseL22csrmvn_adaptive_kernelIii21rocsparse_complex_numIfES2_S2_S2_EEvbT_PKS3_PjPKT0_NS_24const_host_device_scalarIT4_EES5_S9_PKT1_PKT2_SC_PT3_21rocsparse_index_base_b
; %bb.0:
	s_load_dwordx2 s[42:43], s[4:5], 0x58
	s_load_dwordx2 s[8:9], s[4:5], 0x20
	;; [unrolled: 1-line block ×3, first 2 shown]
	s_waitcnt lgkmcnt(0)
	s_bitcmp1_b32 s43, 0
	s_cselect_b64 s[0:1], -1, 0
	s_xor_b64 s[10:11], s[0:1], -1
	s_and_b64 vcc, exec, s[0:1]
	v_mov_b32_e32 v4, s8
	s_cbranch_vccnz .LBB22_2
; %bb.1:
	v_pk_mov_b32 v[2:3], s[8:9], s[8:9] op_sel:[0,1]
	flat_load_dword v4, v[2:3]
.LBB22_2:
	v_cndmask_b32_e64 v1, 0, 1, s[10:11]
	v_cmp_ne_u32_e64 s[0:1], 1, v1
	s_andn2_b64 vcc, exec, s[10:11]
	v_mov_b32_e32 v5, s9
	s_cbranch_vccz .LBB22_38
; %bb.3:
	s_and_b64 vcc, exec, s[0:1]
	v_mov_b32_e32 v2, s2
	s_cbranch_vccz .LBB22_39
.LBB22_4:
	s_and_b64 vcc, exec, s[0:1]
	v_mov_b32_e32 v3, s3
	s_cbranch_vccnz .LBB22_6
.LBB22_5:
	v_pk_mov_b32 v[6:7], s[2:3], s[2:3] op_sel:[0,1]
	flat_load_dword v3, v[6:7] offset:4
.LBB22_6:
	s_waitcnt vmcnt(0) lgkmcnt(0)
	v_and_b32_e32 v1, 0x7fffffff, v4
	v_cmp_eq_u32_e32 vcc, 0, v1
	v_cmp_eq_f32_e64 s[0:1], 0, v5
	s_and_b64 s[8:9], vcc, s[0:1]
	s_mov_b64 s[0:1], -1
	s_and_saveexec_b64 s[2:3], s[8:9]
; %bb.7:
	v_and_b32_e32 v1, 0x7fffffff, v3
	v_cmp_neq_f32_e32 vcc, 1.0, v2
	v_cmp_ne_u32_e64 s[0:1], 0, v1
	s_or_b64 s[0:1], vcc, s[0:1]
	s_orn2_b64 s[0:1], s[0:1], exec
; %bb.8:
	s_or_b64 exec, exec, s[2:3]
	s_and_saveexec_b64 s[2:3], s[0:1]
	s_cbranch_execz .LBB22_136
; %bb.9:
	s_load_dwordx4 s[36:39], s[4:5], 0x0
	s_load_dwordx2 s[2:3], s[4:5], 0x18
	s_waitcnt lgkmcnt(0)
	s_bitcmp1_b32 s36, 0
	s_cselect_b64 s[0:1], -1, 0
	s_ashr_i32 s7, s6, 31
	s_lshl_b64 s[46:47], s[6:7], 2
	s_add_u32 s8, s38, s46
	s_addc_u32 s9, s39, s47
	s_load_dwordx2 s[38:39], s[8:9], 0x0
	s_load_dwordx2 s[34:35], s[4:5], 0x50
	s_load_dwordx8 s[24:31], s[4:5], 0x28
	s_waitcnt lgkmcnt(0)
	s_sub_i32 s7, s39, s38
	s_add_u32 s2, s2, s46
	s_mov_b32 s44, s38
	s_addc_u32 s3, s3, s47
	s_ashr_i32 s45, s38, 31
	s_load_dword s33, s[2:3], 0x0
	s_lshl_b64 s[2:3], s[44:45], 2
	s_add_u32 s40, s24, s2
	s_addc_u32 s41, s25, s3
	s_load_dword s36, s[40:41], 0x0
	s_cmp_lt_i32 s7, 2
	s_mov_b64 s[2:3], -1
	s_cbranch_scc0 .LBB22_81
; %bb.10:
	s_cmp_lg_u32 s7, 1
	s_cselect_b64 s[2:3], -1, 0
	s_waitcnt lgkmcnt(0)
	s_cmp_lg_u32 s33, 0
	s_cselect_b64 s[8:9], -1, 0
	s_or_b64 s[8:9], s[2:3], s[8:9]
	s_mov_b64 s[2:3], -1
	s_and_b64 vcc, exec, s[8:9]
	s_cbranch_vccnz .LBB22_41
; %bb.11:
	s_cmp_le_i32 s39, s38
	s_cbranch_scc1 .LBB22_40
; %bb.12:
	v_and_b32_e32 v7, 0x7fffffff, v2
	v_cmp_ne_u32_e32 vcc, 0, v7
	v_cmp_neq_f32_e64 s[22:23], 0, v3
	s_or_b64 s[48:49], vcc, s[22:23]
	s_add_u32 s7, s24, 4
	s_addc_u32 s43, s25, 0
	s_movk_i32 s2, 0x80
	s_add_u32 s56, s28, 4
	v_subrev_u32_e32 v1, s42, v0
	v_xor_b32_e32 v6, 0x80000000, v5
	v_lshlrev_b32_e32 v18, 3, v0
	v_cmp_gt_u32_e64 s[2:3], s2, v0
	v_cmp_gt_u32_e64 s[8:9], 64, v0
	;; [unrolled: 1-line block ×7, first 2 shown]
	v_cmp_eq_u32_e64 s[20:21], 0, v0
	v_xor_b32_e32 v8, 0x80000000, v3
	v_mov_b32_e32 v9, v2
	v_mov_b32_e32 v7, v4
	s_addc_u32 s57, s29, 0
	v_mov_b32_e32 v19, s31
	v_mov_b32_e32 v20, 0
	s_mov_b32 s58, s36
	s_mov_b32 s50, s38
	s_branch .LBB22_15
.LBB22_13:                              ;   in Loop: Header=BB22_15 Depth=1
	s_or_b64 exec, exec, s[52:53]
	s_lshl_b64 s[52:53], s[50:51], 3
	s_add_u32 s52, s34, s52
	s_addc_u32 s53, s35, s53
	s_waitcnt lgkmcnt(0)
	global_store_dwordx2 v20, v[10:11], s[52:53]
.LBB22_14:                              ;   in Loop: Header=BB22_15 Depth=1
	s_or_b64 exec, exec, s[22:23]
	s_add_i32 s50, s50, 1
	s_cmp_ge_i32 s50, s39
	s_cbranch_scc1 .LBB22_40
.LBB22_15:                              ; =>This Loop Header: Depth=1
                                        ;     Child Loop BB22_17 Depth 2
	s_ashr_i32 s51, s50, 31
	s_lshl_b64 s[22:23], s[50:51], 2
	s_add_u32 s22, s7, s22
	s_addc_u32 s23, s43, s23
	s_mov_b32 s52, s58
	s_load_dword s58, s[22:23], 0x0
	v_add_u32_e32 v10, s52, v1
	v_mov_b32_e32 v13, 0
	v_mov_b32_e32 v12, 0
	s_waitcnt lgkmcnt(0)
	s_sub_i32 s59, s58, s42
	v_cmp_gt_i32_e32 vcc, s59, v10
	s_and_saveexec_b64 s[52:53], vcc
	s_cbranch_execz .LBB22_19
; %bb.16:                               ;   in Loop: Header=BB22_15 Depth=1
	v_ashrrev_i32_e32 v11, 31, v10
	v_lshlrev_b64 v[12:13], 3, v[10:11]
	v_mov_b32_e32 v15, s57
	v_add_co_u32_e32 v14, vcc, s56, v12
	v_addc_co_u32_e32 v15, vcc, v15, v13, vcc
	v_lshlrev_b64 v[12:13], 2, v[10:11]
	v_mov_b32_e32 v11, s27
	v_add_co_u32_e32 v16, vcc, s26, v12
	v_mov_b32_e32 v12, 0
	v_addc_co_u32_e32 v17, vcc, v11, v13, vcc
	s_mov_b64 s[54:55], 0
	v_mov_b32_e32 v13, v12
.LBB22_17:                              ;   Parent Loop BB22_15 Depth=1
                                        ; =>  This Inner Loop Header: Depth=2
	global_load_dword v11, v[16:17], off
	global_load_dwordx2 v[22:23], v[14:15], off offset:-4
	v_add_u32_e32 v10, 0x100, v10
	v_cmp_le_i32_e64 s[22:23], s59, v10
	s_or_b64 s[54:55], s[22:23], s[54:55]
	s_waitcnt vmcnt(1)
	v_subrev_u32_e32 v24, s42, v11
	v_ashrrev_i32_e32 v25, 31, v24
	v_lshlrev_b64 v[24:25], 3, v[24:25]
	v_add_co_u32_e32 v24, vcc, s30, v24
	v_addc_co_u32_e32 v25, vcc, v19, v25, vcc
	global_load_dwordx2 v[24:25], v[24:25], off
	s_waitcnt vmcnt(1)
	v_cndmask_b32_e64 v26, v23, -v23, s[0:1]
	v_add_co_u32_e32 v14, vcc, 0x800, v14
	v_pk_mul_f32 v[26:27], v[26:27], v[6:7] op_sel_hi:[0,1]
	v_addc_co_u32_e32 v15, vcc, 0, v15, vcc
	v_pk_fma_f32 v[22:23], v[4:5], v[22:23], v[26:27] op_sel_hi:[1,0,1]
	v_add_co_u32_e32 v16, vcc, 0x400, v16
	v_addc_co_u32_e32 v17, vcc, 0, v17, vcc
	s_waitcnt vmcnt(0)
	v_pk_fma_f32 v[12:13], v[22:23], v[24:25], v[12:13] op_sel_hi:[1,0,1]
	v_pk_fma_f32 v[12:13], v[22:23], v[24:25], v[12:13] op_sel:[1,1,0] op_sel_hi:[0,1,1] neg_lo:[1,0,0]
	s_andn2_b64 exec, exec, s[54:55]
	s_cbranch_execnz .LBB22_17
; %bb.18:                               ;   in Loop: Header=BB22_15 Depth=1
	s_or_b64 exec, exec, s[54:55]
.LBB22_19:                              ;   in Loop: Header=BB22_15 Depth=1
	s_or_b64 exec, exec, s[52:53]
	ds_write_b64 v18, v[12:13]
	s_waitcnt lgkmcnt(0)
	s_barrier
	s_and_saveexec_b64 s[22:23], s[2:3]
	s_cbranch_execz .LBB22_21
; %bb.20:                               ;   in Loop: Header=BB22_15 Depth=1
	ds_read2st64_b64 v[10:13], v18 offset1:2
	s_waitcnt lgkmcnt(0)
	v_pk_add_f32 v[10:11], v[12:13], v[10:11]
	ds_write_b64 v18, v[10:11]
.LBB22_21:                              ;   in Loop: Header=BB22_15 Depth=1
	s_or_b64 exec, exec, s[22:23]
	s_waitcnt lgkmcnt(0)
	s_barrier
	s_and_saveexec_b64 s[22:23], s[8:9]
	s_cbranch_execz .LBB22_23
; %bb.22:                               ;   in Loop: Header=BB22_15 Depth=1
	ds_read2st64_b64 v[10:13], v18 offset1:1
	s_waitcnt lgkmcnt(0)
	v_pk_add_f32 v[10:11], v[12:13], v[10:11]
	ds_write_b64 v18, v[10:11]
.LBB22_23:                              ;   in Loop: Header=BB22_15 Depth=1
	s_or_b64 exec, exec, s[22:23]
	s_waitcnt lgkmcnt(0)
	s_barrier
	s_and_saveexec_b64 s[22:23], s[10:11]
	s_cbranch_execz .LBB22_25
; %bb.24:                               ;   in Loop: Header=BB22_15 Depth=1
	ds_read2_b64 v[10:13], v18 offset1:32
	s_waitcnt lgkmcnt(0)
	v_pk_add_f32 v[10:11], v[12:13], v[10:11]
	ds_write_b64 v18, v[10:11]
.LBB22_25:                              ;   in Loop: Header=BB22_15 Depth=1
	s_or_b64 exec, exec, s[22:23]
	s_waitcnt lgkmcnt(0)
	s_barrier
	s_and_saveexec_b64 s[22:23], s[12:13]
	s_cbranch_execz .LBB22_27
; %bb.26:                               ;   in Loop: Header=BB22_15 Depth=1
	ds_read2_b64 v[10:13], v18 offset1:16
	s_waitcnt lgkmcnt(0)
	v_pk_add_f32 v[10:11], v[12:13], v[10:11]
	ds_write_b64 v18, v[10:11]
.LBB22_27:                              ;   in Loop: Header=BB22_15 Depth=1
	;; [unrolled: 11-line block ×6, first 2 shown]
	s_or_b64 exec, exec, s[22:23]
	s_waitcnt lgkmcnt(0)
	s_barrier
	s_and_saveexec_b64 s[22:23], s[20:21]
	s_cbranch_execz .LBB22_14
; %bb.36:                               ;   in Loop: Header=BB22_15 Depth=1
	ds_read_b64 v[10:11], v20
	s_and_saveexec_b64 s[52:53], s[48:49]
	s_cbranch_execz .LBB22_13
; %bb.37:                               ;   in Loop: Header=BB22_15 Depth=1
	s_lshl_b64 s[54:55], s[50:51], 3
	s_add_u32 s54, s34, s54
	s_addc_u32 s55, s35, s55
	global_load_dwordx2 v[12:13], v20, s[54:55]
	s_waitcnt vmcnt(0) lgkmcnt(0)
	v_pk_fma_f32 v[10:11], v[2:3], v[12:13], v[10:11] op_sel_hi:[1,0,1]
	v_pk_fma_f32 v[10:11], v[8:9], v[12:13], v[10:11] op_sel:[0,1,0]
	s_branch .LBB22_13
.LBB22_38:
	v_pk_mov_b32 v[2:3], s[8:9], s[8:9] op_sel:[0,1]
	flat_load_dword v5, v[2:3] offset:4
	s_and_b64 vcc, exec, s[0:1]
	v_mov_b32_e32 v2, s2
	s_cbranch_vccnz .LBB22_4
.LBB22_39:
	v_pk_mov_b32 v[2:3], s[2:3], s[2:3] op_sel:[0,1]
	flat_load_dword v2, v[2:3]
	s_and_b64 vcc, exec, s[0:1]
	v_mov_b32_e32 v3, s3
	s_cbranch_vccz .LBB22_5
	s_branch .LBB22_6
.LBB22_40:
	s_mov_b64 s[2:3], 0
.LBB22_41:
	s_andn2_b64 vcc, exec, s[2:3]
	s_cbranch_vccnz .LBB22_80
; %bb.42:
	s_load_dwordx2 s[8:9], s[4:5], 0x10
	s_sub_i32 s6, s6, s33
	s_mov_b32 s2, 0
	v_or_b32_e32 v1, s33, v0
	s_mov_b32 s3, s2
	s_waitcnt lgkmcnt(0)
	s_add_u32 s4, s8, s46
	s_addc_u32 s5, s9, s47
	s_load_dword s14, s[4:5], 0x0
	v_cmp_eq_u32_e32 vcc, 0, v1
	v_pk_mov_b32 v[6:7], s[2:3], s[2:3] op_sel:[0,1]
	s_and_saveexec_b64 s[2:3], vcc
	s_cbranch_execz .LBB22_46
; %bb.43:
	s_lshl_b64 s[12:13], s[44:45], 3
	s_add_u32 s12, s34, s12
	s_addc_u32 s13, s35, s13
	v_mov_b32_e32 v1, 0
	global_load_dwordx2 v[6:7], v1, s[12:13]
	s_mov_b64 s[10:11], exec
	v_mbcnt_lo_u32_b32 v12, s10, 0
	v_add_f32_e32 v11, -1.0, v2
	v_xor_b32_e32 v10, 0x80000000, v3
	v_mbcnt_hi_u32_b32 v12, s11, v12
	v_mov_b32_e32 v9, v3
	v_mov_b32_e32 v8, v11
	v_cmp_eq_u32_e32 vcc, 0, v12
	s_waitcnt vmcnt(0) expcnt(0) lgkmcnt(0)
	v_pk_mul_f32 v[10:11], v[6:7], v[10:11] op_sel:[1,0]
	s_and_saveexec_b64 s[12:13], vcc
	s_cbranch_execz .LBB22_45
; %bb.44:
	s_ashr_i32 s7, s6, 31
	s_lshl_b64 s[16:17], s[6:7], 2
	s_add_u32 s16, s8, s16
	s_addc_u32 s17, s9, s17
	s_bcnt1_i32_b64 s7, s[10:11]
	s_and_b32 s7, s7, 1
	v_mov_b32_e32 v12, s7
	global_atomic_xor v1, v12, s[16:17]
.LBB22_45:
	s_or_b64 exec, exec, s[12:13]
	v_pk_fma_f32 v[6:7], v[8:9], v[6:7], v[10:11] op_sel_hi:[1,0,1]
.LBB22_46:
	s_or_b64 exec, exec, s[2:3]
	s_load_dword s3, s[40:41], 0x4
	s_mul_i32 s2, s33, 0xc00
	s_sub_i32 s7, s36, s42
	s_add_i32 s2, s7, s2
	v_add_u32_e32 v8, s2, v0
	s_waitcnt lgkmcnt(0)
	s_sub_i32 s3, s3, s42
	v_cmp_gt_i32_e32 vcc, s3, v8
	s_and_saveexec_b64 s[10:11], vcc
	s_cbranch_execz .LBB22_50
; %bb.47:
	v_ashrrev_i32_e32 v9, 31, v8
	v_lshlrev_b64 v[12:13], 3, v[8:9]
	v_mov_b32_e32 v1, s29
	v_add_co_u32_e32 v12, vcc, s28, v12
	v_addc_co_u32_e32 v1, vcc, v13, v1, vcc
	v_add_co_u32_e32 v12, vcc, 4, v12
	v_addc_co_u32_e32 v13, vcc, 0, v1, vcc
	v_lshlrev_b64 v[14:15], 2, v[8:9]
	s_addk_i32 s2, 0xc00
	v_mov_b32_e32 v1, s27
	v_add_co_u32_e32 v14, vcc, s26, v14
	s_min_i32 s7, s2, s3
	v_xor_b32_e32 v10, 0x80000000, v5
	v_mov_b32_e32 v11, v4
	v_addc_co_u32_e32 v15, vcc, v1, v15, vcc
	s_mov_b64 s[12:13], 0
	v_mov_b32_e32 v1, s31
.LBB22_48:                              ; =>This Inner Loop Header: Depth=1
	global_load_dword v9, v[14:15], off
	global_load_dwordx2 v[16:17], v[12:13], off offset:-4
	v_add_u32_e32 v8, 0x100, v8
	v_cmp_le_i32_e64 s[2:3], s7, v8
	s_or_b64 s[12:13], s[2:3], s[12:13]
	s_waitcnt vmcnt(1)
	v_subrev_u32_e32 v18, s42, v9
	v_ashrrev_i32_e32 v19, 31, v18
	v_lshlrev_b64 v[18:19], 3, v[18:19]
	v_add_co_u32_e32 v18, vcc, s30, v18
	v_addc_co_u32_e32 v19, vcc, v1, v19, vcc
	global_load_dwordx2 v[18:19], v[18:19], off
	s_waitcnt vmcnt(1)
	v_cndmask_b32_e64 v20, v17, -v17, s[0:1]
	v_add_co_u32_e32 v12, vcc, 0x800, v12
	v_pk_mul_f32 v[20:21], v[20:21], v[10:11] op_sel_hi:[0,1]
	v_addc_co_u32_e32 v13, vcc, 0, v13, vcc
	v_pk_fma_f32 v[16:17], v[4:5], v[16:17], v[20:21] op_sel_hi:[1,0,1]
	v_add_co_u32_e32 v14, vcc, 0x400, v14
	v_addc_co_u32_e32 v15, vcc, 0, v15, vcc
	s_waitcnt vmcnt(0)
	v_pk_fma_f32 v[6:7], v[16:17], v[18:19], v[6:7] op_sel_hi:[1,0,1]
	v_pk_fma_f32 v[6:7], v[16:17], v[18:19], v[6:7] op_sel:[1,1,0] op_sel_hi:[0,1,1] neg_lo:[1,0,0]
	s_andn2_b64 exec, exec, s[12:13]
	s_cbranch_execnz .LBB22_48
; %bb.49:
	s_or_b64 exec, exec, s[12:13]
.LBB22_50:
	s_or_b64 exec, exec, s[10:11]
	s_movk_i32 s2, 0x80
	v_lshlrev_b32_e32 v1, 3, v0
	v_cmp_gt_u32_e32 vcc, s2, v0
	ds_write_b64 v1, v[6:7]
	s_waitcnt lgkmcnt(0)
	s_barrier
	s_and_saveexec_b64 s[2:3], vcc
	s_cbranch_execz .LBB22_52
; %bb.51:
	ds_read2st64_b64 v[6:9], v1 offset1:2
	s_waitcnt lgkmcnt(0)
	v_pk_add_f32 v[6:7], v[8:9], v[6:7]
	ds_write_b64 v1, v[6:7]
.LBB22_52:
	s_or_b64 exec, exec, s[2:3]
	v_cmp_gt_u32_e32 vcc, 64, v0
	s_waitcnt lgkmcnt(0)
	s_barrier
	s_and_saveexec_b64 s[2:3], vcc
	s_cbranch_execz .LBB22_54
; %bb.53:
	ds_read2st64_b64 v[6:9], v1 offset1:1
	s_waitcnt lgkmcnt(0)
	v_pk_add_f32 v[6:7], v[8:9], v[6:7]
	ds_write_b64 v1, v[6:7]
.LBB22_54:
	s_or_b64 exec, exec, s[2:3]
	v_cmp_gt_u32_e32 vcc, 32, v0
	s_waitcnt lgkmcnt(0)
	s_barrier
	s_and_saveexec_b64 s[2:3], vcc
	s_cbranch_execz .LBB22_56
; %bb.55:
	ds_read2_b64 v[6:9], v1 offset1:32
	s_waitcnt lgkmcnt(0)
	v_pk_add_f32 v[6:7], v[8:9], v[6:7]
	ds_write_b64 v1, v[6:7]
.LBB22_56:
	s_or_b64 exec, exec, s[2:3]
	v_cmp_gt_u32_e32 vcc, 16, v0
	s_waitcnt lgkmcnt(0)
	s_barrier
	s_and_saveexec_b64 s[2:3], vcc
	s_cbranch_execz .LBB22_58
; %bb.57:
	ds_read2_b64 v[6:9], v1 offset1:16
	s_waitcnt lgkmcnt(0)
	v_pk_add_f32 v[6:7], v[8:9], v[6:7]
	ds_write_b64 v1, v[6:7]
.LBB22_58:
	;; [unrolled: 12-line block ×5, first 2 shown]
	s_or_b64 exec, exec, s[2:3]
	v_cmp_eq_u32_e32 vcc, 0, v0
	s_waitcnt lgkmcnt(0)
	s_barrier
	s_and_saveexec_b64 s[2:3], vcc
	s_cbranch_execz .LBB22_66
; %bb.65:
	v_mov_b32_e32 v1, 0
	ds_read2_b64 v[6:9], v1 offset1:1
	s_waitcnt lgkmcnt(0)
	v_pk_add_f32 v[6:7], v[8:9], v[6:7]
	ds_write_b64 v1, v[6:7]
.LBB22_66:
	s_or_b64 exec, exec, s[2:3]
	s_waitcnt lgkmcnt(0)
	s_barrier
	s_and_saveexec_b64 s[2:3], vcc
	s_cbranch_execz .LBB22_79
; %bb.67:
	s_cmp_eq_u32 s33, 0
	s_cbranch_scc1 .LBB22_73
; %bb.68:
	s_ashr_i32 s7, s6, 31
	s_lshl_b64 s[6:7], s[6:7], 2
	s_add_u32 s6, s8, s6
	s_addc_u32 s7, s9, s7
	v_mov_b32_e32 v1, 0
	s_branch .LBB22_70
.LBB22_69:                              ;   in Loop: Header=BB22_70 Depth=1
	s_or_b64 exec, exec, s[8:9]
	s_waitcnt vmcnt(0)
	v_readfirstlane_b32 s8, v6
	s_cmp_eq_u32 s8, s14
	s_cbranch_scc0 .LBB22_72
.LBB22_70:                              ; =>This Inner Loop Header: Depth=1
	v_mbcnt_lo_u32_b32 v6, exec_lo, 0
	v_mbcnt_hi_u32_b32 v6, exec_hi, v6
	v_cmp_eq_u32_e32 vcc, 0, v6
                                        ; implicit-def: $vgpr6
	s_and_saveexec_b64 s[8:9], vcc
	s_cbranch_execz .LBB22_69
; %bb.71:                               ;   in Loop: Header=BB22_70 Depth=1
	global_load_dword v6, v1, s[6:7] glc
	s_branch .LBB22_69
.LBB22_72:
	v_mov_b32_e32 v1, 0
	global_load_dword v6, v1, s[4:5]
	s_waitcnt vmcnt(0)
	v_xor_b32_e32 v6, 1, v6
	global_store_dword v1, v6, s[4:5]
.LBB22_73:
	v_mov_b32_e32 v1, 0
	ds_read_b64 v[6:7], v1
	s_mov_b64 s[8:9], exec
	s_lshl_b64 s[4:5], s[44:45], 3
	v_mbcnt_lo_u32_b32 v8, s8, 0
	s_add_u32 s4, s34, s4
	v_mbcnt_hi_u32_b32 v8, s9, v8
	s_addc_u32 s5, s35, s5
	v_cmp_eq_u32_e32 vcc, 0, v8
	s_and_saveexec_b64 s[6:7], vcc
	s_cbranch_execz .LBB22_76
; %bb.74:
	global_load_dword v9, v1, s[4:5]
	s_bcnt1_i32_b64 s8, s[8:9]
	v_cvt_f32_ubyte0_e32 v8, s8
	s_waitcnt lgkmcnt(0)
	v_mul_f32_e32 v6, v6, v8
	s_mov_b64 s[8:9], 0
.LBB22_75:                              ; =>This Inner Loop Header: Depth=1
	s_waitcnt vmcnt(0)
	v_add_f32_e32 v8, v9, v6
	global_atomic_cmpswap v8, v1, v[8:9], s[4:5] glc
	s_waitcnt vmcnt(0)
	v_cmp_eq_u32_e32 vcc, v8, v9
	s_or_b64 s[8:9], vcc, s[8:9]
	v_mov_b32_e32 v9, v8
	s_andn2_b64 exec, exec, s[8:9]
	s_cbranch_execnz .LBB22_75
.LBB22_76:
	s_or_b64 exec, exec, s[6:7]
	s_mov_b64 s[6:7], exec
	v_mbcnt_lo_u32_b32 v1, s6, 0
	v_mbcnt_hi_u32_b32 v1, s7, v1
	v_cmp_eq_u32_e32 vcc, 0, v1
	s_and_b64 s[8:9], exec, vcc
	s_mov_b64 exec, s[8:9]
	s_cbranch_execz .LBB22_79
; %bb.77:
	v_mov_b32_e32 v1, 0
	global_load_dword v9, v1, s[4:5] offset:4
	s_bcnt1_i32_b64 s6, s[6:7]
	s_waitcnt lgkmcnt(0)
	v_cvt_f32_ubyte0_e32 v6, s6
	v_mul_f32_e32 v6, v7, v6
	s_mov_b64 s[6:7], 0
.LBB22_78:                              ; =>This Inner Loop Header: Depth=1
	s_waitcnt vmcnt(0)
	v_add_f32_e32 v8, v9, v6
	global_atomic_cmpswap v7, v1, v[8:9], s[4:5] offset:4 glc
	s_waitcnt vmcnt(0)
	v_cmp_eq_u32_e32 vcc, v7, v9
	s_or_b64 s[6:7], vcc, s[6:7]
	v_mov_b32_e32 v9, v7
	s_andn2_b64 exec, exec, s[6:7]
	s_cbranch_execnz .LBB22_78
.LBB22_79:
	s_or_b64 exec, exec, s[2:3]
.LBB22_80:
	s_mov_b64 s[2:3], 0
.LBB22_81:
	s_andn2_b64 vcc, exec, s[2:3]
	s_cbranch_vccnz .LBB22_136
; %bb.82:
	v_subrev_u32_e32 v1, s42, v0
	s_waitcnt lgkmcnt(0)
	v_add_u32_e32 v6, s36, v1
	v_add_u32_e32 v1, 0x300, v6
	v_cmp_le_i32_e32 vcc, s37, v1
	s_and_saveexec_b64 s[2:3], vcc
	s_xor_b64 s[4:5], exec, s[2:3]
	s_cbranch_execz .LBB22_98
; %bb.83:
	s_ashr_i32 s3, s39, 31
	s_mov_b32 s2, s39
	s_lshl_b64 s[2:3], s[2:3], 2
	s_add_u32 s2, s24, s2
	s_addc_u32 s3, s25, s3
	s_load_dword s2, s[2:3], 0x0
	s_waitcnt lgkmcnt(0)
	s_sub_i32 s16, s2, s42
	v_cmp_gt_i32_e32 vcc, s16, v6
	s_and_saveexec_b64 s[6:7], vcc
	s_cbranch_execz .LBB22_97
; %bb.84:
	v_add_u32_e32 v1, s36, v0
	v_subrev_u32_e32 v1, s42, v1
	v_add_u32_e32 v1, 0x100, v1
	v_max_i32_e32 v1, s16, v1
	v_not_b32_e32 v7, v0
	v_add3_u32 v1, v1, s42, v7
	v_subrev_u32_e32 v7, s36, v1
	s_movk_i32 s2, 0x900
	v_cmp_gt_u32_e32 vcc, s2, v7
	s_movk_i32 s2, 0x8ff
	v_cmp_lt_u32_e64 s[2:3], s2, v7
	v_mov_b32_e32 v1, 0
	s_and_saveexec_b64 s[8:9], s[2:3]
	s_cbranch_execz .LBB22_94
; %bb.85:
	v_and_b32_e32 v1, 0xffffff00, v7
	v_add_u32_e32 v1, v6, v1
	v_cmp_ge_i32_e64 s[2:3], v1, v6
	s_mov_b64 s[12:13], -1
	v_mov_b32_e32 v1, 0
	s_and_saveexec_b64 s[10:11], s[2:3]
	s_cbranch_execz .LBB22_93
; %bb.86:
	v_lshrrev_b32_e32 v1, 8, v7
	v_xor_b32_e32 v8, 0x80000000, v5
	v_add_u32_e32 v7, -1, v1
	v_mov_b32_e32 v9, v8
	v_mov_b32_e32 v10, v4
	;; [unrolled: 1-line block ×5, first 2 shown]
	s_mov_b32 s17, s42
	v_cmp_lt_u32_e64 s[2:3], 1, v7
	v_mov_b32_e32 v18, 0x100
	v_mov_b32_e32 v19, 0
	s_and_saveexec_b64 s[12:13], s[2:3]
	s_cbranch_execz .LBB22_90
; %bb.87:
	v_lshrrev_b32_e32 v14, 1, v7
	v_add_u32_e32 v14, 1, v14
	v_and_b32_e32 v14, -2, v14
	s_movk_i32 s18, 0x100
	s_mov_b32 s19, 0
	s_mov_b64 s[14:15], 0
	v_mov_b32_e32 v15, s29
	v_mov_b32_e32 v16, s27
	;; [unrolled: 1-line block ×3, first 2 shown]
.LBB22_88:                              ; =>This Inner Loop Header: Depth=1
	v_add_u32_e32 v18, s19, v6
	v_ashrrev_i32_e32 v19, 31, v18
	v_add_u32_e32 v20, s18, v6
	v_lshlrev_b64 v[26:27], 2, v[18:19]
	s_add_i32 s21, s19, 0x200
	v_ashrrev_i32_e32 v21, 31, v20
	v_add_co_u32_e64 v26, s[2:3], s26, v26
	v_add_u32_e32 v22, s21, v6
	v_lshlrev_b64 v[28:29], 2, v[20:21]
	v_addc_co_u32_e64 v27, s[2:3], v16, v27, s[2:3]
	s_add_i32 s20, s18, 0x200
	v_ashrrev_i32_e32 v23, 31, v22
	v_add_co_u32_e64 v28, s[2:3], s26, v28
	v_add_u32_e32 v24, s20, v6
	v_addc_co_u32_e64 v29, s[2:3], v16, v29, s[2:3]
	v_lshlrev_b64 v[30:31], 2, v[22:23]
	global_load_dword v34, v[26:27], off
	global_load_dword v35, v[28:29], off
	v_ashrrev_i32_e32 v25, 31, v24
	v_add_co_u32_e64 v26, s[2:3], s26, v30
	v_lshlrev_b64 v[32:33], 2, v[24:25]
	v_addc_co_u32_e64 v27, s[2:3], v16, v31, s[2:3]
	v_add_co_u32_e64 v28, s[2:3], s26, v32
	v_addc_co_u32_e64 v29, s[2:3], v16, v33, s[2:3]
	global_load_dword v30, v[26:27], off
	global_load_dword v31, v[28:29], off
	v_lshlrev_b64 v[18:19], 3, v[18:19]
	v_add_co_u32_e64 v18, s[2:3], s28, v18
	v_lshlrev_b64 v[20:21], 3, v[20:21]
	v_addc_co_u32_e64 v19, s[2:3], v15, v19, s[2:3]
	v_add_co_u32_e64 v20, s[2:3], s28, v20
	v_addc_co_u32_e64 v21, s[2:3], v15, v21, s[2:3]
	v_lshlrev_b64 v[22:23], 3, v[22:23]
	global_load_dwordx2 v[26:27], v[18:19], off
	global_load_dwordx2 v[28:29], v[20:21], off
	v_add_co_u32_e64 v18, s[2:3], s28, v22
	v_lshlrev_b64 v[24:25], 3, v[24:25]
	v_addc_co_u32_e64 v19, s[2:3], v15, v23, s[2:3]
	v_add_co_u32_e64 v20, s[2:3], s28, v24
	v_addc_co_u32_e64 v21, s[2:3], v15, v25, s[2:3]
	global_load_dwordx2 v[22:23], v[18:19], off
	global_load_dwordx2 v[24:25], v[20:21], off
	v_add_u32_e32 v14, -2, v14
	v_add_lshl_u32 v42, s19, v0, 3
	v_add_lshl_u32 v43, s18, v0, 3
	s_addk_i32 s19, 0x400
	s_addk_i32 s18, 0x400
	v_add_lshl_u32 v44, s21, v0, 3
	v_add_lshl_u32 v45, s20, v0, 3
	s_waitcnt vmcnt(7)
	v_subrev_u32_e32 v18, s42, v34
	v_ashrrev_i32_e32 v19, 31, v18
	s_waitcnt vmcnt(6)
	v_subrev_u32_e32 v20, s17, v35
	v_lshlrev_b64 v[18:19], 3, v[18:19]
	v_ashrrev_i32_e32 v21, 31, v20
	v_add_co_u32_e64 v18, s[2:3], s30, v18
	v_lshlrev_b64 v[20:21], 3, v[20:21]
	v_addc_co_u32_e64 v19, s[2:3], v17, v19, s[2:3]
	v_add_co_u32_e64 v20, s[2:3], s30, v20
	s_waitcnt vmcnt(5)
	v_subrev_u32_e32 v30, s42, v30
	s_waitcnt vmcnt(4)
	v_subrev_u32_e32 v32, s17, v31
	v_ashrrev_i32_e32 v31, 31, v30
	v_addc_co_u32_e64 v21, s[2:3], v17, v21, s[2:3]
	v_lshlrev_b64 v[30:31], 3, v[30:31]
	v_ashrrev_i32_e32 v33, 31, v32
	global_load_dwordx2 v[34:35], v[18:19], off
	global_load_dwordx2 v[36:37], v[20:21], off
	v_add_co_u32_e64 v18, s[2:3], s30, v30
	v_lshlrev_b64 v[32:33], 3, v[32:33]
	v_addc_co_u32_e64 v19, s[2:3], v17, v31, s[2:3]
	v_add_co_u32_e64 v20, s[2:3], s30, v32
	v_addc_co_u32_e64 v21, s[2:3], v17, v33, s[2:3]
	global_load_dwordx2 v[30:31], v[18:19], off
	global_load_dwordx2 v[32:33], v[20:21], off
	s_waitcnt vmcnt(6)
	v_mov_b32_e32 v21, v28
	v_mov_b32_e32 v28, v27
	v_pk_add_f32 v[38:39], v[28:29], 0 neg_lo:[1,1] neg_hi:[1,1]
	v_mov_b32_e32 v20, v26
	s_waitcnt vmcnt(4)
	v_mov_b32_e32 v41, v24
	v_mov_b32_e32 v24, v23
	v_cndmask_b32_e64 v29, v29, v39, s[0:1]
	v_cndmask_b32_e64 v28, v27, v38, s[0:1]
	v_pk_add_f32 v[26:27], v[24:25], 0 neg_lo:[1,1] neg_hi:[1,1]
	v_pk_mul_f32 v[38:39], v[28:29], v[8:9]
	v_pk_mul_f32 v[28:29], v[28:29], v[10:11]
	v_cndmask_b32_e64 v25, v25, v27, s[0:1]
	v_cndmask_b32_e64 v24, v23, v26, s[0:1]
	v_mov_b32_e32 v40, v22
	v_pk_fma_f32 v[22:23], v[10:11], v[20:21], v[38:39]
	v_pk_fma_f32 v[20:21], v[12:13], v[20:21], v[28:29]
	v_pk_mul_f32 v[26:27], v[24:25], v[8:9]
	v_pk_mul_f32 v[24:25], v[24:25], v[10:11]
	v_pk_fma_f32 v[26:27], v[10:11], v[40:41], v[26:27]
	v_pk_fma_f32 v[24:25], v[12:13], v[40:41], v[24:25]
	v_cmp_eq_u32_e64 s[2:3], 0, v14
	v_mov_b32_e32 v19, s19
	v_mov_b32_e32 v18, s18
	s_or_b64 s[14:15], s[2:3], s[14:15]
	s_waitcnt vmcnt(3)
	v_mov_b32_e32 v28, v34
	s_waitcnt vmcnt(2)
	v_mov_b32_e32 v29, v36
	v_mov_b32_e32 v36, v35
	v_pk_mul_f32 v[34:35], v[36:37], v[20:21] neg_lo:[0,1] neg_hi:[0,1]
	v_pk_mul_f32 v[36:37], v[36:37], v[22:23]
	v_pk_fma_f32 v[22:23], v[22:23], v[28:29], v[34:35]
	v_pk_fma_f32 v[20:21], v[20:21], v[28:29], v[36:37]
	s_waitcnt vmcnt(1)
	v_mov_b32_e32 v38, v30
	s_waitcnt vmcnt(0)
	v_mov_b32_e32 v39, v32
	v_mov_b32_e32 v32, v31
	v_pk_mul_f32 v[28:29], v[32:33], v[24:25] neg_lo:[0,1] neg_hi:[0,1]
	v_pk_mul_f32 v[30:31], v[32:33], v[26:27]
	v_mov_b32_e32 v32, v22
	v_mov_b32_e32 v33, v20
	;; [unrolled: 1-line block ×3, first 2 shown]
	v_pk_fma_f32 v[22:23], v[26:27], v[38:39], v[28:29]
	v_pk_fma_f32 v[24:25], v[24:25], v[38:39], v[30:31]
	ds_write_b64 v42, v[32:33]
	ds_write_b64 v43, v[20:21]
	v_mov_b32_e32 v20, v22
	v_mov_b32_e32 v21, v24
	;; [unrolled: 1-line block ×3, first 2 shown]
	ds_write_b64 v44, v[20:21]
	ds_write_b64 v45, v[24:25]
	s_andn2_b64 exec, exec, s[14:15]
	s_cbranch_execnz .LBB22_88
; %bb.89:
	s_or_b64 exec, exec, s[14:15]
.LBB22_90:
	s_or_b64 exec, exec, s[12:13]
	v_and_b32_e32 v7, 2, v7
	v_cmp_eq_u32_e64 s[2:3], 0, v7
	s_and_saveexec_b64 s[12:13], s[2:3]
	s_cbranch_execz .LBB22_92
; %bb.91:
	v_add_u32_e32 v14, v19, v6
	v_ashrrev_i32_e32 v15, 31, v14
	v_add_u32_e32 v6, v18, v6
	v_lshlrev_b64 v[16:17], 2, v[14:15]
	v_ashrrev_i32_e32 v7, 31, v6
	v_mov_b32_e32 v22, s27
	v_add_co_u32_e64 v16, s[2:3], s26, v16
	v_addc_co_u32_e64 v17, s[2:3], v22, v17, s[2:3]
	v_lshlrev_b64 v[20:21], 2, v[6:7]
	v_add_co_u32_e64 v20, s[2:3], s26, v20
	v_addc_co_u32_e64 v21, s[2:3], v22, v21, s[2:3]
	global_load_dword v22, v[16:17], off
	global_load_dword v23, v[20:21], off
	v_lshlrev_b64 v[14:15], 3, v[14:15]
	v_mov_b32_e32 v16, s29
	v_add_co_u32_e64 v14, s[2:3], s28, v14
	v_lshlrev_b64 v[6:7], 3, v[6:7]
	v_addc_co_u32_e64 v15, s[2:3], v16, v15, s[2:3]
	v_add_co_u32_e64 v6, s[2:3], s28, v6
	v_addc_co_u32_e64 v7, s[2:3], v16, v7, s[2:3]
	global_load_dwordx2 v[16:17], v[14:15], off
	global_load_dwordx2 v[20:21], v[6:7], off
	v_mov_b32_e32 v24, s31
	v_add_lshl_u32 v19, v19, v0, 3
	v_add_lshl_u32 v18, v18, v0, 3
	s_waitcnt vmcnt(3)
	v_subrev_u32_e32 v6, s42, v22
	v_ashrrev_i32_e32 v7, 31, v6
	s_waitcnt vmcnt(2)
	v_subrev_u32_e32 v14, s17, v23
	v_lshlrev_b64 v[6:7], 3, v[6:7]
	v_ashrrev_i32_e32 v15, 31, v14
	v_add_co_u32_e64 v6, s[2:3], s30, v6
	v_lshlrev_b64 v[14:15], 3, v[14:15]
	v_addc_co_u32_e64 v7, s[2:3], v24, v7, s[2:3]
	v_add_co_u32_e64 v14, s[2:3], s30, v14
	v_addc_co_u32_e64 v15, s[2:3], v24, v15, s[2:3]
	global_load_dwordx2 v[22:23], v[6:7], off
	global_load_dwordx2 v[24:25], v[14:15], off
	s_waitcnt vmcnt(2)
	v_mov_b32_e32 v7, v20
	v_mov_b32_e32 v20, v17
	v_pk_add_f32 v[14:15], v[20:21], 0 neg_lo:[1,1] neg_hi:[1,1]
	v_cndmask_b32_e64 v15, v21, v15, s[0:1]
	v_cndmask_b32_e64 v14, v17, v14, s[0:1]
	v_mov_b32_e32 v6, v16
	v_pk_mul_f32 v[8:9], v[14:15], v[8:9]
	v_pk_mul_f32 v[14:15], v[14:15], v[10:11]
	v_pk_fma_f32 v[8:9], v[10:11], v[6:7], v[8:9]
	v_pk_fma_f32 v[6:7], v[12:13], v[6:7], v[14:15]
	s_waitcnt vmcnt(1)
	v_mov_b32_e32 v10, v22
	s_waitcnt vmcnt(0)
	v_mov_b32_e32 v11, v24
	v_mov_b32_e32 v24, v23
	v_pk_mul_f32 v[12:13], v[24:25], v[6:7] neg_lo:[0,1] neg_hi:[0,1]
	v_pk_mul_f32 v[14:15], v[24:25], v[8:9]
	v_pk_fma_f32 v[8:9], v[8:9], v[10:11], v[12:13]
	v_pk_fma_f32 v[6:7], v[6:7], v[10:11], v[14:15]
	v_mov_b32_e32 v10, v8
	v_mov_b32_e32 v11, v6
	;; [unrolled: 1-line block ×3, first 2 shown]
	ds_write_b64 v19, v[10:11]
	ds_write_b64 v18, v[6:7]
.LBB22_92:
	s_or_b64 exec, exec, s[12:13]
	v_add_u32_e32 v6, 1, v1
	v_and_b32_e32 v7, 0x1fffffe, v6
	v_cmp_ne_u32_e64 s[2:3], v6, v7
	v_lshlrev_b32_e32 v1, 8, v7
	s_orn2_b64 s[12:13], s[2:3], exec
.LBB22_93:
	s_or_b64 exec, exec, s[10:11]
	s_andn2_b64 s[2:3], vcc, exec
	s_and_b64 s[10:11], s[12:13], exec
	s_or_b64 vcc, s[2:3], s[10:11]
.LBB22_94:
	s_or_b64 exec, exec, s[8:9]
	s_and_b64 exec, exec, vcc
	s_cbranch_execz .LBB22_97
; %bb.95:
	v_add_u32_e32 v1, v0, v1
	v_add_u32_e32 v8, s36, v1
	v_xor_b32_e32 v6, 0x80000000, v5
	v_mov_b32_e32 v7, v4
	v_subrev_u32_e32 v8, s42, v8
	v_lshlrev_b32_e32 v1, 3, v1
	s_mov_b64 s[2:3], 0
	v_mov_b32_e32 v10, s29
	v_mov_b32_e32 v11, s27
	;; [unrolled: 1-line block ×3, first 2 shown]
.LBB22_96:                              ; =>This Inner Loop Header: Depth=1
	v_ashrrev_i32_e32 v9, 31, v8
	v_lshlrev_b64 v[14:15], 2, v[8:9]
	v_add_co_u32_e32 v14, vcc, s26, v14
	v_addc_co_u32_e32 v15, vcc, v11, v15, vcc
	global_load_dword v13, v[14:15], off
	v_lshlrev_b64 v[14:15], 3, v[8:9]
	v_add_co_u32_e32 v14, vcc, s28, v14
	v_addc_co_u32_e32 v15, vcc, v10, v15, vcc
	global_load_dwordx2 v[14:15], v[14:15], off
	v_add_u32_e32 v8, 0x100, v8
	s_waitcnt vmcnt(1)
	v_subrev_u32_e32 v16, s42, v13
	v_ashrrev_i32_e32 v17, 31, v16
	v_lshlrev_b64 v[16:17], 3, v[16:17]
	v_add_co_u32_e32 v16, vcc, s30, v16
	v_addc_co_u32_e32 v17, vcc, v12, v17, vcc
	global_load_dwordx2 v[16:17], v[16:17], off
	s_waitcnt vmcnt(1)
	v_cndmask_b32_e64 v18, v15, -v15, s[0:1]
	v_pk_mul_f32 v[18:19], v[18:19], v[6:7] op_sel_hi:[0,1]
	v_pk_fma_f32 v[14:15], v[4:5], v[14:15], v[18:19] op_sel_hi:[1,0,1]
	v_cmp_le_i32_e32 vcc, s16, v8
	s_or_b64 s[2:3], vcc, s[2:3]
	s_waitcnt vmcnt(0)
	v_pk_mul_f32 v[18:19], v[16:17], v[14:15] op_sel:[1,1] op_sel_hi:[1,0] neg_lo:[0,1]
	v_pk_fma_f32 v[14:15], v[14:15], v[16:17], v[18:19] op_sel_hi:[1,0,1]
	ds_write_b64 v1, v[14:15]
	v_add_u32_e32 v1, 0x800, v1
	s_andn2_b64 exec, exec, s[2:3]
	s_cbranch_execnz .LBB22_96
.LBB22_97:
	s_or_b64 exec, exec, s[6:7]
                                        ; implicit-def: $vgpr5
                                        ; implicit-def: $vgpr6
.LBB22_98:
	s_or_saveexec_b64 s[2:3], s[4:5]
	v_lshlrev_b32_e32 v12, 3, v0
	s_xor_b64 exec, exec, s[2:3]
	s_cbranch_execz .LBB22_100
; %bb.99:
	v_ashrrev_i32_e32 v7, 31, v6
	v_lshlrev_b64 v[8:9], 2, v[6:7]
	v_mov_b32_e32 v1, s27
	v_add_co_u32_e32 v8, vcc, s26, v8
	v_addc_co_u32_e32 v9, vcc, v1, v9, vcc
	global_load_dword v1, v[8:9], off
	global_load_dword v13, v[8:9], off offset:1024
	global_load_dword v19, v[8:9], off offset:2048
	;; [unrolled: 1-line block ×3, first 2 shown]
	v_lshlrev_b64 v[6:7], 3, v[6:7]
	v_mov_b32_e32 v8, s29
	v_add_co_u32_e32 v6, vcc, s28, v6
	s_movk_i32 s4, 0x1000
	v_addc_co_u32_e32 v7, vcc, v8, v7, vcc
	global_load_dwordx2 v[8:9], v[6:7], off
	global_load_dwordx2 v[10:11], v[6:7], off offset:2048
	v_add_co_u32_e32 v6, vcc, s4, v6
	v_addc_co_u32_e32 v7, vcc, 0, v7, vcc
	global_load_dwordx2 v[14:15], v[6:7], off
	global_load_dwordx2 v[16:17], v[6:7], off offset:2048
	v_mov_b32_e32 v24, s31
	s_waitcnt vmcnt(7)
	v_subrev_u32_e32 v6, s42, v1
	v_ashrrev_i32_e32 v7, 31, v6
	s_waitcnt vmcnt(6)
	v_subrev_u32_e32 v18, s42, v13
	v_lshlrev_b64 v[6:7], 3, v[6:7]
	s_waitcnt vmcnt(5)
	v_subrev_u32_e32 v20, s42, v19
	v_ashrrev_i32_e32 v19, 31, v18
	v_add_co_u32_e32 v6, vcc, s30, v6
	v_lshlrev_b64 v[18:19], 3, v[18:19]
	v_addc_co_u32_e32 v7, vcc, v24, v7, vcc
	s_waitcnt vmcnt(4)
	v_subrev_u32_e32 v22, s42, v21
	v_ashrrev_i32_e32 v21, 31, v20
	v_add_co_u32_e32 v18, vcc, s30, v18
	v_lshlrev_b64 v[20:21], 3, v[20:21]
	v_addc_co_u32_e32 v19, vcc, v24, v19, vcc
	v_ashrrev_i32_e32 v23, 31, v22
	v_add_co_u32_e32 v20, vcc, s30, v20
	v_lshlrev_b64 v[22:23], 3, v[22:23]
	v_addc_co_u32_e32 v21, vcc, v24, v21, vcc
	v_add_co_u32_e32 v22, vcc, s30, v22
	v_addc_co_u32_e32 v23, vcc, v24, v23, vcc
	global_load_dwordx2 v[24:25], v[6:7], off
	global_load_dwordx2 v[26:27], v[18:19], off
	;; [unrolled: 1-line block ×4, first 2 shown]
	v_xor_b32_e32 v6, 0x80000000, v5
	v_mov_b32_e32 v7, v4
	s_waitcnt vmcnt(7)
	v_cndmask_b32_e64 v18, v9, -v9, s[0:1]
	s_waitcnt vmcnt(6)
	v_cndmask_b32_e64 v20, v11, -v11, s[0:1]
	v_pk_mul_f32 v[18:19], v[18:19], v[6:7] op_sel_hi:[0,1]
	v_pk_mul_f32 v[20:21], v[20:21], v[6:7] op_sel_hi:[0,1]
	s_waitcnt vmcnt(5)
	v_cndmask_b32_e64 v22, v15, -v15, s[0:1]
	s_waitcnt vmcnt(4)
	v_cndmask_b32_e64 v32, v17, -v17, s[0:1]
	v_pk_fma_f32 v[8:9], v[4:5], v[8:9], v[18:19] op_sel_hi:[1,0,1]
	v_pk_fma_f32 v[10:11], v[4:5], v[10:11], v[20:21] op_sel_hi:[1,0,1]
	v_pk_mul_f32 v[18:19], v[22:23], v[6:7] op_sel_hi:[0,1]
	v_pk_mul_f32 v[6:7], v[32:33], v[6:7] op_sel_hi:[0,1]
	v_pk_fma_f32 v[14:15], v[4:5], v[14:15], v[18:19] op_sel_hi:[1,0,1]
	v_pk_fma_f32 v[4:5], v[4:5], v[16:17], v[6:7] op_sel_hi:[1,0,1]
	s_waitcnt vmcnt(3)
	v_pk_mul_f32 v[6:7], v[24:25], v[8:9] op_sel:[1,1] op_sel_hi:[1,0] neg_lo:[0,1]
	s_waitcnt vmcnt(2)
	v_pk_mul_f32 v[16:17], v[26:27], v[10:11] op_sel:[1,1] op_sel_hi:[1,0] neg_lo:[0,1]
	;; [unrolled: 2-line block ×4, first 2 shown]
	v_pk_fma_f32 v[6:7], v[8:9], v[24:25], v[6:7] op_sel_hi:[1,0,1]
	v_pk_fma_f32 v[8:9], v[10:11], v[26:27], v[16:17] op_sel_hi:[1,0,1]
	;; [unrolled: 1-line block ×4, first 2 shown]
	ds_write2st64_b64 v12, v[6:7], v[8:9] offset1:4
	ds_write2st64_b64 v12, v[10:11], v[4:5] offset0:8 offset1:12
.LBB22_100:
	s_or_b64 exec, exec, s[2:3]
	s_cmp_lt_i32 s33, 2
	s_mov_b64 s[0:1], -1
	s_waitcnt lgkmcnt(0)
	s_barrier
	s_cbranch_scc0 .LBB22_111
; %bb.101:
	v_add_u32_e32 v4, s38, v0
	v_cmp_gt_i32_e32 vcc, s39, v4
	s_and_saveexec_b64 s[2:3], vcc
	s_cbranch_execz .LBB22_110
; %bb.102:
	v_and_b32_e32 v1, 0x7fffffff, v2
	v_cmp_ne_u32_e32 vcc, 0, v1
	v_cmp_neq_f32_e64 s[0:1], 0, v3
	s_lshl_b32 s5, s36, 3
	s_mov_b32 s4, 0
	s_or_b64 s[0:1], vcc, s[0:1]
	v_xor_b32_e32 v6, 0x80000000, v3
	v_mov_b32_e32 v7, v2
	s_sub_i32 s12, 0, s5
	s_mov_b64 s[6:7], 0
	v_mov_b32_e32 v1, s25
	v_mov_b32_e32 v13, s35
	s_branch .LBB22_104
.LBB22_103:                             ;   in Loop: Header=BB22_104 Depth=1
	s_or_b64 exec, exec, s[8:9]
	v_add_co_u32_e32 v10, vcc, s34, v10
	v_addc_co_u32_e32 v11, vcc, v13, v11, vcc
	v_add_u32_e32 v4, 0x100, v4
	v_cmp_le_i32_e32 vcc, s39, v4
	s_or_b64 s[6:7], vcc, s[6:7]
	global_store_dwordx2 v[10:11], v[8:9], off
	s_andn2_b64 exec, exec, s[6:7]
	s_cbranch_execz .LBB22_110
.LBB22_104:                             ; =>This Loop Header: Depth=1
                                        ;     Child Loop BB22_106 Depth 2
	v_ashrrev_i32_e32 v5, 31, v4
	v_lshlrev_b64 v[8:9], 2, v[4:5]
	v_add_co_u32_e32 v8, vcc, s24, v8
	v_addc_co_u32_e32 v9, vcc, v1, v9, vcc
	global_load_dwordx2 v[10:11], v[8:9], off
	s_mov_b32 s5, s4
	v_pk_mov_b32 v[8:9], s[4:5], s[4:5] op_sel:[0,1]
	s_waitcnt vmcnt(0)
	v_cmp_lt_i32_e32 vcc, v10, v11
	s_and_saveexec_b64 s[8:9], vcc
	s_cbranch_execz .LBB22_108
; %bb.105:                              ;   in Loop: Header=BB22_104 Depth=1
	v_mov_b32_e32 v8, 0
	v_subrev_u32_e32 v11, s36, v11
	v_subrev_u32_e32 v14, s36, v10
	v_lshl_add_u32 v10, v10, 3, s12
	s_mov_b64 s[10:11], 0
	v_mov_b32_e32 v9, v8
.LBB22_106:                             ;   Parent Loop BB22_104 Depth=1
                                        ; =>  This Inner Loop Header: Depth=2
	ds_read_b64 v[16:17], v10
	v_add_u32_e32 v14, 1, v14
	v_cmp_ge_i32_e32 vcc, v14, v11
	v_add_u32_e32 v10, 8, v10
	s_or_b64 s[10:11], vcc, s[10:11]
	s_waitcnt lgkmcnt(0)
	v_pk_add_f32 v[8:9], v[8:9], v[16:17]
	s_andn2_b64 exec, exec, s[10:11]
	s_cbranch_execnz .LBB22_106
; %bb.107:                              ;   in Loop: Header=BB22_104 Depth=1
	s_or_b64 exec, exec, s[10:11]
.LBB22_108:                             ;   in Loop: Header=BB22_104 Depth=1
	s_or_b64 exec, exec, s[8:9]
	v_lshlrev_b64 v[10:11], 3, v[4:5]
	s_and_saveexec_b64 s[8:9], s[0:1]
	s_cbranch_execz .LBB22_103
; %bb.109:                              ;   in Loop: Header=BB22_104 Depth=1
	v_mov_b32_e32 v5, s35
	v_add_co_u32_e32 v14, vcc, s34, v10
	v_addc_co_u32_e32 v15, vcc, v5, v11, vcc
	global_load_dwordx2 v[14:15], v[14:15], off
	s_waitcnt vmcnt(0)
	v_pk_fma_f32 v[8:9], v[2:3], v[14:15], v[8:9] op_sel_hi:[1,0,1]
	v_pk_fma_f32 v[8:9], v[6:7], v[14:15], v[8:9] op_sel:[0,1,0]
	s_branch .LBB22_103
.LBB22_110:
	s_or_b64 exec, exec, s[2:3]
	s_mov_b64 s[0:1], 0
.LBB22_111:
	s_andn2_b64 vcc, exec, s[0:1]
	s_cbranch_vccnz .LBB22_136
; %bb.112:
	s_flbit_i32_b32 s0, s33
	s_xor_b32 s0, s0, 31
	v_lshrrev_b32_e32 v6, s0, v0
	s_mov_b32 s4, 0
	v_add_u32_e32 v4, s38, v6
	s_add_i32 s0, s33, -1
	s_mov_b32 s5, s4
	v_and_b32_e32 v5, s0, v0
	v_cmp_le_i32_e32 vcc, s39, v4
	v_cmp_gt_i32_e64 s[0:1], s39, v4
	v_pk_mov_b32 v[0:1], s[4:5], s[4:5] op_sel:[0,1]
	s_and_saveexec_b64 s[2:3], s[0:1]
	s_cbranch_execz .LBB22_118
; %bb.113:
	v_lshlrev_b32_e32 v0, 2, v6
	global_load_dwordx2 v[0:1], v0, s[40:41]
	v_subrev_u32_e32 v7, s36, v5
	s_waitcnt vmcnt(0)
	v_subrev_u32_e32 v6, s36, v1
	v_add_u32_e32 v7, v0, v7
	v_cmp_lt_i32_e64 s[0:1], v7, v6
	v_pk_mov_b32 v[0:1], s[4:5], s[4:5] op_sel:[0,1]
	s_and_saveexec_b64 s[4:5], s[0:1]
	s_cbranch_execz .LBB22_117
; %bb.114:
	v_mov_b32_e32 v0, 0
	v_lshlrev_b32_e32 v8, 3, v7
	s_lshl_b32 s8, s33, 3
	s_mov_b64 s[6:7], 0
	v_mov_b32_e32 v1, v0
.LBB22_115:                             ; =>This Inner Loop Header: Depth=1
	ds_read_b64 v[10:11], v8
	v_add_u32_e32 v7, s33, v7
	v_cmp_ge_i32_e64 s[0:1], v7, v6
	v_add_u32_e32 v8, s8, v8
	s_or_b64 s[6:7], s[0:1], s[6:7]
	s_waitcnt lgkmcnt(0)
	v_pk_add_f32 v[0:1], v[0:1], v[10:11]
	s_andn2_b64 exec, exec, s[6:7]
	s_cbranch_execnz .LBB22_115
; %bb.116:
	s_or_b64 exec, exec, s[6:7]
.LBB22_117:
	s_or_b64 exec, exec, s[4:5]
.LBB22_118:
	s_or_b64 exec, exec, s[2:3]
	s_cmpk_lt_i32 s33, 0x81
	s_barrier
	ds_write_b64 v12, v[0:1]
	s_waitcnt lgkmcnt(0)
	s_barrier
	s_cbranch_scc1 .LBB22_120
; %bb.119:
	ds_read_b64 v[6:7], v12 offset:1024
	s_waitcnt lgkmcnt(0)
	s_barrier
	v_pk_add_f32 v[0:1], v[0:1], v[6:7]
	ds_write_b64 v12, v[0:1]
.LBB22_120:
	s_cmpk_lt_i32 s33, 0x41
	s_waitcnt lgkmcnt(0)
	s_barrier
	s_cbranch_scc1 .LBB22_122
; %bb.121:
	ds_read_b64 v[6:7], v12 offset:512
	s_waitcnt lgkmcnt(0)
	s_barrier
	v_pk_add_f32 v[0:1], v[0:1], v[6:7]
	ds_write_b64 v12, v[0:1]
.LBB22_122:
	s_cmp_lt_i32 s33, 33
	s_waitcnt lgkmcnt(0)
	s_barrier
	s_cbranch_scc1 .LBB22_124
; %bb.123:
	ds_read_b64 v[6:7], v12 offset:256
	s_waitcnt lgkmcnt(0)
	s_barrier
	v_pk_add_f32 v[0:1], v[0:1], v[6:7]
	ds_write_b64 v12, v[0:1]
.LBB22_124:
	s_cmp_lt_i32 s33, 17
	;; [unrolled: 11-line block ×4, first 2 shown]
	s_waitcnt lgkmcnt(0)
	s_barrier
	s_cbranch_scc1 .LBB22_130
; %bb.129:
	ds_read_b64 v[6:7], v12 offset:32
	s_waitcnt lgkmcnt(0)
	s_barrier
	v_pk_add_f32 v[0:1], v[0:1], v[6:7]
	ds_write_b64 v12, v[0:1]
.LBB22_130:
	s_cmp_eq_u32 s33, 2
	s_waitcnt lgkmcnt(0)
	s_barrier
	s_cbranch_scc1 .LBB22_132
; %bb.131:
	ds_read_b64 v[6:7], v12 offset:16
	s_waitcnt lgkmcnt(0)
	s_barrier
	v_pk_add_f32 v[0:1], v[0:1], v[6:7]
	ds_write_b64 v12, v[0:1]
.LBB22_132:
	s_waitcnt lgkmcnt(0)
	s_barrier
	ds_read_b64 v[6:7], v12 offset:8
	v_cmp_eq_u32_e64 s[0:1], 0, v5
	s_xor_b64 s[2:3], vcc, -1
	s_and_b64 s[0:1], s[0:1], s[2:3]
	s_waitcnt lgkmcnt(0)
	v_pk_add_f32 v[0:1], v[0:1], v[6:7]
	s_barrier
	ds_write_b64 v12, v[0:1]
	s_and_b64 exec, exec, s[0:1]
	s_cbranch_execz .LBB22_136
; %bb.133:
	v_and_b32_e32 v6, 0x7fffffff, v2
	v_ashrrev_i32_e32 v5, 31, v4
	v_cmp_ne_u32_e32 vcc, 0, v6
	v_cmp_neq_f32_e64 s[0:1], 0, v3
	s_or_b64 s[2:3], vcc, s[0:1]
	v_lshlrev_b64 v[4:5], 3, v[4:5]
	s_and_saveexec_b64 s[0:1], s[2:3]
	s_cbranch_execz .LBB22_135
; %bb.134:
	v_mov_b32_e32 v7, s35
	v_add_co_u32_e32 v6, vcc, s34, v4
	v_addc_co_u32_e32 v7, vcc, v7, v5, vcc
	global_load_dwordx2 v[6:7], v[6:7], off
	v_xor_b32_e32 v8, 0x80000000, v3
	v_mov_b32_e32 v9, v2
	s_waitcnt vmcnt(0)
	v_pk_fma_f32 v[0:1], v[2:3], v[6:7], v[0:1] op_sel_hi:[1,0,1]
	v_pk_fma_f32 v[0:1], v[8:9], v[6:7], v[0:1] op_sel:[0,1,0]
.LBB22_135:
	s_or_b64 exec, exec, s[0:1]
	v_mov_b32_e32 v3, s35
	v_add_co_u32_e32 v2, vcc, s34, v4
	v_addc_co_u32_e32 v3, vcc, v3, v5, vcc
	global_store_dwordx2 v[2:3], v[0:1], off
.LBB22_136:
	s_endpgm
	.section	.rodata,"a",@progbits
	.p2align	6, 0x0
	.amdhsa_kernel _ZN9rocsparseL22csrmvn_adaptive_kernelIii21rocsparse_complex_numIfES2_S2_S2_EEvbT_PKS3_PjPKT0_NS_24const_host_device_scalarIT4_EES5_S9_PKT1_PKT2_SC_PT3_21rocsparse_index_base_b
		.amdhsa_group_segment_fixed_size 8192
		.amdhsa_private_segment_fixed_size 0
		.amdhsa_kernarg_size 96
		.amdhsa_user_sgpr_count 6
		.amdhsa_user_sgpr_private_segment_buffer 1
		.amdhsa_user_sgpr_dispatch_ptr 0
		.amdhsa_user_sgpr_queue_ptr 0
		.amdhsa_user_sgpr_kernarg_segment_ptr 1
		.amdhsa_user_sgpr_dispatch_id 0
		.amdhsa_user_sgpr_flat_scratch_init 0
		.amdhsa_user_sgpr_kernarg_preload_length 0
		.amdhsa_user_sgpr_kernarg_preload_offset 0
		.amdhsa_user_sgpr_private_segment_size 0
		.amdhsa_uses_dynamic_stack 0
		.amdhsa_system_sgpr_private_segment_wavefront_offset 0
		.amdhsa_system_sgpr_workgroup_id_x 1
		.amdhsa_system_sgpr_workgroup_id_y 0
		.amdhsa_system_sgpr_workgroup_id_z 0
		.amdhsa_system_sgpr_workgroup_info 0
		.amdhsa_system_vgpr_workitem_id 0
		.amdhsa_next_free_vgpr 46
		.amdhsa_next_free_sgpr 60
		.amdhsa_accum_offset 48
		.amdhsa_reserve_vcc 1
		.amdhsa_reserve_flat_scratch 0
		.amdhsa_float_round_mode_32 0
		.amdhsa_float_round_mode_16_64 0
		.amdhsa_float_denorm_mode_32 3
		.amdhsa_float_denorm_mode_16_64 3
		.amdhsa_dx10_clamp 1
		.amdhsa_ieee_mode 1
		.amdhsa_fp16_overflow 0
		.amdhsa_tg_split 0
		.amdhsa_exception_fp_ieee_invalid_op 0
		.amdhsa_exception_fp_denorm_src 0
		.amdhsa_exception_fp_ieee_div_zero 0
		.amdhsa_exception_fp_ieee_overflow 0
		.amdhsa_exception_fp_ieee_underflow 0
		.amdhsa_exception_fp_ieee_inexact 0
		.amdhsa_exception_int_div_zero 0
	.end_amdhsa_kernel
	.section	.text._ZN9rocsparseL22csrmvn_adaptive_kernelIii21rocsparse_complex_numIfES2_S2_S2_EEvbT_PKS3_PjPKT0_NS_24const_host_device_scalarIT4_EES5_S9_PKT1_PKT2_SC_PT3_21rocsparse_index_base_b,"axG",@progbits,_ZN9rocsparseL22csrmvn_adaptive_kernelIii21rocsparse_complex_numIfES2_S2_S2_EEvbT_PKS3_PjPKT0_NS_24const_host_device_scalarIT4_EES5_S9_PKT1_PKT2_SC_PT3_21rocsparse_index_base_b,comdat
.Lfunc_end22:
	.size	_ZN9rocsparseL22csrmvn_adaptive_kernelIii21rocsparse_complex_numIfES2_S2_S2_EEvbT_PKS3_PjPKT0_NS_24const_host_device_scalarIT4_EES5_S9_PKT1_PKT2_SC_PT3_21rocsparse_index_base_b, .Lfunc_end22-_ZN9rocsparseL22csrmvn_adaptive_kernelIii21rocsparse_complex_numIfES2_S2_S2_EEvbT_PKS3_PjPKT0_NS_24const_host_device_scalarIT4_EES5_S9_PKT1_PKT2_SC_PT3_21rocsparse_index_base_b
                                        ; -- End function
	.section	.AMDGPU.csdata,"",@progbits
; Kernel info:
; codeLenInByte = 6188
; NumSgprs: 64
; NumVgprs: 46
; NumAgprs: 0
; TotalNumVgprs: 46
; ScratchSize: 0
; MemoryBound: 0
; FloatMode: 240
; IeeeMode: 1
; LDSByteSize: 8192 bytes/workgroup (compile time only)
; SGPRBlocks: 7
; VGPRBlocks: 5
; NumSGPRsForWavesPerEU: 64
; NumVGPRsForWavesPerEU: 46
; AccumOffset: 48
; Occupancy: 8
; WaveLimiterHint : 1
; COMPUTE_PGM_RSRC2:SCRATCH_EN: 0
; COMPUTE_PGM_RSRC2:USER_SGPR: 6
; COMPUTE_PGM_RSRC2:TRAP_HANDLER: 0
; COMPUTE_PGM_RSRC2:TGID_X_EN: 1
; COMPUTE_PGM_RSRC2:TGID_Y_EN: 0
; COMPUTE_PGM_RSRC2:TGID_Z_EN: 0
; COMPUTE_PGM_RSRC2:TIDIG_COMP_CNT: 0
; COMPUTE_PGM_RSRC3_GFX90A:ACCUM_OFFSET: 11
; COMPUTE_PGM_RSRC3_GFX90A:TG_SPLIT: 0
	.section	.text._ZN9rocsparseL22partial_scale_y_kernelIi21rocsparse_complex_numIfES2_EEvT_S3_S3_NS_24const_host_device_scalarIT1_EEPT0_b,"axG",@progbits,_ZN9rocsparseL22partial_scale_y_kernelIi21rocsparse_complex_numIfES2_EEvT_S3_S3_NS_24const_host_device_scalarIT1_EEPT0_b,comdat
	.globl	_ZN9rocsparseL22partial_scale_y_kernelIi21rocsparse_complex_numIfES2_EEvT_S3_S3_NS_24const_host_device_scalarIT1_EEPT0_b ; -- Begin function _ZN9rocsparseL22partial_scale_y_kernelIi21rocsparse_complex_numIfES2_EEvT_S3_S3_NS_24const_host_device_scalarIT1_EEPT0_b
	.p2align	8
	.type	_ZN9rocsparseL22partial_scale_y_kernelIi21rocsparse_complex_numIfES2_EEvT_S3_S3_NS_24const_host_device_scalarIT1_EEPT0_b,@function
_ZN9rocsparseL22partial_scale_y_kernelIi21rocsparse_complex_numIfES2_EEvT_S3_S3_NS_24const_host_device_scalarIT1_EEPT0_b: ; @_ZN9rocsparseL22partial_scale_y_kernelIi21rocsparse_complex_numIfES2_EEvT_S3_S3_NS_24const_host_device_scalarIT1_EEPT0_b
; %bb.0:
	s_load_dword s2, s[4:5], 0x20
	s_load_dwordx2 s[0:1], s[4:5], 0x10
	s_waitcnt lgkmcnt(0)
	s_bitcmp1_b32 s2, 0
	s_cselect_b64 s[8:9], -1, 0
	s_xor_b64 s[2:3], s[8:9], -1
	s_and_b64 vcc, exec, s[8:9]
	v_mov_b32_e32 v2, s0
	s_cbranch_vccnz .LBB23_2
; %bb.1:
	v_pk_mov_b32 v[2:3], s[0:1], s[0:1] op_sel:[0,1]
	flat_load_dword v2, v[2:3]
.LBB23_2:
	s_andn2_b64 vcc, exec, s[2:3]
	v_mov_b32_e32 v4, s1
	s_cbranch_vccnz .LBB23_4
; %bb.3:
	v_pk_mov_b32 v[4:5], s[0:1], s[0:1] op_sel:[0,1]
	flat_load_dword v4, v[4:5] offset:4
.LBB23_4:
	s_waitcnt vmcnt(0) lgkmcnt(0)
	v_cmp_neq_f32_e32 vcc, 1.0, v2
	v_cmp_neq_f32_e64 s[0:1], 0, v4
	s_or_b64 s[0:1], vcc, s[0:1]
	s_and_saveexec_b64 s[2:3], s[0:1]
	s_cbranch_execz .LBB23_17
; %bb.5:
	s_load_dwordx4 s[8:11], s[4:5], 0x0
	v_lshl_or_b32 v0, s6, 8, v0
	s_waitcnt lgkmcnt(0)
	s_add_i32 s0, s9, s8
	s_sub_i32 s0, s0, s10
	v_cmp_gt_i32_e32 vcc, s0, v0
	s_and_b64 exec, exec, vcc
	s_cbranch_execz .LBB23_17
; %bb.6:
	s_load_dwordx2 s[4:5], s[4:5], 0x18
	v_cmp_neq_f32_e64 s[0:1], 0, v2
	v_cmp_neq_f32_e64 s[2:3], 0, v4
	v_cmp_le_i32_e32 vcc, s9, v0
	s_or_b64 s[0:1], s[0:1], s[2:3]
	s_and_saveexec_b64 s[2:3], vcc
	s_xor_b64 s[2:3], exec, s[2:3]
	s_cbranch_execz .LBB23_12
; %bb.7:
	v_subrev_u32_e32 v0, s9, v0
	v_add_u32_e32 v0, s10, v0
	v_ashrrev_i32_e32 v1, 31, v0
	v_lshlrev_b64 v[0:1], 3, v[0:1]
	s_waitcnt lgkmcnt(0)
	v_mov_b32_e32 v3, s5
	v_add_co_u32_e32 v0, vcc, s4, v0
	v_addc_co_u32_e32 v1, vcc, v3, v1, vcc
	s_and_saveexec_b64 s[6:7], s[0:1]
	s_xor_b64 s[6:7], exec, s[6:7]
	s_cbranch_execz .LBB23_9
; %bb.8:
	global_load_dwordx2 v[6:7], v[0:1], off
	s_waitcnt vmcnt(0)
	v_pk_mul_f32 v[4:5], v[4:5], v[6:7] op_sel:[0,1] op_sel_hi:[0,0] neg_lo:[0,1]
	v_pk_fma_f32 v[2:3], v[6:7], v[2:3], v[4:5] op_sel_hi:[1,0,1]
	global_store_dwordx2 v[0:1], v[2:3], off
                                        ; implicit-def: $vgpr0_vgpr1
.LBB23_9:
	s_andn2_saveexec_b64 s[6:7], s[6:7]
	s_cbranch_execz .LBB23_11
; %bb.10:
	v_mov_b32_e32 v2, 0
	v_mov_b32_e32 v3, v2
	global_store_dwordx2 v[0:1], v[2:3], off
.LBB23_11:
	s_or_b64 exec, exec, s[6:7]
                                        ; implicit-def: $vgpr0
                                        ; implicit-def: $vgpr4
                                        ; implicit-def: $vgpr2
.LBB23_12:
	s_andn2_saveexec_b64 s[2:3], s[2:3]
	s_cbranch_execz .LBB23_17
; %bb.13:
	v_ashrrev_i32_e32 v1, 31, v0
	v_lshlrev_b64 v[0:1], 3, v[0:1]
	s_waitcnt lgkmcnt(0)
	v_mov_b32_e32 v3, s5
	v_add_co_u32_e32 v0, vcc, s4, v0
	v_addc_co_u32_e32 v1, vcc, v3, v1, vcc
	s_and_saveexec_b64 s[2:3], s[0:1]
	s_xor_b64 s[0:1], exec, s[2:3]
	s_cbranch_execz .LBB23_15
; %bb.14:
	global_load_dwordx2 v[6:7], v[0:1], off
	s_waitcnt vmcnt(0)
	v_pk_mul_f32 v[4:5], v[4:5], v[6:7] op_sel:[0,1] op_sel_hi:[0,0] neg_lo:[0,1]
	v_pk_fma_f32 v[2:3], v[6:7], v[2:3], v[4:5] op_sel_hi:[1,0,1]
	global_store_dwordx2 v[0:1], v[2:3], off
                                        ; implicit-def: $vgpr0_vgpr1
.LBB23_15:
	s_andn2_saveexec_b64 s[0:1], s[0:1]
	s_cbranch_execz .LBB23_17
; %bb.16:
	v_mov_b32_e32 v2, 0
	v_mov_b32_e32 v3, v2
	global_store_dwordx2 v[0:1], v[2:3], off
.LBB23_17:
	s_endpgm
	.section	.rodata,"a",@progbits
	.p2align	6, 0x0
	.amdhsa_kernel _ZN9rocsparseL22partial_scale_y_kernelIi21rocsparse_complex_numIfES2_EEvT_S3_S3_NS_24const_host_device_scalarIT1_EEPT0_b
		.amdhsa_group_segment_fixed_size 0
		.amdhsa_private_segment_fixed_size 0
		.amdhsa_kernarg_size 36
		.amdhsa_user_sgpr_count 6
		.amdhsa_user_sgpr_private_segment_buffer 1
		.amdhsa_user_sgpr_dispatch_ptr 0
		.amdhsa_user_sgpr_queue_ptr 0
		.amdhsa_user_sgpr_kernarg_segment_ptr 1
		.amdhsa_user_sgpr_dispatch_id 0
		.amdhsa_user_sgpr_flat_scratch_init 0
		.amdhsa_user_sgpr_kernarg_preload_length 0
		.amdhsa_user_sgpr_kernarg_preload_offset 0
		.amdhsa_user_sgpr_private_segment_size 0
		.amdhsa_uses_dynamic_stack 0
		.amdhsa_system_sgpr_private_segment_wavefront_offset 0
		.amdhsa_system_sgpr_workgroup_id_x 1
		.amdhsa_system_sgpr_workgroup_id_y 0
		.amdhsa_system_sgpr_workgroup_id_z 0
		.amdhsa_system_sgpr_workgroup_info 0
		.amdhsa_system_vgpr_workitem_id 0
		.amdhsa_next_free_vgpr 8
		.amdhsa_next_free_sgpr 12
		.amdhsa_accum_offset 8
		.amdhsa_reserve_vcc 1
		.amdhsa_reserve_flat_scratch 0
		.amdhsa_float_round_mode_32 0
		.amdhsa_float_round_mode_16_64 0
		.amdhsa_float_denorm_mode_32 3
		.amdhsa_float_denorm_mode_16_64 3
		.amdhsa_dx10_clamp 1
		.amdhsa_ieee_mode 1
		.amdhsa_fp16_overflow 0
		.amdhsa_tg_split 0
		.amdhsa_exception_fp_ieee_invalid_op 0
		.amdhsa_exception_fp_denorm_src 0
		.amdhsa_exception_fp_ieee_div_zero 0
		.amdhsa_exception_fp_ieee_overflow 0
		.amdhsa_exception_fp_ieee_underflow 0
		.amdhsa_exception_fp_ieee_inexact 0
		.amdhsa_exception_int_div_zero 0
	.end_amdhsa_kernel
	.section	.text._ZN9rocsparseL22partial_scale_y_kernelIi21rocsparse_complex_numIfES2_EEvT_S3_S3_NS_24const_host_device_scalarIT1_EEPT0_b,"axG",@progbits,_ZN9rocsparseL22partial_scale_y_kernelIi21rocsparse_complex_numIfES2_EEvT_S3_S3_NS_24const_host_device_scalarIT1_EEPT0_b,comdat
.Lfunc_end23:
	.size	_ZN9rocsparseL22partial_scale_y_kernelIi21rocsparse_complex_numIfES2_EEvT_S3_S3_NS_24const_host_device_scalarIT1_EEPT0_b, .Lfunc_end23-_ZN9rocsparseL22partial_scale_y_kernelIi21rocsparse_complex_numIfES2_EEvT_S3_S3_NS_24const_host_device_scalarIT1_EEPT0_b
                                        ; -- End function
	.section	.AMDGPU.csdata,"",@progbits
; Kernel info:
; codeLenInByte = 424
; NumSgprs: 16
; NumVgprs: 8
; NumAgprs: 0
; TotalNumVgprs: 8
; ScratchSize: 0
; MemoryBound: 0
; FloatMode: 240
; IeeeMode: 1
; LDSByteSize: 0 bytes/workgroup (compile time only)
; SGPRBlocks: 1
; VGPRBlocks: 0
; NumSGPRsForWavesPerEU: 16
; NumVGPRsForWavesPerEU: 8
; AccumOffset: 8
; Occupancy: 8
; WaveLimiterHint : 0
; COMPUTE_PGM_RSRC2:SCRATCH_EN: 0
; COMPUTE_PGM_RSRC2:USER_SGPR: 6
; COMPUTE_PGM_RSRC2:TRAP_HANDLER: 0
; COMPUTE_PGM_RSRC2:TGID_X_EN: 1
; COMPUTE_PGM_RSRC2:TGID_Y_EN: 0
; COMPUTE_PGM_RSRC2:TGID_Z_EN: 0
; COMPUTE_PGM_RSRC2:TIDIG_COMP_CNT: 0
; COMPUTE_PGM_RSRC3_GFX90A:ACCUM_OFFSET: 1
; COMPUTE_PGM_RSRC3_GFX90A:TG_SPLIT: 0
	.section	.text._ZN9rocsparseL27csrmvn_symm_adaptive_kernelIii21rocsparse_complex_numIfES2_S2_S2_EEvbT_S3_PKS3_NS_24const_host_device_scalarIT4_EES5_PKT0_PKT1_PKT2_S8_PT3_21rocsparse_index_base_b,"axG",@progbits,_ZN9rocsparseL27csrmvn_symm_adaptive_kernelIii21rocsparse_complex_numIfES2_S2_S2_EEvbT_S3_PKS3_NS_24const_host_device_scalarIT4_EES5_PKT0_PKT1_PKT2_S8_PT3_21rocsparse_index_base_b,comdat
	.globl	_ZN9rocsparseL27csrmvn_symm_adaptive_kernelIii21rocsparse_complex_numIfES2_S2_S2_EEvbT_S3_PKS3_NS_24const_host_device_scalarIT4_EES5_PKT0_PKT1_PKT2_S8_PT3_21rocsparse_index_base_b ; -- Begin function _ZN9rocsparseL27csrmvn_symm_adaptive_kernelIii21rocsparse_complex_numIfES2_S2_S2_EEvbT_S3_PKS3_NS_24const_host_device_scalarIT4_EES5_PKT0_PKT1_PKT2_S8_PT3_21rocsparse_index_base_b
	.p2align	8
	.type	_ZN9rocsparseL27csrmvn_symm_adaptive_kernelIii21rocsparse_complex_numIfES2_S2_S2_EEvbT_S3_PKS3_NS_24const_host_device_scalarIT4_EES5_PKT0_PKT1_PKT2_S8_PT3_21rocsparse_index_base_b,@function
_ZN9rocsparseL27csrmvn_symm_adaptive_kernelIii21rocsparse_complex_numIfES2_S2_S2_EEvbT_S3_PKS3_NS_24const_host_device_scalarIT4_EES5_PKT0_PKT1_PKT2_S8_PT3_21rocsparse_index_base_b: ; @_ZN9rocsparseL27csrmvn_symm_adaptive_kernelIii21rocsparse_complex_numIfES2_S2_S2_EEvbT_S3_PKS3_NS_24const_host_device_scalarIT4_EES5_PKT0_PKT1_PKT2_S8_PT3_21rocsparse_index_base_b
; %bb.0:
	s_load_dwordx2 s[34:35], s[4:5], 0x50
	s_load_dwordx2 s[8:9], s[4:5], 0x18
	;; [unrolled: 1-line block ×3, first 2 shown]
	s_waitcnt lgkmcnt(0)
	s_bitcmp1_b32 s35, 0
	s_cselect_b64 s[0:1], -1, 0
	s_xor_b64 s[10:11], s[0:1], -1
	s_and_b64 vcc, exec, s[0:1]
	v_mov_b32_e32 v4, s8
	s_cbranch_vccnz .LBB24_2
; %bb.1:
	v_pk_mov_b32 v[2:3], s[8:9], s[8:9] op_sel:[0,1]
	flat_load_dword v4, v[2:3]
.LBB24_2:
	v_cndmask_b32_e64 v1, 0, 1, s[10:11]
	v_cmp_ne_u32_e64 s[0:1], 1, v1
	s_andn2_b64 vcc, exec, s[10:11]
	v_mov_b32_e32 v5, s9
	s_cbranch_vccz .LBB24_12
; %bb.3:
	s_and_b64 vcc, exec, s[0:1]
	v_mov_b32_e32 v1, s2
	s_cbranch_vccz .LBB24_13
.LBB24_4:
	s_and_b64 vcc, exec, s[0:1]
	v_mov_b32_e32 v2, s3
	s_cbranch_vccnz .LBB24_6
.LBB24_5:
	v_pk_mov_b32 v[2:3], s[2:3], s[2:3] op_sel:[0,1]
	flat_load_dword v2, v[2:3] offset:4
.LBB24_6:
	s_waitcnt vmcnt(0) lgkmcnt(0)
	v_cmp_eq_f32_e32 vcc, 0, v4
	v_cmp_eq_f32_e64 s[0:1], 0, v5
	s_and_b64 s[8:9], vcc, s[0:1]
	s_mov_b64 s[0:1], -1
	s_and_saveexec_b64 s[2:3], s[8:9]
; %bb.7:
	v_cmp_neq_f32_e32 vcc, 1.0, v1
	v_and_b32_e32 v1, 0x7fffffff, v2
	v_cmp_ne_u32_e64 s[0:1], 0, v1
	s_or_b64 s[0:1], vcc, s[0:1]
	s_orn2_b64 s[0:1], s[0:1], exec
; %bb.8:
	s_or_b64 exec, exec, s[2:3]
	s_and_saveexec_b64 s[2:3], s[0:1]
	s_cbranch_execz .LBB24_206
; %bb.9:
	s_load_dwordx4 s[24:27], s[4:5], 0x0
	s_load_dwordx2 s[2:3], s[4:5], 0x10
	s_mov_b32 s8, 0
	s_mov_b32 s9, s8
	v_lshlrev_b32_e32 v1, 3, v0
	s_waitcnt lgkmcnt(0)
	s_bitcmp1_b32 s24, 0
	s_cselect_b64 s[0:1], -1, 0
	s_ashr_i32 s7, s6, 31
	s_lshl_b64 s[6:7], s[6:7], 2
	s_add_u32 s2, s2, s6
	v_pk_mov_b32 v[2:3], s[8:9], s[8:9] op_sel:[0,1]
	s_addc_u32 s3, s3, s7
	ds_write2st64_b64 v1, v[2:3], v[2:3] offset1:4
	ds_write2st64_b64 v1, v[2:3], v[2:3] offset0:8 offset1:12
	s_waitcnt lgkmcnt(0)
	s_barrier
	s_load_dwordx2 s[30:31], s[2:3], 0x0
	s_load_dwordx8 s[16:23], s[4:5], 0x20
	s_load_dwordx2 s[28:29], s[4:5], 0x48
	s_mov_b64 s[2:3], -1
	v_subrev_u32_e32 v12, s34, v0
	s_waitcnt lgkmcnt(0)
	s_sub_i32 s27, s31, s30
	s_cmp_gt_i32 s27, 2
	s_cbranch_scc1 .LBB24_57
; %bb.10:
	s_cmp_gt_i32 s31, s30
	s_cbranch_scc1 .LBB24_14
; %bb.11:
	s_ashr_i32 s3, s30, 31
	s_mov_b32 s2, s30
	s_lshl_b64 s[2:3], s[2:3], 2
	s_add_u32 s2, s16, s2
	s_addc_u32 s3, s17, s3
	s_load_dword s24, s[2:3], 0x0
	s_cbranch_execz .LBB24_15
	s_branch .LBB24_44
.LBB24_12:
	v_pk_mov_b32 v[2:3], s[8:9], s[8:9] op_sel:[0,1]
	flat_load_dword v5, v[2:3] offset:4
	s_and_b64 vcc, exec, s[0:1]
	v_mov_b32_e32 v1, s2
	s_cbranch_vccnz .LBB24_4
.LBB24_13:
	v_pk_mov_b32 v[2:3], s[2:3], s[2:3] op_sel:[0,1]
	flat_load_dword v1, v[2:3]
	s_and_b64 vcc, exec, s[0:1]
	v_mov_b32_e32 v2, s3
	s_cbranch_vccz .LBB24_5
	s_branch .LBB24_6
.LBB24_14:
                                        ; implicit-def: $sgpr24
	s_andn2_b64 vcc, exec, s[2:3]
	s_cbranch_vccnz .LBB24_44
.LBB24_15:
	s_ashr_i32 s15, s30, 31
	s_mov_b32 s14, s30
	s_lshl_b64 s[14:15], s[14:15], 2
	s_add_u32 s14, s16, s14
	s_addc_u32 s15, s17, s15
	s_waitcnt lgkmcnt(0)
	s_load_dword s24, s[14:15], 0x0
	s_add_u32 s33, s16, 4
	s_addc_u32 s35, s17, 0
	s_movk_i32 s2, 0x100
	s_add_u32 s44, s20, 4
	v_cmp_gt_u32_e64 s[2:3], s2, v0
	v_cmp_gt_u32_e64 s[6:7], 64, v0
	v_cmp_gt_u32_e64 s[8:9], 16, v0
	v_cmp_gt_u32_e64 s[10:11], 4, v0
	v_cmp_eq_u32_e64 s[12:13], 0, v0
	s_addc_u32 s45, s21, 0
	v_mov_b32_e32 v13, s23
	v_mov_b32_e32 v14, 0
	s_waitcnt lgkmcnt(0)
	s_mov_b32 s46, s24
	s_mov_b32 s36, s30
	s_branch .LBB24_17
.LBB24_16:                              ;   in Loop: Header=BB24_17 Depth=1
	s_or_b64 exec, exec, s[14:15]
	s_add_i32 s36, s36, 1
	s_cmp_ge_i32 s36, s31
	s_cbranch_scc1 .LBB24_44
.LBB24_17:                              ; =>This Loop Header: Depth=1
                                        ;     Child Loop BB24_19 Depth 2
                                        ;     Child Loop BB24_33 Depth 2
	;; [unrolled: 1-line block ×5, first 2 shown]
	s_ashr_i32 s37, s36, 31
	s_lshl_b64 s[14:15], s[36:37], 2
	s_add_u32 s14, s33, s14
	s_addc_u32 s15, s35, s15
	s_mov_b32 s38, s46
	s_load_dword s46, s[14:15], 0x0
	v_add_u32_e32 v2, s38, v12
	v_mov_b32_e32 v7, 0
	v_mov_b32_e32 v6, 0
	s_waitcnt lgkmcnt(0)
	s_sub_i32 s42, s46, s34
	v_cmp_gt_i32_e32 vcc, s42, v2
	s_and_saveexec_b64 s[38:39], vcc
	s_cbranch_execz .LBB24_21
; %bb.18:                               ;   in Loop: Header=BB24_17 Depth=1
	v_ashrrev_i32_e32 v3, 31, v2
	v_lshlrev_b64 v[6:7], 2, v[2:3]
	v_mov_b32_e32 v9, s19
	v_add_co_u32_e32 v8, vcc, s18, v6
	v_addc_co_u32_e32 v9, vcc, v9, v7, vcc
	v_lshlrev_b64 v[6:7], 3, v[2:3]
	v_mov_b32_e32 v3, s45
	v_add_co_u32_e32 v10, vcc, s44, v6
	v_mov_b32_e32 v6, 0
	v_addc_co_u32_e32 v11, vcc, v3, v7, vcc
	s_mov_b64 s[40:41], 0
	v_mov_b32_e32 v7, v6
.LBB24_19:                              ;   Parent Loop BB24_17 Depth=1
                                        ; =>  This Inner Loop Header: Depth=2
	global_load_dword v3, v[8:9], off
	global_load_dwordx2 v[16:17], v[10:11], off offset:-4
	v_add_u32_e32 v2, 0x100, v2
	v_cmp_le_i32_e64 s[14:15], s42, v2
	s_or_b64 s[40:41], s[14:15], s[40:41]
	s_waitcnt vmcnt(1)
	v_subrev_u32_e32 v18, s34, v3
	v_ashrrev_i32_e32 v19, 31, v18
	v_lshlrev_b64 v[18:19], 3, v[18:19]
	v_add_co_u32_e32 v18, vcc, s22, v18
	v_addc_co_u32_e32 v19, vcc, v13, v19, vcc
	global_load_dwordx2 v[18:19], v[18:19], off
	v_add_co_u32_e32 v8, vcc, 0x400, v8
	v_addc_co_u32_e32 v9, vcc, 0, v9, vcc
	s_waitcnt vmcnt(1)
	v_cndmask_b32_e64 v17, v17, -v17, s[0:1]
	v_add_co_u32_e32 v10, vcc, 0x800, v10
	v_mov_b32_e32 v21, v16
	v_xor_b32_e32 v20, 0x80000000, v17
	v_addc_co_u32_e32 v11, vcc, 0, v11, vcc
	s_waitcnt vmcnt(0)
	v_pk_fma_f32 v[6:7], v[16:17], v[18:19], v[6:7] op_sel_hi:[1,0,1]
	v_pk_fma_f32 v[6:7], v[20:21], v[18:19], v[6:7] op_sel:[0,1,0]
	s_andn2_b64 exec, exec, s[40:41]
	s_cbranch_execnz .LBB24_19
; %bb.20:                               ;   in Loop: Header=BB24_17 Depth=1
	s_or_b64 exec, exec, s[40:41]
.LBB24_21:                              ;   in Loop: Header=BB24_17 Depth=1
	s_or_b64 exec, exec, s[38:39]
	ds_write_b64 v1, v[6:7]
	s_waitcnt lgkmcnt(0)
	s_barrier
	s_and_saveexec_b64 s[14:15], s[2:3]
	s_cbranch_execz .LBB24_23
; %bb.22:                               ;   in Loop: Header=BB24_17 Depth=1
	ds_read2st64_b64 v[6:9], v1 offset1:4
	ds_read2st64_b64 v[16:19], v1 offset0:8 offset1:12
	s_waitcnt lgkmcnt(0)
	v_pk_add_f32 v[2:3], v[16:17], v[8:9]
	v_pk_add_f32 v[2:3], v[2:3], v[18:19]
	;; [unrolled: 1-line block ×3, first 2 shown]
	ds_write_b64 v1, v[2:3]
.LBB24_23:                              ;   in Loop: Header=BB24_17 Depth=1
	s_or_b64 exec, exec, s[14:15]
	s_waitcnt lgkmcnt(0)
	s_barrier
	s_and_saveexec_b64 s[14:15], s[6:7]
	s_cbranch_execz .LBB24_25
; %bb.24:                               ;   in Loop: Header=BB24_17 Depth=1
	ds_read2st64_b64 v[6:9], v1 offset1:1
	ds_read2st64_b64 v[16:19], v1 offset0:2 offset1:3
	s_waitcnt lgkmcnt(0)
	v_pk_add_f32 v[2:3], v[16:17], v[8:9]
	v_pk_add_f32 v[2:3], v[2:3], v[18:19]
	;; [unrolled: 1-line block ×3, first 2 shown]
	ds_write_b64 v1, v[2:3]
.LBB24_25:                              ;   in Loop: Header=BB24_17 Depth=1
	s_or_b64 exec, exec, s[14:15]
	s_waitcnt lgkmcnt(0)
	s_barrier
	s_and_saveexec_b64 s[14:15], s[8:9]
	s_cbranch_execz .LBB24_27
; %bb.26:                               ;   in Loop: Header=BB24_17 Depth=1
	ds_read2_b64 v[6:9], v1 offset1:16
	ds_read2_b64 v[16:19], v1 offset0:32 offset1:48
	s_waitcnt lgkmcnt(0)
	v_pk_add_f32 v[2:3], v[16:17], v[8:9]
	v_pk_add_f32 v[2:3], v[2:3], v[18:19]
	;; [unrolled: 1-line block ×3, first 2 shown]
	ds_write_b64 v1, v[2:3]
.LBB24_27:                              ;   in Loop: Header=BB24_17 Depth=1
	s_or_b64 exec, exec, s[14:15]
	s_waitcnt lgkmcnt(0)
	s_barrier
	s_and_saveexec_b64 s[14:15], s[10:11]
	s_cbranch_execz .LBB24_29
; %bb.28:                               ;   in Loop: Header=BB24_17 Depth=1
	ds_read2_b64 v[6:9], v1 offset1:4
	ds_read2_b64 v[16:19], v1 offset0:8 offset1:12
	s_waitcnt lgkmcnt(0)
	v_pk_add_f32 v[2:3], v[16:17], v[8:9]
	v_pk_add_f32 v[2:3], v[2:3], v[18:19]
	;; [unrolled: 1-line block ×3, first 2 shown]
	ds_write_b64 v1, v[2:3]
.LBB24_29:                              ;   in Loop: Header=BB24_17 Depth=1
	s_or_b64 exec, exec, s[14:15]
	s_waitcnt lgkmcnt(0)
	s_barrier
	s_and_saveexec_b64 s[14:15], s[12:13]
	s_cbranch_execz .LBB24_31
; %bb.30:                               ;   in Loop: Header=BB24_17 Depth=1
	ds_read_b128 v[6:9], v14 offset:16
	ds_read_b64 v[2:3], v14 offset:8
	ds_read_b64 v[10:11], v1
	s_waitcnt lgkmcnt(1)
	v_pk_add_f32 v[2:3], v[6:7], v[2:3]
	v_pk_add_f32 v[2:3], v[2:3], v[8:9]
	s_waitcnt lgkmcnt(0)
	v_pk_add_f32 v[2:3], v[2:3], v[10:11]
	ds_write_b64 v1, v[2:3]
.LBB24_31:                              ;   in Loop: Header=BB24_17 Depth=1
	s_or_b64 exec, exec, s[14:15]
	s_waitcnt lgkmcnt(0)
	s_barrier
	s_and_saveexec_b64 s[14:15], s[12:13]
	s_cbranch_execz .LBB24_16
; %bb.32:                               ;   in Loop: Header=BB24_17 Depth=1
	ds_read_b64 v[2:3], v14
	s_mov_b64 s[38:39], exec
	v_bfrev_b32_e32 v8, 1
	s_waitcnt lgkmcnt(0)
	v_mul_f32_e64 v6, v3, -v5
	v_fmac_f32_e32 v6, v4, v2
.LBB24_33:                              ;   Parent Loop BB24_17 Depth=1
                                        ; =>  This Inner Loop Header: Depth=2
	s_ff1_i32_b64 s40, s[38:39]
	v_readlane_b32 s42, v6, s40
	s_lshl_b64 s[40:41], 1, s40
	s_andn2_b64 s[38:39], s[38:39], s[40:41]
	s_cmp_lg_u64 s[38:39], 0
	v_add_f32_e32 v8, s42, v8
	s_cbranch_scc1 .LBB24_33
; %bb.34:                               ;   in Loop: Header=BB24_17 Depth=1
	s_lshl_b64 s[38:39], s[36:37], 3
	v_mbcnt_lo_u32_b32 v6, exec_lo, 0
	s_add_u32 s38, s28, s38
	v_mbcnt_hi_u32_b32 v6, exec_hi, v6
	s_addc_u32 s39, s29, s39
	v_cmp_eq_u32_e32 vcc, 0, v6
	s_and_saveexec_b64 s[40:41], vcc
	s_xor_b64 s[40:41], exec, s[40:41]
	s_cbranch_execz .LBB24_38
; %bb.35:                               ;   in Loop: Header=BB24_17 Depth=1
	global_load_dword v7, v14, s[38:39]
	s_mov_b64 s[42:43], 0
.LBB24_36:                              ;   Parent Loop BB24_17 Depth=1
                                        ; =>  This Inner Loop Header: Depth=2
	s_waitcnt vmcnt(0)
	v_add_f32_e32 v6, v7, v8
	global_atomic_cmpswap v6, v14, v[6:7], s[38:39] glc
	s_waitcnt vmcnt(0)
	v_cmp_eq_u32_e32 vcc, v6, v7
	s_or_b64 s[42:43], vcc, s[42:43]
	v_mov_b32_e32 v7, v6
	s_andn2_b64 exec, exec, s[42:43]
	s_cbranch_execnz .LBB24_36
; %bb.37:                               ;   in Loop: Header=BB24_17 Depth=1
	s_or_b64 exec, exec, s[42:43]
.LBB24_38:                              ;   in Loop: Header=BB24_17 Depth=1
	s_or_b64 exec, exec, s[40:41]
	v_mul_f32_e32 v3, v3, v4
	s_mov_b64 s[40:41], exec
	v_fmac_f32_e32 v3, v5, v2
	v_bfrev_b32_e32 v6, 1
.LBB24_39:                              ;   Parent Loop BB24_17 Depth=1
                                        ; =>  This Inner Loop Header: Depth=2
	s_ff1_i32_b64 s37, s[40:41]
	s_lshl_b64 s[42:43], 1, s37
	v_readlane_b32 s47, v3, s37
	s_andn2_b64 s[40:41], s[40:41], s[42:43]
	s_cmp_lg_u64 s[40:41], 0
	v_add_f32_e32 v6, s47, v6
	s_cbranch_scc1 .LBB24_39
; %bb.40:                               ;   in Loop: Header=BB24_17 Depth=1
	v_mbcnt_lo_u32_b32 v2, exec_lo, 0
	v_mbcnt_hi_u32_b32 v2, exec_hi, v2
	v_cmp_eq_u32_e32 vcc, 0, v2
	s_and_saveexec_b64 s[40:41], vcc
	s_xor_b64 s[40:41], exec, s[40:41]
	s_cbranch_execz .LBB24_16
; %bb.41:                               ;   in Loop: Header=BB24_17 Depth=1
	global_load_dword v3, v14, s[38:39] offset:4
	s_mov_b64 s[40:41], 0
.LBB24_42:                              ;   Parent Loop BB24_17 Depth=1
                                        ; =>  This Inner Loop Header: Depth=2
	s_waitcnt vmcnt(0)
	v_add_f32_e32 v2, v3, v6
	global_atomic_cmpswap v2, v14, v[2:3], s[38:39] offset:4 glc
	s_waitcnt vmcnt(0)
	v_cmp_eq_u32_e32 vcc, v2, v3
	s_or_b64 s[40:41], vcc, s[40:41]
	v_mov_b32_e32 v3, v2
	s_andn2_b64 exec, exec, s[40:41]
	s_cbranch_execnz .LBB24_42
; %bb.43:                               ;   in Loop: Header=BB24_17 Depth=1
	s_or_b64 exec, exec, s[40:41]
	s_branch .LBB24_16
.LBB24_44:
	s_ashr_i32 s3, s31, 31
	s_mov_b32 s2, s31
	s_lshl_b64 s[2:3], s[2:3], 2
	s_add_u32 s2, s16, s2
	s_addc_u32 s3, s17, s3
	s_load_dword s2, s[2:3], 0x0
	s_waitcnt lgkmcnt(0)
	v_add_u32_e32 v2, s24, v12
	s_sub_i32 s14, s2, s34
	v_cmp_gt_i32_e32 vcc, s14, v2
	s_and_saveexec_b64 s[8:9], vcc
	s_cbranch_execz .LBB24_56
; %bb.45:
	s_add_i32 s15, s31, -1
	s_cmp_gt_i32 s15, s30
	s_cselect_b64 s[2:3], -1, 0
	s_add_i32 s6, s31, -2
	s_cmp_lg_u32 s6, s30
	s_cselect_b64 s[6:7], -1, 0
	s_and_b64 s[2:3], s[2:3], s[6:7]
	v_cndmask_b32_e64 v3, 0, 1, s[2:3]
	s_mov_b64 s[10:11], 0
	v_cmp_ne_u32_e64 s[2:3], 1, v3
	v_mov_b32_e32 v13, s17
	v_mov_b32_e32 v14, s19
	s_branch .LBB24_47
.LBB24_46:                              ;   in Loop: Header=BB24_47 Depth=1
	s_or_b64 exec, exec, s[6:7]
	v_add_u32_e32 v2, 0x100, v2
	v_cmp_le_i32_e32 vcc, s14, v2
	s_or_b64 s[10:11], vcc, s[10:11]
	s_andn2_b64 exec, exec, s[10:11]
	s_cbranch_execz .LBB24_56
.LBB24_47:                              ; =>This Loop Header: Depth=1
                                        ;     Child Loop BB24_49 Depth 2
                                        ;     Child Loop BB24_53 Depth 2
                                        ;     Child Loop BB24_55 Depth 2
	s_and_b64 vcc, exec, s[2:3]
	v_mov_b32_e32 v8, s30
	v_mov_b32_e32 v6, s15
	s_cbranch_vccnz .LBB24_51
; %bb.48:                               ;   in Loop: Header=BB24_47 Depth=1
	s_mov_b64 s[12:13], 0
	v_mov_b32_e32 v8, s30
	v_mov_b32_e32 v6, s15
.LBB24_49:                              ;   Parent Loop BB24_47 Depth=1
                                        ; =>  This Inner Loop Header: Depth=2
	v_add_u32_e32 v3, v6, v8
	v_lshrrev_b32_e32 v9, 31, v3
	v_add_u32_e32 v3, v3, v9
	v_ashrrev_i32_e32 v10, 1, v3
	v_ashrrev_i32_e32 v11, 31, v10
	v_lshlrev_b64 v[16:17], 2, v[10:11]
	v_mov_b32_e32 v7, s17
	v_add_co_u32_e32 v16, vcc, s16, v16
	v_addc_co_u32_e32 v17, vcc, v7, v17, vcc
	global_load_dword v3, v[16:17], off
	s_waitcnt vmcnt(0)
	v_subrev_u32_e32 v3, s34, v3
	v_cmp_gt_i32_e32 vcc, v3, v2
	v_cndmask_b32_e32 v6, v6, v10, vcc
	v_cndmask_b32_e32 v8, v10, v8, vcc
	v_add_u32_e32 v3, -1, v6
	v_cmp_ge_i32_e32 vcc, v8, v6
	v_cmp_eq_u32_e64 s[6:7], v8, v3
	s_or_b64 s[6:7], vcc, s[6:7]
	s_and_b64 s[6:7], exec, s[6:7]
	s_or_b64 s[12:13], s[6:7], s[12:13]
	s_andn2_b64 exec, exec, s[12:13]
	s_cbranch_execnz .LBB24_49
; %bb.50:                               ;   in Loop: Header=BB24_47 Depth=1
	s_or_b64 exec, exec, s[12:13]
.LBB24_51:                              ;   in Loop: Header=BB24_47 Depth=1
	v_ashrrev_i32_e32 v7, 31, v6
	v_lshlrev_b64 v[10:11], 2, v[6:7]
	v_add_co_u32_e32 v10, vcc, s16, v10
	v_addc_co_u32_e32 v11, vcc, v13, v11, vcc
	v_ashrrev_i32_e32 v3, 31, v2
	global_load_dword v7, v[10:11], off
	v_lshlrev_b64 v[10:11], 2, v[2:3]
	v_add_co_u32_e32 v10, vcc, s18, v10
	v_addc_co_u32_e32 v11, vcc, v14, v11, vcc
	global_load_dword v9, v[10:11], off
	s_waitcnt vmcnt(1)
	v_subrev_u32_e32 v7, s34, v7
	v_cmp_gt_i32_e32 vcc, v7, v2
	v_cndmask_b32_e32 v6, v6, v8, vcc
	s_waitcnt vmcnt(0)
	v_subrev_u32_e32 v8, s34, v9
	v_cmp_ne_u32_e32 vcc, v8, v6
	s_and_saveexec_b64 s[6:7], vcc
	s_cbranch_execz .LBB24_46
; %bb.52:                               ;   in Loop: Header=BB24_47 Depth=1
	v_ashrrev_i32_e32 v9, 31, v8
	v_lshlrev_b64 v[10:11], 3, v[8:9]
	v_lshlrev_b64 v[8:9], 3, v[2:3]
	v_mov_b32_e32 v3, s21
	v_add_co_u32_e32 v8, vcc, s20, v8
	v_addc_co_u32_e32 v9, vcc, v3, v9, vcc
	v_ashrrev_i32_e32 v7, 31, v6
	global_load_dwordx2 v[16:17], v[8:9], off
	v_lshlrev_b64 v[6:7], 3, v[6:7]
	v_mov_b32_e32 v3, s23
	v_add_co_u32_e32 v6, vcc, s22, v6
	v_addc_co_u32_e32 v7, vcc, v3, v7, vcc
	v_mov_b32_e32 v15, s29
	global_load_dwordx2 v[8:9], v[6:7], off
	v_add_co_u32_e32 v6, vcc, s28, v10
	v_addc_co_u32_e32 v7, vcc, v15, v11, vcc
	global_load_dword v11, v[6:7], off
	s_mov_b64 s[12:13], 0
	s_waitcnt vmcnt(2)
	v_cndmask_b32_e64 v10, v17, -v17, s[0:1]
	v_mul_f32_e32 v15, v10, v4
	v_mul_f32_e64 v3, v10, -v5
	v_fmac_f32_e32 v15, v5, v16
	v_fmac_f32_e32 v3, v4, v16
	s_waitcnt vmcnt(1)
	v_mul_f32_e64 v16, v9, -v15
	v_fmac_f32_e32 v16, v3, v8
.LBB24_53:                              ;   Parent Loop BB24_47 Depth=1
                                        ; =>  This Inner Loop Header: Depth=2
	s_waitcnt vmcnt(0)
	v_add_f32_e32 v10, v11, v16
	global_atomic_cmpswap v10, v[6:7], v[10:11], off glc
	s_waitcnt vmcnt(0)
	v_cmp_eq_u32_e32 vcc, v10, v11
	s_or_b64 s[12:13], vcc, s[12:13]
	v_mov_b32_e32 v11, v10
	s_andn2_b64 exec, exec, s[12:13]
	s_cbranch_execnz .LBB24_53
; %bb.54:                               ;   in Loop: Header=BB24_47 Depth=1
	s_or_b64 exec, exec, s[12:13]
	global_load_dword v11, v[6:7], off offset:4
	v_mul_f32_e32 v3, v9, v3
	v_fmac_f32_e32 v3, v15, v8
	s_mov_b64 s[12:13], 0
.LBB24_55:                              ;   Parent Loop BB24_47 Depth=1
                                        ; =>  This Inner Loop Header: Depth=2
	s_waitcnt vmcnt(0)
	v_add_f32_e32 v10, v11, v3
	global_atomic_cmpswap v8, v[6:7], v[10:11], off offset:4 glc
	s_waitcnt vmcnt(0)
	v_cmp_eq_u32_e32 vcc, v8, v11
	s_or_b64 s[12:13], vcc, s[12:13]
	v_mov_b32_e32 v11, v8
	s_andn2_b64 exec, exec, s[12:13]
	s_cbranch_execnz .LBB24_55
	s_branch .LBB24_46
.LBB24_56:
	s_or_b64 exec, exec, s[8:9]
	s_mov_b64 s[2:3], 0
.LBB24_57:
	s_and_b64 vcc, exec, s[2:3]
	s_cbranch_vccz .LBB24_206
; %bb.58:
	v_cvt_f32_u32_e32 v2, s27
	s_ashr_i32 s3, s30, 31
	s_mov_b32 s2, s30
	s_sub_i32 s8, 0, s27
	v_rcp_iflag_f32_e32 v2, v2
	s_lshl_b64 s[2:3], s[2:3], 2
	s_add_u32 s6, s16, s2
	s_addc_u32 s7, s17, s3
	s_load_dword s33, s[6:7], 0x0
	v_mul_f32_e32 v2, 0x4f7ffffe, v2
	v_cvt_u32_f32_e32 v3, v2
	s_load_dword s35, s[4:5], 0x64
	s_waitcnt lgkmcnt(0)
	v_add_u32_e32 v2, s33, v12
	v_readfirstlane_b32 s40, v3
	s_mul_i32 s8, s8, s40
	v_add_u32_e32 v14, 0x300, v2
	s_mul_hi_u32 s41, s40, s8
	v_cmp_le_i32_e32 vcc, s25, v14
	s_and_saveexec_b64 s[2:3], vcc
	s_xor_b64 s[4:5], exec, s[2:3]
	s_cbranch_execz .LBB24_75
; %bb.59:
	s_ashr_i32 s3, s31, 31
	s_mov_b32 s2, s31
	s_lshl_b64 s[2:3], s[2:3], 2
	s_add_u32 s2, s16, s2
	s_addc_u32 s3, s17, s3
	s_load_dword s10, s[2:3], 0x0
	s_waitcnt lgkmcnt(0)
	s_sub_i32 s42, s10, s33
	v_cmp_gt_i32_e64 s[2:3], s42, v0
	s_and_saveexec_b64 s[8:9], s[2:3]
	s_cbranch_execz .LBB24_74
; %bb.60:
	v_xad_u32 v3, v0, -1, s10
	v_subrev_u32_e32 v6, s33, v3
	s_movk_i32 s2, 0xb00
	v_cmp_gt_u32_e64 s[10:11], s2, v6
	s_movk_i32 s2, 0xaff
	v_cmp_lt_u32_e64 s[2:3], s2, v6
	v_mov_b32_e32 v3, 0
	s_and_saveexec_b64 s[12:13], s[2:3]
	s_cbranch_execz .LBB24_71
; %bb.61:
	v_and_b32_e32 v3, 0xffffff00, v6
	v_add_u32_e32 v3, v2, v3
	v_cmp_ge_i32_e64 s[2:3], v3, v2
	s_mov_b64 s[24:25], -1
	v_mov_b32_e32 v3, 0
	s_and_saveexec_b64 s[14:15], s[2:3]
	s_cbranch_execz .LBB24_70
; %bb.62:
	v_lshrrev_b32_e32 v3, 8, v6
	v_add_u32_e32 v12, -1, v3
	v_xor_b32_e32 v6, 0x80000000, v5
	v_lshrrev_b32_e32 v13, 1, v12
	s_movk_i32 s25, 0x100
	s_mov_b32 s24, 0
	v_mov_b32_e32 v7, v6
	v_mov_b32_e32 v8, v4
	;; [unrolled: 1-line block ×5, first 2 shown]
	v_add_u32_e32 v15, 1, v13
	v_cmp_lt_u32_e64 s[2:3], 5, v12
	v_pk_mov_b32 v[12:13], s[24:25], s[24:25] op_sel:[0,1]
	s_and_saveexec_b64 s[36:37], s[2:3]
	s_cbranch_execz .LBB24_66
; %bb.63:
	v_and_b32_e32 v16, -4, v15
	s_mov_b64 s[38:39], 0
	v_mov_b32_e32 v17, s21
.LBB24_64:                              ; =>This Inner Loop Header: Depth=1
	v_add_u32_e32 v12, s24, v2
	v_ashrrev_i32_e32 v13, 31, v12
	v_add_u32_e32 v18, s25, v2
	v_lshlrev_b64 v[12:13], 3, v[12:13]
	s_add_i32 s44, s24, 0x200
	v_ashrrev_i32_e32 v19, 31, v18
	v_add_co_u32_e64 v12, s[2:3], s20, v12
	v_add_u32_e32 v20, s44, v2
	v_lshlrev_b64 v[18:19], 3, v[18:19]
	v_addc_co_u32_e64 v13, s[2:3], v17, v13, s[2:3]
	s_add_i32 s43, s25, 0x200
	v_ashrrev_i32_e32 v21, 31, v20
	v_add_co_u32_e64 v18, s[2:3], s20, v18
	v_add_u32_e32 v22, s43, v2
	v_addc_co_u32_e64 v19, s[2:3], v17, v19, s[2:3]
	v_lshlrev_b64 v[20:21], 3, v[20:21]
	s_add_i32 s46, s24, 0x400
	v_ashrrev_i32_e32 v23, 31, v22
	global_load_dwordx2 v[32:33], v[12:13], off
	s_nop 0
	global_load_dwordx2 v[18:19], v[18:19], off
	v_add_co_u32_e64 v12, s[2:3], s20, v20
	v_add_u32_e32 v24, s46, v2
	v_lshlrev_b64 v[22:23], 3, v[22:23]
	v_addc_co_u32_e64 v13, s[2:3], v17, v21, s[2:3]
	s_add_i32 s45, s25, 0x400
	v_ashrrev_i32_e32 v25, 31, v24
	v_add_co_u32_e64 v20, s[2:3], s20, v22
	v_add_u32_e32 v26, s45, v2
	v_lshlrev_b64 v[24:25], 3, v[24:25]
	v_addc_co_u32_e64 v21, s[2:3], v17, v23, s[2:3]
	s_add_i32 s48, s24, 0x600
	v_ashrrev_i32_e32 v27, 31, v26
	v_add_co_u32_e64 v22, s[2:3], s20, v24
	v_add_u32_e32 v28, s48, v2
	v_lshlrev_b64 v[26:27], 3, v[26:27]
	v_addc_co_u32_e64 v23, s[2:3], v17, v25, s[2:3]
	s_add_i32 s47, s25, 0x600
	v_ashrrev_i32_e32 v29, 31, v28
	v_add_co_u32_e64 v24, s[2:3], s20, v26
	v_add_u32_e32 v30, s47, v2
	v_lshlrev_b64 v[28:29], 3, v[28:29]
	v_addc_co_u32_e64 v25, s[2:3], v17, v27, s[2:3]
	v_ashrrev_i32_e32 v31, 31, v30
	v_add_co_u32_e64 v26, s[2:3], s20, v28
	v_lshlrev_b64 v[30:31], 3, v[30:31]
	v_addc_co_u32_e64 v27, s[2:3], v17, v29, s[2:3]
	v_add_co_u32_e64 v28, s[2:3], s20, v30
	v_addc_co_u32_e64 v29, s[2:3], v17, v31, s[2:3]
	global_load_dwordx2 v[30:31], v[12:13], off
	s_nop 0
	global_load_dwordx2 v[20:21], v[20:21], off
	s_nop 0
	;; [unrolled: 2-line block ×5, first 2 shown]
	global_load_dwordx2 v[28:29], v[28:29], off
	v_add_u32_e32 v16, -4, v16
	v_add_lshl_u32 v48, s24, v0, 3
	v_add_lshl_u32 v49, s25, v0, 3
	s_addk_i32 s25, 0x800
	s_addk_i32 s24, 0x800
	v_cmp_eq_u32_e64 s[2:3], 0, v16
	v_add_lshl_u32 v50, s44, v0, 3
	v_pk_mov_b32 v[12:13], s[24:25], s[24:25] op_sel:[0,1]
	s_or_b64 s[38:39], s[2:3], s[38:39]
	v_add_lshl_u32 v51, s43, v0, 3
	v_add_lshl_u32 v52, s46, v0, 3
	;; [unrolled: 1-line block ×5, first 2 shown]
	s_waitcnt vmcnt(7)
	v_mov_b32_e32 v34, v32
	s_waitcnt vmcnt(6)
	v_mov_b32_e32 v35, v18
	v_mov_b32_e32 v18, v33
	v_pk_add_f32 v[36:37], v[18:19], 0 neg_lo:[1,1] neg_hi:[1,1]
	v_cndmask_b32_e64 v19, v19, v37, s[0:1]
	v_cndmask_b32_e64 v18, v33, v36, s[0:1]
	v_pk_mul_f32 v[46:47], v[18:19], v[6:7]
	v_pk_mul_f32 v[18:19], v[18:19], v[8:9]
	v_pk_fma_f32 v[18:19], v[10:11], v[34:35], v[18:19]
	s_waitcnt vmcnt(5)
	v_mov_b32_e32 v38, v30
	s_waitcnt vmcnt(4)
	v_mov_b32_e32 v39, v20
	v_mov_b32_e32 v20, v31
	s_waitcnt vmcnt(2)
	v_mov_b32_e32 v41, v24
	;; [unrolled: 3-line block ×3, first 2 shown]
	v_mov_b32_e32 v28, v27
	v_pk_add_f32 v[32:33], v[20:21], 0 neg_lo:[1,1] neg_hi:[1,1]
	v_pk_add_f32 v[36:37], v[24:25], 0 neg_lo:[1,1] neg_hi:[1,1]
	;; [unrolled: 1-line block ×3, first 2 shown]
	v_cndmask_b32_e64 v21, v21, v33, s[0:1]
	v_cndmask_b32_e64 v20, v31, v32, s[0:1]
	v_mov_b32_e32 v40, v22
	v_mov_b32_e32 v42, v26
	v_cndmask_b32_e64 v25, v25, v37, s[0:1]
	v_cndmask_b32_e64 v24, v23, v36, s[0:1]
	v_cndmask_b32_e64 v23, v29, v45, s[0:1]
	v_cndmask_b32_e64 v22, v27, v44, s[0:1]
	v_pk_fma_f32 v[26:27], v[8:9], v[34:35], v[46:47]
	v_pk_mul_f32 v[28:29], v[20:21], v[6:7]
	v_pk_mul_f32 v[20:21], v[20:21], v[8:9]
	;; [unrolled: 1-line block ×6, first 2 shown]
	v_mov_b32_e32 v34, v26
	v_mov_b32_e32 v35, v18
	;; [unrolled: 1-line block ×3, first 2 shown]
	v_pk_fma_f32 v[26:27], v[8:9], v[38:39], v[28:29]
	v_pk_fma_f32 v[20:21], v[10:11], v[38:39], v[20:21]
	;; [unrolled: 1-line block ×6, first 2 shown]
	ds_write_b64 v48, v[34:35]
	ds_write_b64 v49, v[18:19]
	v_mov_b32_e32 v18, v26
	v_mov_b32_e32 v19, v20
	;; [unrolled: 1-line block ×9, first 2 shown]
	ds_write_b64 v50, v[18:19]
	ds_write_b64 v51, v[20:21]
	;; [unrolled: 1-line block ×6, first 2 shown]
	s_andn2_b64 exec, exec, s[38:39]
	s_cbranch_execnz .LBB24_64
; %bb.65:
	s_or_b64 exec, exec, s[38:39]
.LBB24_66:
	s_or_b64 exec, exec, s[36:37]
	v_and_b32_e32 v15, 3, v15
	v_cmp_ne_u32_e64 s[2:3], 0, v15
	s_and_saveexec_b64 s[24:25], s[2:3]
	s_cbranch_execz .LBB24_69
; %bb.67:
	s_mov_b64 s[36:37], 0
	v_mov_b32_e32 v16, s21
.LBB24_68:                              ; =>This Inner Loop Header: Depth=1
	v_add_u32_e32 v18, v12, v2
	v_ashrrev_i32_e32 v19, 31, v18
	v_add_u32_e32 v20, v13, v2
	v_lshlrev_b64 v[18:19], 3, v[18:19]
	v_ashrrev_i32_e32 v21, 31, v20
	v_add_co_u32_e64 v18, s[2:3], s20, v18
	v_lshlrev_b64 v[20:21], 3, v[20:21]
	v_addc_co_u32_e64 v19, s[2:3], v16, v19, s[2:3]
	v_add_co_u32_e64 v20, s[2:3], s20, v20
	v_addc_co_u32_e64 v21, s[2:3], v16, v21, s[2:3]
	global_load_dwordx2 v[22:23], v[18:19], off
	global_load_dwordx2 v[24:25], v[20:21], off
	v_add_u32_e32 v15, -1, v15
	v_cmp_eq_u32_e64 s[2:3], 0, v15
	v_add_lshl_u32 v17, v12, v0, 3
	v_add_lshl_u32 v26, v13, v0, 3
	v_add_u32_e32 v13, 0x200, v13
	v_add_u32_e32 v12, 0x200, v12
	s_or_b64 s[36:37], s[2:3], s[36:37]
	s_waitcnt vmcnt(1)
	v_mov_b32_e32 v18, v22
	s_waitcnt vmcnt(0)
	v_mov_b32_e32 v19, v24
	v_mov_b32_e32 v24, v23
	v_pk_add_f32 v[20:21], v[24:25], 0 neg_lo:[1,1] neg_hi:[1,1]
	v_cndmask_b32_e64 v21, v25, v21, s[0:1]
	v_cndmask_b32_e64 v20, v23, v20, s[0:1]
	v_pk_mul_f32 v[22:23], v[20:21], v[6:7]
	v_pk_mul_f32 v[20:21], v[20:21], v[8:9]
	v_pk_fma_f32 v[22:23], v[8:9], v[18:19], v[22:23]
	v_pk_fma_f32 v[18:19], v[10:11], v[18:19], v[20:21]
	v_mov_b32_e32 v20, v22
	v_mov_b32_e32 v21, v18
	;; [unrolled: 1-line block ×3, first 2 shown]
	ds_write_b64 v17, v[20:21]
	ds_write_b64 v26, v[18:19]
	s_andn2_b64 exec, exec, s[36:37]
	s_cbranch_execnz .LBB24_68
.LBB24_69:
	s_or_b64 exec, exec, s[24:25]
	v_add_u32_e32 v6, 1, v3
	v_and_b32_e32 v7, 0x1fffffe, v6
	v_cmp_ne_u32_e64 s[2:3], v6, v7
	v_lshlrev_b32_e32 v3, 8, v7
	s_orn2_b64 s[24:25], s[2:3], exec
.LBB24_70:
	s_or_b64 exec, exec, s[14:15]
	s_andn2_b64 s[2:3], s[10:11], exec
	s_and_b64 s[10:11], s[24:25], exec
	s_or_b64 s[10:11], s[2:3], s[10:11]
.LBB24_71:
	s_or_b64 exec, exec, s[12:13]
	s_and_b64 exec, exec, s[10:11]
	s_cbranch_execz .LBB24_74
; %bb.72:
	v_lshlrev_b32_e32 v8, 3, v3
	v_xor_b32_e32 v6, 0x80000000, v5
	v_mov_b32_e32 v7, v4
	v_lshl_add_u32 v8, v0, 3, v8
	v_add_u32_e32 v3, v0, v3
	s_sub_i32 s12, s33, s34
	s_mov_b64 s[10:11], 0
	v_mov_b32_e32 v9, s21
.LBB24_73:                              ; =>This Inner Loop Header: Depth=1
	v_add_u32_e32 v10, s12, v3
	v_ashrrev_i32_e32 v11, 31, v10
	v_lshlrev_b64 v[10:11], 3, v[10:11]
	v_add_co_u32_e64 v10, s[2:3], s20, v10
	v_addc_co_u32_e64 v11, s[2:3], v9, v11, s[2:3]
	global_load_dwordx2 v[10:11], v[10:11], off
	v_add_u32_e32 v3, 0x100, v3
	v_cmp_le_i32_e64 s[2:3], s42, v3
	s_or_b64 s[10:11], s[2:3], s[10:11]
	s_waitcnt vmcnt(0)
	v_cndmask_b32_e64 v12, v11, -v11, s[0:1]
	v_pk_mul_f32 v[12:13], v[12:13], v[6:7] op_sel_hi:[0,1]
	v_pk_fma_f32 v[10:11], v[4:5], v[10:11], v[12:13] op_sel_hi:[1,0,1]
	ds_write_b64 v8, v[10:11]
	v_add_u32_e32 v8, 0x800, v8
	s_andn2_b64 exec, exec, s[10:11]
	s_cbranch_execnz .LBB24_73
.LBB24_74:
	s_or_b64 exec, exec, s[8:9]
                                        ; implicit-def: $vgpr5
.LBB24_75:
	s_or_saveexec_b64 s[4:5], s[4:5]
	s_and_b32 s24, s35, 0xffff
	s_add_i32 s40, s40, s41
	v_ashrrev_i32_e32 v3, 31, v2
	s_xor_b64 exec, exec, s[4:5]
	s_cbranch_execz .LBB24_77
; %bb.76:
	v_lshlrev_b64 v[6:7], 3, v[2:3]
	v_mov_b32_e32 v8, s21
	v_add_co_u32_e64 v6, s[2:3], s20, v6
	v_addc_co_u32_e64 v7, s[2:3], v8, v7, s[2:3]
	s_movk_i32 s2, 0x1000
	global_load_dwordx2 v[8:9], v[6:7], off
	global_load_dwordx2 v[10:11], v[6:7], off offset:2048
	v_add_co_u32_e64 v6, s[2:3], s2, v6
	v_addc_co_u32_e64 v7, s[2:3], 0, v7, s[2:3]
	global_load_dwordx2 v[12:13], v[6:7], off
	global_load_dwordx2 v[16:17], v[6:7], off offset:2048
	v_xor_b32_e32 v6, 0x80000000, v5
	v_mov_b32_e32 v7, v4
	s_waitcnt vmcnt(3)
	v_cndmask_b32_e64 v18, v9, -v9, s[0:1]
	s_waitcnt vmcnt(2)
	v_cndmask_b32_e64 v20, v11, -v11, s[0:1]
	v_pk_mul_f32 v[18:19], v[18:19], v[6:7] op_sel_hi:[0,1]
	v_pk_mul_f32 v[20:21], v[20:21], v[6:7] op_sel_hi:[0,1]
	v_pk_fma_f32 v[8:9], v[4:5], v[8:9], v[18:19] op_sel_hi:[1,0,1]
	s_waitcnt vmcnt(1)
	v_cndmask_b32_e64 v22, v13, -v13, s[0:1]
	s_waitcnt vmcnt(0)
	v_cndmask_b32_e64 v24, v17, -v17, s[0:1]
	v_pk_fma_f32 v[10:11], v[4:5], v[10:11], v[20:21] op_sel_hi:[1,0,1]
	v_pk_mul_f32 v[18:19], v[22:23], v[6:7] op_sel_hi:[0,1]
	v_pk_mul_f32 v[6:7], v[24:25], v[6:7] op_sel_hi:[0,1]
	ds_write2st64_b64 v1, v[8:9], v[10:11] offset1:4
	v_pk_fma_f32 v[8:9], v[4:5], v[12:13], v[18:19] op_sel_hi:[1,0,1]
	v_pk_fma_f32 v[4:5], v[4:5], v[16:17], v[6:7] op_sel_hi:[1,0,1]
	ds_write2st64_b64 v1, v[8:9], v[4:5] offset0:8 offset1:12
.LBB24_77:
	s_or_b64 exec, exec, s[4:5]
	s_mul_hi_u32 s20, s24, s40
	v_cmp_gt_i32_e64 s[0:1], s26, v0
	s_and_saveexec_b64 s[2:3], s[0:1]
	s_cbranch_execz .LBB24_80
; %bb.78:
	v_mov_b32_e32 v4, 0x2000
	v_lshl_add_u32 v4, v0, 3, v4
	s_mov_b64 s[4:5], 0
	v_mov_b32_e32 v5, 0
	v_mov_b32_e32 v6, v0
.LBB24_79:                              ; =>This Inner Loop Header: Depth=1
	v_add_u32_e32 v6, 0x100, v6
	v_cmp_le_i32_e64 s[0:1], s26, v6
	ds_write2_b32 v4, v5, v5 offset1:1
	s_or_b64 s[4:5], s[0:1], s[4:5]
	v_add_u32_e32 v4, 0x800, v4
	s_andn2_b64 exec, exec, s[4:5]
	s_cbranch_execnz .LBB24_79
.LBB24_80:
	s_or_b64 exec, exec, s[2:3]
	s_sub_i32 s0, s31, s26
	s_cmp_ge_i32 s31, s26
	s_cselect_b32 s21, s0, 0
	s_waitcnt lgkmcnt(0)
	s_barrier
	s_and_saveexec_b64 s[0:1], vcc
	s_xor_b64 s[4:5], exec, s[0:1]
	s_cbranch_execz .LBB24_101
; %bb.81:
	s_ashr_i32 s1, s31, 31
	s_mov_b32 s0, s31
	s_lshl_b64 s[0:1], s[0:1], 2
	s_add_u32 s0, s16, s0
	s_addc_u32 s1, s17, s1
	s_load_dword s0, s[0:1], 0x0
	s_waitcnt lgkmcnt(0)
	s_sub_i32 s25, s0, s33
	v_cmp_gt_i32_e32 vcc, s25, v0
	s_and_saveexec_b64 s[8:9], vcc
	s_cbranch_execz .LBB24_100
; %bb.82:
	s_add_i32 s35, s31, -1
	s_cmp_gt_i32 s35, s30
	s_cselect_b64 s[2:3], -1, 0
	s_add_i32 s1, s31, -2
	s_cmp_lg_u32 s1, s30
	s_cselect_b64 s[12:13], -1, 0
	s_sub_i32 s36, s0, s34
	s_and_b64 s[0:1], s[2:3], s[12:13]
	v_cndmask_b32_e64 v3, 0, 1, s[0:1]
	s_mov_b32 s37, 0
	s_mov_b64 s[10:11], 0
	v_cmp_ne_u32_e64 s[0:1], 1, v3
	v_mov_b32_e32 v3, s17
	v_mov_b32_e32 v14, s19
	;; [unrolled: 1-line block ×3, first 2 shown]
	s_branch .LBB24_85
.LBB24_83:                              ;   in Loop: Header=BB24_85 Depth=1
	s_or_b64 exec, exec, s[2:3]
.LBB24_84:                              ;   in Loop: Header=BB24_85 Depth=1
	s_or_b64 exec, exec, s[12:13]
	v_ashrrev_i32_e32 v5, 31, v4
	v_lshlrev_b64 v[4:5], 3, v[4:5]
	v_mov_b32_e32 v9, s23
	v_add_co_u32_e32 v4, vcc, s22, v4
	v_addc_co_u32_e32 v5, vcc, v9, v5, vcc
	global_load_dwordx2 v[4:5], v[4:5], off
	s_addk_i32 s37, 0x100
	v_mov_b32_e32 v9, v6
	v_add_u32_e32 v10, s37, v0
	v_cmp_le_i32_e32 vcc, s25, v10
	s_or_b64 s[10:11], vcc, s[10:11]
	s_waitcnt vmcnt(0)
	v_pk_mul_f32 v[8:9], v[4:5], v[8:9] op_sel:[1,0]
	v_pk_fma_f32 v[4:5], v[6:7], v[4:5], v[8:9] op_sel_hi:[1,0,1]
	ds_write_b64 v16, v[4:5]
	s_andn2_b64 exec, exec, s[10:11]
	s_cbranch_execz .LBB24_100
.LBB24_85:                              ; =>This Loop Header: Depth=1
                                        ;     Child Loop BB24_87 Depth 2
                                        ;     Child Loop BB24_94 Depth 2
	;; [unrolled: 1-line block ×3, first 2 shown]
	v_add_u32_e32 v6, s37, v2
	s_and_b64 vcc, exec, s[0:1]
	v_mov_b32_e32 v5, s30
	v_mov_b32_e32 v8, s35
	s_cbranch_vccnz .LBB24_89
; %bb.86:                               ;   in Loop: Header=BB24_85 Depth=1
	s_mov_b64 s[12:13], 0
	v_mov_b32_e32 v5, s30
	v_mov_b32_e32 v8, s35
.LBB24_87:                              ;   Parent Loop BB24_85 Depth=1
                                        ; =>  This Inner Loop Header: Depth=2
	v_add_u32_e32 v4, v8, v5
	v_lshrrev_b32_e32 v9, 31, v4
	v_add_u32_e32 v4, v4, v9
	v_ashrrev_i32_e32 v10, 1, v4
	v_ashrrev_i32_e32 v11, 31, v10
	v_lshlrev_b64 v[12:13], 2, v[10:11]
	v_mov_b32_e32 v7, s17
	v_add_co_u32_e32 v12, vcc, s16, v12
	v_addc_co_u32_e32 v13, vcc, v7, v13, vcc
	global_load_dword v4, v[12:13], off
	s_waitcnt vmcnt(0)
	v_subrev_u32_e32 v4, s34, v4
	v_cmp_gt_i32_e32 vcc, v4, v6
	v_cndmask_b32_e32 v8, v8, v10, vcc
	v_cndmask_b32_e32 v5, v10, v5, vcc
	v_add_u32_e32 v4, -1, v8
	v_cmp_ge_i32_e32 vcc, v5, v8
	v_cmp_eq_u32_e64 s[2:3], v5, v4
	s_or_b64 s[2:3], vcc, s[2:3]
	s_and_b64 s[2:3], exec, s[2:3]
	s_or_b64 s[12:13], s[2:3], s[12:13]
	s_andn2_b64 exec, exec, s[12:13]
	s_cbranch_execnz .LBB24_87
; %bb.88:                               ;   in Loop: Header=BB24_85 Depth=1
	s_or_b64 exec, exec, s[12:13]
.LBB24_89:                              ;   in Loop: Header=BB24_85 Depth=1
	v_ashrrev_i32_e32 v9, 31, v8
	v_lshlrev_b64 v[10:11], 2, v[8:9]
	v_add_co_u32_e32 v10, vcc, s16, v10
	v_addc_co_u32_e32 v11, vcc, v3, v11, vcc
	v_ashrrev_i32_e32 v7, 31, v6
	global_load_dword v4, v[10:11], off
	v_lshlrev_b64 v[10:11], 2, v[6:7]
	v_add_co_u32_e32 v10, vcc, s18, v10
	v_addc_co_u32_e32 v11, vcc, v14, v11, vcc
	global_load_dword v7, v[10:11], off
	v_cmp_le_i32_e32 vcc, s36, v6
	v_lshl_add_u32 v16, s37, 3, v1
	s_waitcnt vmcnt(1)
	v_subrev_u32_e32 v9, s34, v4
	v_cmp_gt_i32_e64 s[2:3], v9, v6
	v_cndmask_b32_e64 v10, v8, v5, s[2:3]
                                        ; implicit-def: $vgpr8
	s_waitcnt vmcnt(0)
	v_subrev_u32_e32 v4, s34, v7
	v_cmp_eq_u32_e64 s[2:3], v4, v10
	s_or_b64 s[2:3], s[2:3], vcc
                                        ; implicit-def: $vgpr6_vgpr7
	s_and_saveexec_b64 s[12:13], s[2:3]
	s_xor_b64 s[2:3], exec, s[12:13]
	s_cbranch_execz .LBB24_91
; %bb.90:                               ;   in Loop: Header=BB24_85 Depth=1
	ds_read_b64 v[6:7], v16
                                        ; implicit-def: $vgpr10
	s_waitcnt lgkmcnt(0)
	v_xor_b32_e32 v8, 0x80000000, v7
.LBB24_91:                              ;   in Loop: Header=BB24_85 Depth=1
	s_andn2_saveexec_b64 s[12:13], s[2:3]
	s_cbranch_execz .LBB24_84
; %bb.92:                               ;   in Loop: Header=BB24_85 Depth=1
	v_ashrrev_i32_e32 v11, 31, v10
	v_lshlrev_b64 v[6:7], 3, v[10:11]
	v_mov_b32_e32 v5, s23
	v_add_co_u32_e32 v6, vcc, s22, v6
	v_addc_co_u32_e32 v7, vcc, v5, v7, vcc
	global_load_dwordx2 v[10:11], v[6:7], off
	ds_read_b64 v[6:7], v16
	v_cmp_gt_i32_e32 vcc, s21, v4
	v_cmp_le_i32_e64 s[2:3], s31, v4
	s_or_b64 s[2:3], vcc, s[2:3]
	s_waitcnt lgkmcnt(0)
	v_xor_b32_e32 v8, 0x80000000, v7
	s_waitcnt vmcnt(0)
	v_mul_f32_e64 v17, v11, -v7
	v_mul_f32_e32 v9, v11, v6
	v_fmac_f32_e32 v17, v6, v10
	v_fmac_f32_e32 v9, v7, v10
	s_and_saveexec_b64 s[14:15], s[2:3]
	s_xor_b64 s[2:3], exec, s[14:15]
	s_cbranch_execz .LBB24_98
; %bb.93:                               ;   in Loop: Header=BB24_85 Depth=1
	v_ashrrev_i32_e32 v5, 31, v4
	v_lshlrev_b64 v[10:11], 3, v[4:5]
	v_mov_b32_e32 v5, s29
	v_add_co_u32_e32 v10, vcc, s28, v10
	v_addc_co_u32_e32 v11, vcc, v5, v11, vcc
	global_load_dword v13, v[10:11], off
	s_mov_b64 s[14:15], 0
.LBB24_94:                              ;   Parent Loop BB24_85 Depth=1
                                        ; =>  This Inner Loop Header: Depth=2
	s_waitcnt vmcnt(0)
	v_add_f32_e32 v12, v13, v17
	global_atomic_cmpswap v5, v[10:11], v[12:13], off glc
	s_waitcnt vmcnt(0)
	v_cmp_eq_u32_e32 vcc, v5, v13
	s_or_b64 s[14:15], vcc, s[14:15]
	v_mov_b32_e32 v13, v5
	s_andn2_b64 exec, exec, s[14:15]
	s_cbranch_execnz .LBB24_94
; %bb.95:                               ;   in Loop: Header=BB24_85 Depth=1
	s_or_b64 exec, exec, s[14:15]
	global_load_dword v13, v[10:11], off offset:4
	s_mov_b64 s[14:15], 0
.LBB24_96:                              ;   Parent Loop BB24_85 Depth=1
                                        ; =>  This Inner Loop Header: Depth=2
	s_waitcnt vmcnt(0)
	v_add_f32_e32 v12, v13, v9
	global_atomic_cmpswap v5, v[10:11], v[12:13], off offset:4 glc
	s_waitcnt vmcnt(0)
	v_cmp_eq_u32_e32 vcc, v5, v13
	s_or_b64 s[14:15], vcc, s[14:15]
	v_mov_b32_e32 v13, v5
	s_andn2_b64 exec, exec, s[14:15]
	s_cbranch_execnz .LBB24_96
; %bb.97:                               ;   in Loop: Header=BB24_85 Depth=1
	s_or_b64 exec, exec, s[14:15]
                                        ; implicit-def: $vgpr17
                                        ; implicit-def: $vgpr9
.LBB24_98:                              ;   in Loop: Header=BB24_85 Depth=1
	s_andn2_saveexec_b64 s[2:3], s[2:3]
	s_cbranch_execz .LBB24_83
; %bb.99:                               ;   in Loop: Header=BB24_85 Depth=1
	v_subrev_u32_e32 v5, s21, v4
	v_lshl_add_u32 v5, v5, 3, v15
	ds_add_f32 v5, v17
	ds_add_f32 v5, v9 offset:4
	s_branch .LBB24_83
.LBB24_100:
	s_or_b64 exec, exec, s[8:9]
                                        ; implicit-def: $vgpr14
                                        ; implicit-def: $vgpr2
.LBB24_101:
	s_andn2_saveexec_b64 s[4:5], s[4:5]
	s_cbranch_execz .LBB24_159
; %bb.102:
	s_add_i32 s14, s31, -1
	s_cmp_le_i32 s14, s30
	s_cselect_b64 s[0:1], -1, 0
	s_add_i32 s2, s31, -2
	s_cmp_eq_u32 s2, s30
	s_cselect_b64 s[2:3], -1, 0
	s_or_b64 s[2:3], s[0:1], s[2:3]
	s_and_b64 vcc, exec, s[2:3]
	v_mov_b32_e32 v8, s30
	v_mov_b32_e32 v6, s14
	s_cbranch_vccnz .LBB24_106
; %bb.103:
	s_mov_b64 s[8:9], 0
	v_mov_b32_e32 v8, s30
	v_mov_b32_e32 v6, s14
	;; [unrolled: 1-line block ×3, first 2 shown]
.LBB24_104:                             ; =>This Inner Loop Header: Depth=1
	v_add_u32_e32 v5, v6, v8
	v_lshrrev_b32_e32 v7, 31, v5
	v_add_u32_e32 v5, v5, v7
	v_ashrrev_i32_e32 v10, 1, v5
	v_ashrrev_i32_e32 v11, 31, v10
	v_lshlrev_b64 v[12:13], 2, v[10:11]
	v_add_co_u32_e32 v12, vcc, s16, v12
	v_addc_co_u32_e32 v13, vcc, v4, v13, vcc
	global_load_dword v5, v[12:13], off
	s_waitcnt vmcnt(0)
	v_subrev_u32_e32 v5, s34, v5
	v_cmp_gt_i32_e32 vcc, v5, v2
	v_cndmask_b32_e32 v6, v6, v10, vcc
	v_cndmask_b32_e32 v8, v10, v8, vcc
	v_add_u32_e32 v5, -1, v6
	v_cmp_ge_i32_e32 vcc, v8, v6
	v_cmp_eq_u32_e64 s[0:1], v8, v5
	s_or_b64 s[0:1], vcc, s[0:1]
	s_and_b64 s[0:1], exec, s[0:1]
	s_or_b64 s[8:9], s[0:1], s[8:9]
	s_andn2_b64 exec, exec, s[8:9]
	s_cbranch_execnz .LBB24_104
; %bb.105:
	s_or_b64 exec, exec, s[8:9]
.LBB24_106:
	v_ashrrev_i32_e32 v7, 31, v6
	v_lshlrev_b64 v[4:5], 2, v[6:7]
	v_mov_b32_e32 v7, s17
	v_add_co_u32_e32 v4, vcc, s16, v4
	v_addc_co_u32_e32 v5, vcc, v7, v5, vcc
	global_load_dword v7, v[4:5], off
	v_lshlrev_b64 v[4:5], 2, v[2:3]
	v_mov_b32_e32 v3, s19
	v_add_co_u32_e32 v4, vcc, s18, v4
	v_addc_co_u32_e32 v5, vcc, v3, v5, vcc
	global_load_dword v3, v[4:5], off
	s_ashr_i32 s1, s31, 31
	s_mov_b32 s0, s31
	s_xor_b64 s[2:3], s[2:3], -1
	s_lshl_b64 s[0:1], s[0:1], 2
	s_add_u32 s8, s16, s0
	s_addc_u32 s9, s17, s1
	s_waitcnt vmcnt(1)
	v_subrev_u32_e32 v7, s34, v7
	v_cmp_gt_i32_e32 vcc, v7, v2
	v_cndmask_b32_e32 v8, v6, v8, vcc
	s_waitcnt vmcnt(0)
	v_subrev_u32_e32 v6, s34, v3
	v_cmp_ne_u32_e32 vcc, v6, v8
	s_and_saveexec_b64 s[10:11], vcc
	s_cbranch_execz .LBB24_116
; %bb.107:
	s_load_dword s0, s[8:9], 0x0
	s_waitcnt lgkmcnt(0)
	s_sub_i32 s0, s0, s34
	v_cmp_gt_i32_e32 vcc, s0, v2
	s_and_b64 exec, exec, vcc
	s_cbranch_execz .LBB24_116
; %bb.108:
	v_ashrrev_i32_e32 v9, 31, v8
	v_lshlrev_b64 v[8:9], 3, v[8:9]
	v_mov_b32_e32 v3, s23
	v_add_co_u32_e32 v8, vcc, s22, v8
	v_addc_co_u32_e32 v9, vcc, v3, v9, vcc
	global_load_dwordx2 v[8:9], v[8:9], off
	ds_read_b64 v[10:11], v1
	v_cmp_gt_i32_e32 vcc, s21, v6
	v_cmp_le_i32_e64 s[0:1], s31, v6
	s_or_b64 s[0:1], vcc, s[0:1]
	s_waitcnt vmcnt(0) lgkmcnt(0)
	v_mul_f32_e64 v12, v9, -v11
	v_mul_f32_e32 v3, v9, v10
	v_fmac_f32_e32 v12, v10, v8
	v_fmac_f32_e32 v3, v11, v8
	s_and_saveexec_b64 s[12:13], s[0:1]
	s_xor_b64 s[0:1], exec, s[12:13]
	s_cbranch_execz .LBB24_114
; %bb.109:
	v_ashrrev_i32_e32 v7, 31, v6
	v_lshlrev_b64 v[8:9], 3, v[6:7]
	v_mov_b32_e32 v7, s29
	v_add_co_u32_e32 v8, vcc, s28, v8
	v_addc_co_u32_e32 v9, vcc, v7, v9, vcc
	global_load_dword v11, v[8:9], off
	s_mov_b64 s[12:13], 0
.LBB24_110:                             ; =>This Inner Loop Header: Depth=1
	s_waitcnt vmcnt(0)
	v_add_f32_e32 v10, v11, v12
	global_atomic_cmpswap v7, v[8:9], v[10:11], off glc
	s_waitcnt vmcnt(0)
	v_cmp_eq_u32_e32 vcc, v7, v11
	s_or_b64 s[12:13], vcc, s[12:13]
	v_mov_b32_e32 v11, v7
	s_andn2_b64 exec, exec, s[12:13]
	s_cbranch_execnz .LBB24_110
; %bb.111:
	s_or_b64 exec, exec, s[12:13]
	global_load_dword v11, v[8:9], off offset:4
	s_mov_b64 s[12:13], 0
.LBB24_112:                             ; =>This Inner Loop Header: Depth=1
	s_waitcnt vmcnt(0)
	v_add_f32_e32 v10, v11, v3
	global_atomic_cmpswap v7, v[8:9], v[10:11], off offset:4 glc
	s_waitcnt vmcnt(0)
	v_cmp_eq_u32_e32 vcc, v7, v11
	s_or_b64 s[12:13], vcc, s[12:13]
	v_mov_b32_e32 v11, v7
	s_andn2_b64 exec, exec, s[12:13]
	s_cbranch_execnz .LBB24_112
; %bb.113:
	s_or_b64 exec, exec, s[12:13]
                                        ; implicit-def: $vgpr12
                                        ; implicit-def: $vgpr3
.LBB24_114:
	s_andn2_saveexec_b64 s[0:1], s[0:1]
	s_cbranch_execz .LBB24_116
; %bb.115:
	v_subrev_u32_e32 v7, s21, v6
	v_mov_b32_e32 v8, 0x2000
	v_lshl_add_u32 v7, v7, 3, v8
	ds_add_f32 v7, v12
	ds_add_f32 v7, v3 offset:4
.LBB24_116:
	s_or_b64 exec, exec, s[10:11]
	v_ashrrev_i32_e32 v7, 31, v6
	v_lshlrev_b64 v[6:7], 3, v[6:7]
	v_mov_b32_e32 v3, s23
	v_add_co_u32_e32 v6, vcc, s22, v6
	v_addc_co_u32_e32 v7, vcc, v3, v7, vcc
	global_load_dwordx2 v[6:7], v[6:7], off
	ds_read_b64 v[10:11], v1
	v_cndmask_b32_e64 v9, 0, 1, s[2:3]
	v_add_u32_e32 v3, 0x100, v2
	v_mov_b32_e32 v8, s30
	v_cmp_ne_u32_e64 s[0:1], 1, v9
	s_andn2_b64 vcc, exec, s[2:3]
	s_waitcnt vmcnt(0) lgkmcnt(0)
	v_pk_mul_f32 v[12:13], v[6:7], v[10:11] op_sel:[1,1] op_sel_hi:[1,0] neg_lo:[0,1]
	v_pk_fma_f32 v[6:7], v[10:11], v[6:7], v[12:13] op_sel_hi:[1,0,1]
	ds_write_b64 v1, v[6:7]
	v_mov_b32_e32 v6, s14
	s_cbranch_vccnz .LBB24_120
; %bb.117:
	s_mov_b64 s[10:11], 0
	v_mov_b32_e32 v8, s30
	v_mov_b32_e32 v6, s14
	;; [unrolled: 1-line block ×3, first 2 shown]
.LBB24_118:                             ; =>This Inner Loop Header: Depth=1
	v_add_u32_e32 v9, v6, v8
	v_lshrrev_b32_e32 v10, 31, v9
	v_add_u32_e32 v9, v9, v10
	v_ashrrev_i32_e32 v10, 1, v9
	v_ashrrev_i32_e32 v11, 31, v10
	v_lshlrev_b64 v[12:13], 2, v[10:11]
	v_add_co_u32_e32 v12, vcc, s16, v12
	v_addc_co_u32_e32 v13, vcc, v7, v13, vcc
	global_load_dword v9, v[12:13], off
	s_waitcnt vmcnt(0)
	v_subrev_u32_e32 v9, s34, v9
	v_cmp_gt_i32_e32 vcc, v9, v3
	v_cndmask_b32_e32 v6, v6, v10, vcc
	v_cndmask_b32_e32 v8, v10, v8, vcc
	v_add_u32_e32 v9, -1, v6
	v_cmp_ge_i32_e32 vcc, v8, v6
	v_cmp_eq_u32_e64 s[2:3], v8, v9
	s_or_b64 s[2:3], vcc, s[2:3]
	s_and_b64 s[2:3], exec, s[2:3]
	s_or_b64 s[10:11], s[2:3], s[10:11]
	s_andn2_b64 exec, exec, s[10:11]
	s_cbranch_execnz .LBB24_118
; %bb.119:
	s_or_b64 exec, exec, s[10:11]
.LBB24_120:
	v_ashrrev_i32_e32 v7, 31, v6
	v_lshlrev_b64 v[10:11], 2, v[6:7]
	v_mov_b32_e32 v7, s17
	v_add_co_u32_e32 v10, vcc, s16, v10
	v_addc_co_u32_e32 v11, vcc, v7, v11, vcc
	global_load_dword v7, v[10:11], off
	global_load_dword v9, v[4:5], off offset:1024
	s_waitcnt vmcnt(1)
	v_subrev_u32_e32 v7, s34, v7
	v_cmp_gt_i32_e32 vcc, v7, v3
	v_cndmask_b32_e32 v8, v6, v8, vcc
	s_waitcnt vmcnt(0)
	v_subrev_u32_e32 v6, s34, v9
	v_cmp_ne_u32_e32 vcc, v6, v8
	s_and_saveexec_b64 s[10:11], vcc
	s_cbranch_execz .LBB24_130
; %bb.121:
	s_load_dword s2, s[8:9], 0x0
	s_waitcnt lgkmcnt(0)
	s_sub_i32 s2, s2, s34
	v_cmp_gt_i32_e32 vcc, s2, v3
	s_and_b64 exec, exec, vcc
	s_cbranch_execz .LBB24_130
; %bb.122:
	v_ashrrev_i32_e32 v9, 31, v8
	v_lshlrev_b64 v[8:9], 3, v[8:9]
	v_mov_b32_e32 v3, s23
	v_add_co_u32_e32 v8, vcc, s22, v8
	v_addc_co_u32_e32 v9, vcc, v3, v9, vcc
	global_load_dwordx2 v[8:9], v[8:9], off
	ds_read_b64 v[10:11], v1 offset:2048
	v_cmp_gt_i32_e32 vcc, s21, v6
	v_cmp_le_i32_e64 s[2:3], s31, v6
	s_or_b64 s[2:3], vcc, s[2:3]
	s_waitcnt vmcnt(0) lgkmcnt(0)
	v_mul_f32_e64 v12, v9, -v11
	v_mul_f32_e32 v3, v9, v10
	v_fmac_f32_e32 v12, v10, v8
	v_fmac_f32_e32 v3, v11, v8
	s_and_saveexec_b64 s[12:13], s[2:3]
	s_xor_b64 s[2:3], exec, s[12:13]
	s_cbranch_execz .LBB24_128
; %bb.123:
	v_ashrrev_i32_e32 v7, 31, v6
	v_lshlrev_b64 v[8:9], 3, v[6:7]
	v_mov_b32_e32 v7, s29
	v_add_co_u32_e32 v8, vcc, s28, v8
	v_addc_co_u32_e32 v9, vcc, v7, v9, vcc
	global_load_dword v11, v[8:9], off
	s_mov_b64 s[12:13], 0
.LBB24_124:                             ; =>This Inner Loop Header: Depth=1
	s_waitcnt vmcnt(0)
	v_add_f32_e32 v10, v11, v12
	global_atomic_cmpswap v7, v[8:9], v[10:11], off glc
	s_waitcnt vmcnt(0)
	v_cmp_eq_u32_e32 vcc, v7, v11
	s_or_b64 s[12:13], vcc, s[12:13]
	v_mov_b32_e32 v11, v7
	s_andn2_b64 exec, exec, s[12:13]
	s_cbranch_execnz .LBB24_124
; %bb.125:
	s_or_b64 exec, exec, s[12:13]
	global_load_dword v11, v[8:9], off offset:4
	s_mov_b64 s[12:13], 0
.LBB24_126:                             ; =>This Inner Loop Header: Depth=1
	s_waitcnt vmcnt(0)
	v_add_f32_e32 v10, v11, v3
	global_atomic_cmpswap v7, v[8:9], v[10:11], off offset:4 glc
	s_waitcnt vmcnt(0)
	v_cmp_eq_u32_e32 vcc, v7, v11
	s_or_b64 s[12:13], vcc, s[12:13]
	v_mov_b32_e32 v11, v7
	s_andn2_b64 exec, exec, s[12:13]
	s_cbranch_execnz .LBB24_126
; %bb.127:
	s_or_b64 exec, exec, s[12:13]
                                        ; implicit-def: $vgpr12
                                        ; implicit-def: $vgpr3
.LBB24_128:
	s_andn2_saveexec_b64 s[2:3], s[2:3]
	s_cbranch_execz .LBB24_130
; %bb.129:
	v_subrev_u32_e32 v7, s21, v6
	v_mov_b32_e32 v8, 0x2000
	v_lshl_add_u32 v7, v7, 3, v8
	ds_add_f32 v7, v12
	ds_add_f32 v7, v3 offset:4
.LBB24_130:
	s_or_b64 exec, exec, s[10:11]
	v_ashrrev_i32_e32 v7, 31, v6
	v_lshlrev_b64 v[6:7], 3, v[6:7]
	v_mov_b32_e32 v3, s23
	v_add_co_u32_e32 v6, vcc, s22, v6
	v_addc_co_u32_e32 v7, vcc, v3, v7, vcc
	global_load_dwordx2 v[8:9], v[6:7], off
	ds_read_b64 v[10:11], v1 offset:2048
	v_add_u32_e32 v7, 0x200, v2
	s_and_b64 vcc, exec, s[0:1]
	v_mov_b32_e32 v6, s30
	s_waitcnt vmcnt(0) lgkmcnt(0)
	v_pk_mul_f32 v[2:3], v[8:9], v[10:11] op_sel:[1,1] op_sel_hi:[1,0] neg_lo:[0,1]
	v_pk_fma_f32 v[2:3], v[10:11], v[8:9], v[2:3] op_sel_hi:[1,0,1]
	ds_write_b64 v1, v[2:3] offset:2048
	v_mov_b32_e32 v2, s14
	s_cbranch_vccnz .LBB24_134
; %bb.131:
	s_mov_b64 s[10:11], 0
	v_mov_b32_e32 v6, s30
	v_mov_b32_e32 v2, s14
	;; [unrolled: 1-line block ×3, first 2 shown]
.LBB24_132:                             ; =>This Inner Loop Header: Depth=1
	v_add_u32_e32 v8, v2, v6
	v_lshrrev_b32_e32 v9, 31, v8
	v_add_u32_e32 v8, v8, v9
	v_ashrrev_i32_e32 v8, 1, v8
	v_ashrrev_i32_e32 v9, 31, v8
	v_lshlrev_b64 v[10:11], 2, v[8:9]
	v_add_co_u32_e32 v10, vcc, s16, v10
	v_addc_co_u32_e32 v11, vcc, v3, v11, vcc
	global_load_dword v9, v[10:11], off
	s_waitcnt vmcnt(0)
	v_subrev_u32_e32 v9, s34, v9
	v_cmp_gt_i32_e32 vcc, v9, v7
	v_cndmask_b32_e32 v2, v2, v8, vcc
	v_cndmask_b32_e32 v6, v8, v6, vcc
	v_add_u32_e32 v8, -1, v2
	v_cmp_ge_i32_e32 vcc, v6, v2
	v_cmp_eq_u32_e64 s[2:3], v6, v8
	s_or_b64 s[2:3], vcc, s[2:3]
	s_and_b64 s[2:3], exec, s[2:3]
	s_or_b64 s[10:11], s[2:3], s[10:11]
	s_andn2_b64 exec, exec, s[10:11]
	s_cbranch_execnz .LBB24_132
; %bb.133:
	s_or_b64 exec, exec, s[10:11]
.LBB24_134:
	v_ashrrev_i32_e32 v3, 31, v2
	v_lshlrev_b64 v[8:9], 2, v[2:3]
	v_mov_b32_e32 v3, s17
	v_add_co_u32_e32 v8, vcc, s16, v8
	v_addc_co_u32_e32 v9, vcc, v3, v9, vcc
	global_load_dword v3, v[8:9], off
	global_load_dword v10, v[4:5], off offset:2048
	s_waitcnt vmcnt(1)
	v_subrev_u32_e32 v3, s34, v3
	v_cmp_gt_i32_e32 vcc, v3, v7
	v_cndmask_b32_e32 v6, v2, v6, vcc
	s_waitcnt vmcnt(0)
	v_subrev_u32_e32 v2, s34, v10
	v_cmp_ne_u32_e32 vcc, v2, v6
	s_and_saveexec_b64 s[10:11], vcc
	s_cbranch_execz .LBB24_144
; %bb.135:
	s_load_dword s2, s[8:9], 0x0
	s_waitcnt lgkmcnt(0)
	s_sub_i32 s2, s2, s34
	v_cmp_gt_i32_e32 vcc, s2, v7
	s_and_b64 exec, exec, vcc
	s_cbranch_execz .LBB24_144
; %bb.136:
	v_ashrrev_i32_e32 v7, 31, v6
	v_lshlrev_b64 v[6:7], 3, v[6:7]
	v_mov_b32_e32 v3, s23
	v_add_co_u32_e32 v6, vcc, s22, v6
	v_addc_co_u32_e32 v7, vcc, v3, v7, vcc
	global_load_dwordx2 v[6:7], v[6:7], off
	ds_read_b64 v[8:9], v1 offset:4096
	v_cmp_gt_i32_e32 vcc, s21, v2
	v_cmp_le_i32_e64 s[2:3], s31, v2
	s_or_b64 s[2:3], vcc, s[2:3]
	s_waitcnt vmcnt(0) lgkmcnt(0)
	v_mul_f32_e64 v11, v7, -v9
	v_mul_f32_e32 v10, v7, v8
	v_fmac_f32_e32 v11, v8, v6
	v_fmac_f32_e32 v10, v9, v6
	s_and_saveexec_b64 s[12:13], s[2:3]
	s_xor_b64 s[2:3], exec, s[12:13]
	s_cbranch_execz .LBB24_142
; %bb.137:
	v_ashrrev_i32_e32 v3, 31, v2
	v_lshlrev_b64 v[6:7], 3, v[2:3]
	v_mov_b32_e32 v3, s29
	v_add_co_u32_e32 v6, vcc, s28, v6
	v_addc_co_u32_e32 v7, vcc, v3, v7, vcc
	global_load_dword v9, v[6:7], off
	s_mov_b64 s[12:13], 0
.LBB24_138:                             ; =>This Inner Loop Header: Depth=1
	s_waitcnt vmcnt(0)
	v_add_f32_e32 v8, v9, v11
	global_atomic_cmpswap v3, v[6:7], v[8:9], off glc
	s_waitcnt vmcnt(0)
	v_cmp_eq_u32_e32 vcc, v3, v9
	s_or_b64 s[12:13], vcc, s[12:13]
	v_mov_b32_e32 v9, v3
	s_andn2_b64 exec, exec, s[12:13]
	s_cbranch_execnz .LBB24_138
; %bb.139:
	s_or_b64 exec, exec, s[12:13]
	global_load_dword v9, v[6:7], off offset:4
	s_mov_b64 s[12:13], 0
.LBB24_140:                             ; =>This Inner Loop Header: Depth=1
	s_waitcnt vmcnt(0)
	v_add_f32_e32 v8, v9, v10
	global_atomic_cmpswap v3, v[6:7], v[8:9], off offset:4 glc
	s_waitcnt vmcnt(0)
	v_cmp_eq_u32_e32 vcc, v3, v9
	s_or_b64 s[12:13], vcc, s[12:13]
	v_mov_b32_e32 v9, v3
	s_andn2_b64 exec, exec, s[12:13]
	s_cbranch_execnz .LBB24_140
; %bb.141:
	s_or_b64 exec, exec, s[12:13]
                                        ; implicit-def: $vgpr11
                                        ; implicit-def: $vgpr10
.LBB24_142:
	s_andn2_saveexec_b64 s[2:3], s[2:3]
	s_cbranch_execz .LBB24_144
; %bb.143:
	v_subrev_u32_e32 v3, s21, v2
	v_mov_b32_e32 v6, 0x2000
	v_lshl_add_u32 v3, v3, 3, v6
	ds_add_f32 v3, v11
	ds_add_f32 v3, v10 offset:4
.LBB24_144:
	s_or_b64 exec, exec, s[10:11]
	v_ashrrev_i32_e32 v3, 31, v2
	v_lshlrev_b64 v[2:3], 3, v[2:3]
	v_mov_b32_e32 v6, s23
	v_add_co_u32_e32 v2, vcc, s22, v2
	v_addc_co_u32_e32 v3, vcc, v6, v3, vcc
	global_load_dwordx2 v[2:3], v[2:3], off
	ds_read_b64 v[8:9], v1 offset:4096
	s_and_b64 vcc, exec, s[0:1]
	v_mov_b32_e32 v6, s30
	s_waitcnt vmcnt(0) lgkmcnt(0)
	v_pk_mul_f32 v[10:11], v[2:3], v[8:9] op_sel:[1,1] op_sel_hi:[1,0] neg_lo:[0,1]
	v_pk_fma_f32 v[2:3], v[8:9], v[2:3], v[10:11] op_sel_hi:[1,0,1]
	ds_write_b64 v1, v[2:3] offset:4096
	v_mov_b32_e32 v2, s14
	s_cbranch_vccnz .LBB24_148
; %bb.145:
	s_mov_b64 s[2:3], 0
	v_mov_b32_e32 v6, s30
	v_mov_b32_e32 v2, s14
	;; [unrolled: 1-line block ×3, first 2 shown]
.LBB24_146:                             ; =>This Inner Loop Header: Depth=1
	v_add_u32_e32 v7, v2, v6
	v_lshrrev_b32_e32 v8, 31, v7
	v_add_u32_e32 v7, v7, v8
	v_ashrrev_i32_e32 v8, 1, v7
	v_ashrrev_i32_e32 v9, 31, v8
	v_lshlrev_b64 v[10:11], 2, v[8:9]
	v_add_co_u32_e32 v10, vcc, s16, v10
	v_addc_co_u32_e32 v11, vcc, v3, v11, vcc
	global_load_dword v7, v[10:11], off
	s_waitcnt vmcnt(0)
	v_subrev_u32_e32 v7, s34, v7
	v_cmp_gt_i32_e32 vcc, v7, v14
	v_cndmask_b32_e32 v2, v2, v8, vcc
	v_cndmask_b32_e32 v6, v8, v6, vcc
	v_add_u32_e32 v7, -1, v2
	v_cmp_ge_i32_e32 vcc, v6, v2
	v_cmp_eq_u32_e64 s[0:1], v6, v7
	s_or_b64 s[0:1], vcc, s[0:1]
	s_and_b64 s[0:1], exec, s[0:1]
	s_or_b64 s[2:3], s[0:1], s[2:3]
	s_andn2_b64 exec, exec, s[2:3]
	s_cbranch_execnz .LBB24_146
; %bb.147:
	s_or_b64 exec, exec, s[2:3]
.LBB24_148:
	v_ashrrev_i32_e32 v3, 31, v2
	v_lshlrev_b64 v[8:9], 2, v[2:3]
	v_mov_b32_e32 v3, s17
	v_add_co_u32_e32 v8, vcc, s16, v8
	v_addc_co_u32_e32 v9, vcc, v3, v9, vcc
	global_load_dword v3, v[8:9], off
	global_load_dword v7, v[4:5], off offset:3072
	s_waitcnt vmcnt(1)
	v_subrev_u32_e32 v3, s34, v3
	v_cmp_gt_i32_e32 vcc, v3, v14
	v_cndmask_b32_e32 v4, v2, v6, vcc
	s_waitcnt vmcnt(0)
	v_subrev_u32_e32 v2, s34, v7
	v_cmp_ne_u32_e32 vcc, v2, v4
	s_and_saveexec_b64 s[2:3], vcc
	s_cbranch_execz .LBB24_158
; %bb.149:
	s_load_dword s0, s[8:9], 0x0
	s_waitcnt lgkmcnt(0)
	s_sub_i32 s0, s0, s34
	v_cmp_gt_i32_e32 vcc, s0, v14
	s_and_b64 exec, exec, vcc
	s_cbranch_execz .LBB24_158
; %bb.150:
	v_ashrrev_i32_e32 v5, 31, v4
	v_lshlrev_b64 v[4:5], 3, v[4:5]
	v_mov_b32_e32 v3, s23
	v_add_co_u32_e32 v4, vcc, s22, v4
	v_addc_co_u32_e32 v5, vcc, v3, v5, vcc
	global_load_dwordx2 v[4:5], v[4:5], off
	ds_read_b64 v[6:7], v1 offset:6144
	v_cmp_gt_i32_e32 vcc, s21, v2
	v_cmp_le_i32_e64 s[0:1], s31, v2
	s_or_b64 s[0:1], vcc, s[0:1]
	s_waitcnt vmcnt(0) lgkmcnt(0)
	v_mul_f32_e64 v9, v5, -v7
	v_mul_f32_e32 v8, v5, v6
	v_fmac_f32_e32 v9, v6, v4
	v_fmac_f32_e32 v8, v7, v4
	s_and_saveexec_b64 s[8:9], s[0:1]
	s_xor_b64 s[0:1], exec, s[8:9]
	s_cbranch_execz .LBB24_156
; %bb.151:
	v_ashrrev_i32_e32 v3, 31, v2
	v_lshlrev_b64 v[4:5], 3, v[2:3]
	v_mov_b32_e32 v3, s29
	v_add_co_u32_e32 v4, vcc, s28, v4
	v_addc_co_u32_e32 v5, vcc, v3, v5, vcc
	global_load_dword v7, v[4:5], off
	s_mov_b64 s[8:9], 0
.LBB24_152:                             ; =>This Inner Loop Header: Depth=1
	s_waitcnt vmcnt(0)
	v_add_f32_e32 v6, v7, v9
	global_atomic_cmpswap v3, v[4:5], v[6:7], off glc
	s_waitcnt vmcnt(0)
	v_cmp_eq_u32_e32 vcc, v3, v7
	s_or_b64 s[8:9], vcc, s[8:9]
	v_mov_b32_e32 v7, v3
	s_andn2_b64 exec, exec, s[8:9]
	s_cbranch_execnz .LBB24_152
; %bb.153:
	s_or_b64 exec, exec, s[8:9]
	global_load_dword v7, v[4:5], off offset:4
	s_mov_b64 s[8:9], 0
.LBB24_154:                             ; =>This Inner Loop Header: Depth=1
	s_waitcnt vmcnt(0)
	v_add_f32_e32 v6, v7, v8
	global_atomic_cmpswap v3, v[4:5], v[6:7], off offset:4 glc
	s_waitcnt vmcnt(0)
	v_cmp_eq_u32_e32 vcc, v3, v7
	s_or_b64 s[8:9], vcc, s[8:9]
	v_mov_b32_e32 v7, v3
	s_andn2_b64 exec, exec, s[8:9]
	s_cbranch_execnz .LBB24_154
; %bb.155:
	s_or_b64 exec, exec, s[8:9]
                                        ; implicit-def: $vgpr9
                                        ; implicit-def: $vgpr8
.LBB24_156:
	s_andn2_saveexec_b64 s[0:1], s[0:1]
	s_cbranch_execz .LBB24_158
; %bb.157:
	v_subrev_u32_e32 v3, s21, v2
	v_mov_b32_e32 v4, 0x2000
	v_lshl_add_u32 v3, v3, 3, v4
	ds_add_f32 v3, v9
	ds_add_f32 v3, v8 offset:4
.LBB24_158:
	s_or_b64 exec, exec, s[2:3]
	v_ashrrev_i32_e32 v3, 31, v2
	v_lshlrev_b64 v[2:3], 3, v[2:3]
	v_mov_b32_e32 v4, s23
	v_add_co_u32_e32 v2, vcc, s22, v2
	v_addc_co_u32_e32 v3, vcc, v4, v3, vcc
	global_load_dwordx2 v[2:3], v[2:3], off
	ds_read_b64 v[4:5], v1 offset:6144
	s_waitcnt vmcnt(0) lgkmcnt(0)
	v_pk_mul_f32 v[6:7], v[2:3], v[4:5] op_sel:[1,1] op_sel_hi:[1,0] neg_lo:[0,1]
	v_pk_fma_f32 v[2:3], v[4:5], v[2:3], v[6:7] op_sel_hi:[1,0,1]
	ds_write_b64 v1, v[2:3] offset:6144
.LBB24_159:
	s_or_b64 exec, exec, s[4:5]
	s_min_i32 s8, s31, s26
	s_sub_i32 s10, s8, s27
	v_cmp_gt_i32_e32 vcc, s10, v0
	s_waitcnt lgkmcnt(0)
	s_barrier
	s_and_saveexec_b64 s[0:1], vcc
	s_cbranch_execz .LBB24_166
; %bb.160:
	s_mov_b64 s[2:3], 0
	v_mov_b32_e32 v8, s29
	v_mov_b32_e32 v9, 0x2000
	;; [unrolled: 1-line block ×3, first 2 shown]
.LBB24_161:                             ; =>This Loop Header: Depth=1
                                        ;     Child Loop BB24_162 Depth 2
                                        ;     Child Loop BB24_164 Depth 2
	v_add_u32_e32 v2, s21, v10
	v_ashrrev_i32_e32 v3, 31, v2
	v_lshlrev_b64 v[2:3], 3, v[2:3]
	v_add_co_u32_e32 v2, vcc, s28, v2
	v_addc_co_u32_e32 v3, vcc, v8, v3, vcc
	global_load_dword v7, v[2:3], off
	v_lshl_add_u32 v4, v10, 3, v9
	ds_read2_b32 v[4:5], v4 offset1:1
	s_mov_b64 s[4:5], 0
.LBB24_162:                             ;   Parent Loop BB24_161 Depth=1
                                        ; =>  This Inner Loop Header: Depth=2
	s_waitcnt vmcnt(0) lgkmcnt(0)
	v_add_f32_e32 v6, v7, v4
	global_atomic_cmpswap v6, v[2:3], v[6:7], off glc
	s_waitcnt vmcnt(0)
	v_cmp_eq_u32_e32 vcc, v6, v7
	s_or_b64 s[4:5], vcc, s[4:5]
	v_mov_b32_e32 v7, v6
	s_andn2_b64 exec, exec, s[4:5]
	s_cbranch_execnz .LBB24_162
; %bb.163:                              ;   in Loop: Header=BB24_161 Depth=1
	s_or_b64 exec, exec, s[4:5]
	global_load_dword v7, v[2:3], off offset:4
	s_mov_b64 s[4:5], 0
.LBB24_164:                             ;   Parent Loop BB24_161 Depth=1
                                        ; =>  This Inner Loop Header: Depth=2
	s_waitcnt vmcnt(0)
	v_add_f32_e32 v6, v7, v5
	global_atomic_cmpswap v4, v[2:3], v[6:7], off offset:4 glc
	s_waitcnt vmcnt(0)
	v_cmp_eq_u32_e32 vcc, v4, v7
	s_or_b64 s[4:5], vcc, s[4:5]
	v_mov_b32_e32 v7, v4
	s_andn2_b64 exec, exec, s[4:5]
	s_cbranch_execnz .LBB24_164
; %bb.165:                              ;   in Loop: Header=BB24_161 Depth=1
	s_or_b64 exec, exec, s[4:5]
	v_add_u32_e32 v10, 0x100, v10
	v_cmp_le_i32_e32 vcc, s10, v10
	s_or_b64 s[2:3], vcc, s[2:3]
	s_andn2_b64 exec, exec, s[2:3]
	s_cbranch_execnz .LBB24_161
.LBB24_166:
	s_or_b64 exec, exec, s[0:1]
	s_mul_i32 s0, s20, s27
	s_sub_i32 s0, s24, s0
	s_add_i32 s1, s20, 1
	s_sub_i32 s2, s0, s27
	s_cmp_ge_u32 s0, s27
	s_cselect_b32 s1, s1, s20
	s_cselect_b32 s0, s2, s0
	s_add_i32 s2, s1, 1
	s_cmp_ge_u32 s0, s27
	s_cselect_b32 s0, s2, s1
	s_add_i32 s0, s0, -1
	s_ashr_i32 s1, s0, 1
	s_or_b32 s0, s1, s0
	s_ashr_i32 s1, s0, 2
	s_or_b32 s0, s1, s0
	;; [unrolled: 2-line block ×5, first 2 shown]
	s_add_i32 s11, s11, 1
	s_ashr_i32 s12, s11, 1
	v_add_u32_e32 v2, s30, v0
	s_cmp_gt_i32 s12, 1
	s_mov_b64 s[0:1], -1
	s_barrier
	s_cbranch_scc1 .LBB24_179
; %bb.167:
	v_cmp_gt_i32_e32 vcc, s31, v2
	s_and_saveexec_b64 s[0:1], vcc
	s_cbranch_execz .LBB24_178
; %bb.168:
	s_sub_i32 s2, s8, s31
	s_lshl_b32 s2, s2, 3
	s_add_i32 s13, s2, 0x2000
	s_lshl_b32 s2, s33, 3
	s_sub_i32 s14, 0, s2
	s_mov_b64 s[2:3], 0
	v_mov_b32_e32 v3, s17
	v_mov_b32_e32 v14, s29
	;; [unrolled: 1-line block ×3, first 2 shown]
.LBB24_169:                             ; =>This Loop Header: Depth=1
                                        ;     Child Loop BB24_171 Depth 2
                                        ;     Child Loop BB24_174 Depth 2
	;; [unrolled: 1-line block ×3, first 2 shown]
	v_ashrrev_i32_e32 v5, 31, v4
	v_lshlrev_b64 v[6:7], 2, v[4:5]
	v_add_co_u32_e32 v6, vcc, s16, v6
	v_addc_co_u32_e32 v7, vcc, v3, v7, vcc
	global_load_dwordx2 v[8:9], v[6:7], off
	v_mov_b32_e32 v7, 0
	v_mov_b32_e32 v6, v7
	s_waitcnt vmcnt(0)
	v_cmp_lt_i32_e32 vcc, v8, v9
	s_and_saveexec_b64 s[4:5], vcc
	s_cbranch_execz .LBB24_173
; %bb.170:                              ;   in Loop: Header=BB24_169 Depth=1
	v_mov_b32_e32 v6, 0
	v_subrev_u32_e32 v9, s33, v9
	v_subrev_u32_e32 v10, s33, v8
	v_lshl_add_u32 v8, v8, 3, s14
	s_mov_b64 s[8:9], 0
	v_mov_b32_e32 v7, v6
.LBB24_171:                             ;   Parent Loop BB24_169 Depth=1
                                        ; =>  This Inner Loop Header: Depth=2
	ds_read_b64 v[12:13], v8
	v_add_u32_e32 v10, 1, v10
	v_cmp_ge_i32_e32 vcc, v10, v9
	v_add_u32_e32 v8, 8, v8
	s_or_b64 s[8:9], vcc, s[8:9]
	s_waitcnt lgkmcnt(0)
	v_pk_add_f32 v[6:7], v[6:7], v[12:13]
	s_andn2_b64 exec, exec, s[8:9]
	s_cbranch_execnz .LBB24_171
; %bb.172:                              ;   in Loop: Header=BB24_169 Depth=1
	s_or_b64 exec, exec, s[8:9]
.LBB24_173:                             ;   in Loop: Header=BB24_169 Depth=1
	s_or_b64 exec, exec, s[4:5]
	v_lshlrev_b64 v[8:9], 3, v[4:5]
	v_add_co_u32_e32 v8, vcc, s28, v8
	v_addc_co_u32_e32 v9, vcc, v14, v9, vcc
	global_load_dword v13, v[8:9], off
	v_lshl_add_u32 v5, v4, 3, s13
	ds_read2_b32 v[10:11], v5 offset1:1
	s_mov_b64 s[4:5], 0
	s_waitcnt lgkmcnt(0)
	v_add_f32_e32 v5, v6, v10
.LBB24_174:                             ;   Parent Loop BB24_169 Depth=1
                                        ; =>  This Inner Loop Header: Depth=2
	s_waitcnt vmcnt(0)
	v_add_f32_e32 v12, v13, v5
	global_atomic_cmpswap v6, v[8:9], v[12:13], off glc
	s_waitcnt vmcnt(0)
	v_cmp_eq_u32_e32 vcc, v6, v13
	s_or_b64 s[4:5], vcc, s[4:5]
	v_mov_b32_e32 v13, v6
	s_andn2_b64 exec, exec, s[4:5]
	s_cbranch_execnz .LBB24_174
; %bb.175:                              ;   in Loop: Header=BB24_169 Depth=1
	s_or_b64 exec, exec, s[4:5]
	global_load_dword v13, v[8:9], off offset:4
	v_add_f32_e32 v5, v7, v11
	s_mov_b64 s[4:5], 0
.LBB24_176:                             ;   Parent Loop BB24_169 Depth=1
                                        ; =>  This Inner Loop Header: Depth=2
	s_waitcnt vmcnt(0)
	v_add_f32_e32 v12, v13, v5
	global_atomic_cmpswap v6, v[8:9], v[12:13], off offset:4 glc
	s_waitcnt vmcnt(0)
	v_cmp_eq_u32_e32 vcc, v6, v13
	s_or_b64 s[4:5], vcc, s[4:5]
	v_mov_b32_e32 v13, v6
	s_andn2_b64 exec, exec, s[4:5]
	s_cbranch_execnz .LBB24_176
; %bb.177:                              ;   in Loop: Header=BB24_169 Depth=1
	s_or_b64 exec, exec, s[4:5]
	v_add_u32_e32 v4, s24, v4
	v_cmp_le_i32_e32 vcc, s31, v4
	s_or_b64 s[2:3], vcc, s[2:3]
	s_andn2_b64 exec, exec, s[2:3]
	s_cbranch_execnz .LBB24_169
.LBB24_178:
	s_or_b64 exec, exec, s[0:1]
	s_mov_b64 s[0:1], 0
.LBB24_179:
	s_andn2_b64 vcc, exec, s[0:1]
	s_cbranch_vccnz .LBB24_206
; %bb.180:
	v_cvt_f32_u32_e32 v3, s12
	s_sub_i32 s0, 0, s12
	v_mov_b32_e32 v7, 0
	v_mov_b32_e32 v6, 0
	v_rcp_iflag_f32_e32 v3, v3
	v_mul_f32_e32 v3, 0x4f7ffffe, v3
	v_cvt_u32_f32_e32 v3, v3
	v_mul_lo_u32 v4, s0, v3
	v_mul_hi_u32 v4, v3, v4
	v_add_u32_e32 v3, v3, v4
	v_mul_hi_u32 v3, v0, v3
	v_mul_lo_u32 v4, v3, s12
	v_sub_u32_e32 v4, v0, v4
	v_add_u32_e32 v5, 1, v3
	v_cmp_le_u32_e32 vcc, s12, v4
	v_cndmask_b32_e32 v3, v3, v5, vcc
	v_subrev_u32_e32 v5, s12, v4
	v_cndmask_b32_e32 v4, v4, v5, vcc
	v_add_u32_e32 v5, 1, v3
	v_cmp_le_u32_e32 vcc, s12, v4
	v_cndmask_b32_e32 v3, v3, v5, vcc
	v_lshlrev_b32_e32 v4, 2, v3
	global_load_dwordx2 v[8:9], v4, s[6:7]
	v_cmp_gt_i32_e32 vcc, s27, v3
	s_and_saveexec_b64 s[0:1], vcc
	s_cbranch_execz .LBB24_194
; %bb.181:
	s_abs_i32 s4, s12
	v_cvt_f32_u32_e32 v5, s4
	s_waitcnt vmcnt(0)
	v_subrev_u32_e32 v4, s33, v8
	v_subrev_u32_e32 v3, s33, v9
	v_sub_u32_e32 v6, v3, v4
	v_rcp_iflag_f32_e32 v5, v5
	s_sub_i32 s2, 0, s4
	v_sub_u32_e32 v7, 0, v6
	v_ashrrev_i32_e32 v9, 31, v6
	v_mul_f32_e32 v5, 0x4f7ffffe, v5
	v_cvt_u32_f32_e32 v5, v5
	v_max_i32_e32 v10, v6, v7
	s_ashr_i32 s5, s12, 31
	v_mul_lo_u32 v6, s2, v5
	v_mul_hi_u32 v6, v5, v6
	v_add_u32_e32 v5, v5, v6
	v_mad_u64_u32 v[6:7], s[2:3], v10, v5, 0
	v_mul_lo_u32 v6, v7, s4
	v_sub_u32_e32 v6, v10, v6
	v_xor_b32_e32 v5, s5, v9
	v_add_u32_e32 v9, 1, v7
	v_cmp_le_u32_e32 vcc, s4, v6
	v_cndmask_b32_e32 v7, v7, v9, vcc
	v_subrev_u32_e32 v9, s4, v6
	v_cndmask_b32_e32 v6, v6, v9, vcc
	v_add_u32_e32 v9, 1, v7
	v_cmp_le_u32_e32 vcc, s4, v6
	v_cndmask_b32_e32 v6, v7, v9, vcc
	v_xor_b32_e32 v6, v6, v5
	v_sub_u32_e32 v5, v6, v5
	s_add_i32 s2, s12, -1
	v_and_b32_e32 v9, s2, v0
	v_cmp_lt_i32_e32 vcc, 0, v5
	s_mov_b32 s4, 0
	v_mov_b32_e32 v7, 0
	v_mov_b32_e32 v6, 0
	s_and_saveexec_b64 s[2:3], vcc
	s_cbranch_execz .LBB24_191
; %bb.182:
	s_mov_b32 s5, s4
	v_cmp_lt_u32_e32 vcc, 7, v5
	v_pk_mov_b32 v[6:7], s[4:5], s[4:5] op_sel:[0,1]
	v_mov_b32_e32 v10, 0
	s_and_saveexec_b64 s[4:5], vcc
	s_cbranch_execz .LBB24_186
; %bb.183:
	v_add_u32_e32 v6, v8, v9
	v_subrev_u32_e32 v6, s33, v6
	v_lshlrev_b32_e32 v11, 3, v6
	v_mov_b32_e32 v6, 0
	v_and_b32_e32 v10, 0x7ffffff8, v5
	s_lshl_b32 s8, s12, 6
	s_lshl_b32 s9, s12, 3
	s_mov_b32 s13, 0
	s_mov_b64 s[6:7], 0
	v_mov_b32_e32 v7, v6
.LBB24_184:                             ; =>This Inner Loop Header: Depth=1
	ds_read_b64 v[12:13], v11
	v_add_u32_e32 v14, s9, v11
	v_add_u32_e32 v16, s9, v14
	ds_read_b64 v[14:15], v14
	v_add_u32_e32 v18, s9, v16
	ds_read_b64 v[16:17], v16
	;; [unrolled: 2-line block ×3, first 2 shown]
	ds_read_b64 v[20:21], v22
	v_add_u32_e32 v22, s9, v22
	s_waitcnt lgkmcnt(4)
	v_pk_add_f32 v[6:7], v[6:7], v[12:13]
	v_add_u32_e32 v23, s9, v22
	ds_read_b64 v[12:13], v22
	s_waitcnt lgkmcnt(4)
	v_pk_add_f32 v[6:7], v[6:7], v[14:15]
	ds_read_b64 v[14:15], v23
	v_add_u32_e32 v22, s9, v23
	s_waitcnt lgkmcnt(4)
	v_pk_add_f32 v[6:7], v[6:7], v[16:17]
	ds_read_b64 v[16:17], v22
	s_waitcnt lgkmcnt(4)
	v_pk_add_f32 v[6:7], v[6:7], v[18:19]
	s_waitcnt lgkmcnt(3)
	v_pk_add_f32 v[6:7], v[6:7], v[20:21]
	s_add_i32 s13, s13, 8
	s_waitcnt lgkmcnt(2)
	v_pk_add_f32 v[6:7], v[6:7], v[12:13]
	v_cmp_eq_u32_e32 vcc, s13, v10
	s_waitcnt lgkmcnt(1)
	v_pk_add_f32 v[6:7], v[6:7], v[14:15]
	v_add_u32_e32 v11, s8, v11
	s_or_b64 s[6:7], vcc, s[6:7]
	s_waitcnt lgkmcnt(0)
	v_pk_add_f32 v[6:7], v[6:7], v[16:17]
	s_andn2_b64 exec, exec, s[6:7]
	s_cbranch_execnz .LBB24_184
; %bb.185:
	s_or_b64 exec, exec, s[6:7]
.LBB24_186:
	s_or_b64 exec, exec, s[4:5]
	v_and_b32_e32 v11, 7, v5
	v_cmp_ne_u32_e32 vcc, 0, v11
	s_and_saveexec_b64 s[4:5], vcc
	s_cbranch_execz .LBB24_190
; %bb.187:
	v_mul_lo_u32 v10, v10, s12
	v_add3_u32 v8, v8, v9, v10
	v_subrev_u32_e32 v8, s33, v8
	v_lshlrev_b32_e32 v8, 3, v8
	s_lshl_b32 s8, s12, 3
	s_mov_b64 s[6:7], 0
.LBB24_188:                             ; =>This Inner Loop Header: Depth=1
	ds_read_b64 v[12:13], v8
	v_add_u32_e32 v11, -1, v11
	v_cmp_eq_u32_e32 vcc, 0, v11
	v_add_u32_e32 v8, s8, v8
	s_or_b64 s[6:7], vcc, s[6:7]
	s_waitcnt lgkmcnt(0)
	v_pk_add_f32 v[6:7], v[6:7], v[12:13]
	s_andn2_b64 exec, exec, s[6:7]
	s_cbranch_execnz .LBB24_188
; %bb.189:
	s_or_b64 exec, exec, s[6:7]
.LBB24_190:
	s_or_b64 exec, exec, s[4:5]
.LBB24_191:
	s_or_b64 exec, exec, s[2:3]
	v_mad_u64_u32 v[4:5], s[2:3], v5, s12, v[4:5]
	v_sub_u32_e32 v3, v3, v4
	v_cmp_lt_i32_e32 vcc, v9, v3
	s_and_saveexec_b64 s[2:3], vcc
	s_cbranch_execz .LBB24_193
; %bb.192:
	v_add_lshl_u32 v3, v4, v9, 3
	ds_read_b64 v[4:5], v3
	s_waitcnt lgkmcnt(0)
	v_pk_add_f32 v[6:7], v[6:7], v[4:5]
.LBB24_193:
	s_or_b64 exec, exec, s[2:3]
.LBB24_194:
	s_or_b64 exec, exec, s[0:1]
	v_cmp_gt_i32_e32 vcc, s27, v0
	s_barrier
	ds_write_b64 v1, v[6:7]
	s_waitcnt lgkmcnt(0)
	s_barrier
	s_and_b64 exec, exec, vcc
	s_cbranch_execz .LBB24_206
; %bb.195:
	v_mul_lo_u32 v1, s12, v0
	s_mov_b32 s0, 0
	s_cmp_lt_u32 s12, 8
	s_cbranch_scc1 .LBB24_198
; %bb.196:
	v_mov_b32_e32 v4, 0
	s_and_b32 s0, s12, 0x7ffffff8
	v_lshlrev_b32_e32 v3, 3, v1
	s_mov_b32 s1, 0
	v_mov_b32_e32 v5, v4
.LBB24_197:                             ; =>This Inner Loop Header: Depth=1
	s_waitcnt vmcnt(0)
	ds_read2_b64 v[6:9], v3 offset1:1
	ds_read2_b64 v[10:13], v3 offset0:2 offset1:3
	ds_read2_b64 v[14:17], v3 offset0:4 offset1:5
	;; [unrolled: 1-line block ×3, first 2 shown]
	s_add_i32 s1, s1, 8
	s_waitcnt lgkmcnt(3)
	v_pk_add_f32 v[4:5], v[4:5], v[6:7]
	v_pk_add_f32 v[4:5], v[4:5], v[8:9]
	s_waitcnt lgkmcnt(2)
	v_pk_add_f32 v[4:5], v[4:5], v[10:11]
	v_pk_add_f32 v[4:5], v[4:5], v[12:13]
	s_waitcnt lgkmcnt(1)
	v_pk_add_f32 v[4:5], v[4:5], v[14:15]
	v_pk_add_f32 v[4:5], v[4:5], v[16:17]
	s_waitcnt lgkmcnt(0)
	v_pk_add_f32 v[4:5], v[4:5], v[18:19]
	v_add_u32_e32 v3, 64, v3
	s_cmp_eq_u32 s0, s1
	v_pk_add_f32 v[4:5], v[4:5], v[20:21]
	s_cbranch_scc0 .LBB24_197
	s_branch .LBB24_199
.LBB24_198:
	s_mov_b32 s1, s0
	v_pk_mov_b32 v[4:5], s[0:1], s[0:1] op_sel:[0,1]
.LBB24_199:
	s_bfe_u32 s1, s11, 0x30001
	s_cmp_eq_u32 s1, 0
	s_cbranch_scc1 .LBB24_202
; %bb.200:
	v_add_lshl_u32 v1, s0, v1, 3
.LBB24_201:                             ; =>This Inner Loop Header: Depth=1
	ds_read_b64 v[6:7], v1
	s_add_i32 s1, s1, -1
	v_add_u32_e32 v1, 8, v1
	s_cmp_lg_u32 s1, 0
	s_waitcnt lgkmcnt(0)
	v_pk_add_f32 v[4:5], v[4:5], v[6:7]
	s_cbranch_scc1 .LBB24_201
.LBB24_202:
	v_ashrrev_i32_e32 v3, 31, v2
	v_lshlrev_b64 v[2:3], 3, v[2:3]
	v_mov_b32_e32 v1, s29
	v_add_co_u32_e32 v2, vcc, s28, v2
	v_addc_co_u32_e32 v3, vcc, v1, v3, vcc
	global_load_dword v7, v[2:3], off
	s_lshl_b32 s0, s10, 3
	s_addk_i32 s0, 0x2000
	v_lshl_add_u32 v0, v0, 3, s0
	ds_read2_b32 v[0:1], v0 offset1:1
	s_mov_b64 s[0:1], 0
	s_waitcnt lgkmcnt(0)
	v_add_f32_e32 v0, v4, v0
.LBB24_203:                             ; =>This Inner Loop Header: Depth=1
	s_waitcnt vmcnt(0)
	v_add_f32_e32 v6, v7, v0
	global_atomic_cmpswap v4, v[2:3], v[6:7], off glc
	s_waitcnt vmcnt(0)
	v_cmp_eq_u32_e32 vcc, v4, v7
	s_or_b64 s[0:1], vcc, s[0:1]
	v_mov_b32_e32 v7, v4
	s_andn2_b64 exec, exec, s[0:1]
	s_cbranch_execnz .LBB24_203
; %bb.204:
	s_or_b64 exec, exec, s[0:1]
	global_load_dword v7, v[2:3], off offset:4
	v_add_f32_e32 v0, v5, v1
	s_mov_b64 s[0:1], 0
.LBB24_205:                             ; =>This Inner Loop Header: Depth=1
	s_waitcnt vmcnt(0)
	v_add_f32_e32 v6, v7, v0
	global_atomic_cmpswap v1, v[2:3], v[6:7], off offset:4 glc
	s_waitcnt vmcnt(0)
	v_cmp_eq_u32_e32 vcc, v1, v7
	s_or_b64 s[0:1], vcc, s[0:1]
	v_mov_b32_e32 v7, v1
	s_andn2_b64 exec, exec, s[0:1]
	s_cbranch_execnz .LBB24_205
.LBB24_206:
	s_endpgm
	.section	.rodata,"a",@progbits
	.p2align	6, 0x0
	.amdhsa_kernel _ZN9rocsparseL27csrmvn_symm_adaptive_kernelIii21rocsparse_complex_numIfES2_S2_S2_EEvbT_S3_PKS3_NS_24const_host_device_scalarIT4_EES5_PKT0_PKT1_PKT2_S8_PT3_21rocsparse_index_base_b
		.amdhsa_group_segment_fixed_size 8192
		.amdhsa_private_segment_fixed_size 0
		.amdhsa_kernarg_size 344
		.amdhsa_user_sgpr_count 6
		.amdhsa_user_sgpr_private_segment_buffer 1
		.amdhsa_user_sgpr_dispatch_ptr 0
		.amdhsa_user_sgpr_queue_ptr 0
		.amdhsa_user_sgpr_kernarg_segment_ptr 1
		.amdhsa_user_sgpr_dispatch_id 0
		.amdhsa_user_sgpr_flat_scratch_init 0
		.amdhsa_user_sgpr_kernarg_preload_length 0
		.amdhsa_user_sgpr_kernarg_preload_offset 0
		.amdhsa_user_sgpr_private_segment_size 0
		.amdhsa_uses_dynamic_stack 0
		.amdhsa_system_sgpr_private_segment_wavefront_offset 0
		.amdhsa_system_sgpr_workgroup_id_x 1
		.amdhsa_system_sgpr_workgroup_id_y 0
		.amdhsa_system_sgpr_workgroup_id_z 0
		.amdhsa_system_sgpr_workgroup_info 0
		.amdhsa_system_vgpr_workitem_id 0
		.amdhsa_next_free_vgpr 56
		.amdhsa_next_free_sgpr 49
		.amdhsa_accum_offset 56
		.amdhsa_reserve_vcc 1
		.amdhsa_reserve_flat_scratch 0
		.amdhsa_float_round_mode_32 0
		.amdhsa_float_round_mode_16_64 0
		.amdhsa_float_denorm_mode_32 3
		.amdhsa_float_denorm_mode_16_64 3
		.amdhsa_dx10_clamp 1
		.amdhsa_ieee_mode 1
		.amdhsa_fp16_overflow 0
		.amdhsa_tg_split 0
		.amdhsa_exception_fp_ieee_invalid_op 0
		.amdhsa_exception_fp_denorm_src 0
		.amdhsa_exception_fp_ieee_div_zero 0
		.amdhsa_exception_fp_ieee_overflow 0
		.amdhsa_exception_fp_ieee_underflow 0
		.amdhsa_exception_fp_ieee_inexact 0
		.amdhsa_exception_int_div_zero 0
	.end_amdhsa_kernel
	.section	.text._ZN9rocsparseL27csrmvn_symm_adaptive_kernelIii21rocsparse_complex_numIfES2_S2_S2_EEvbT_S3_PKS3_NS_24const_host_device_scalarIT4_EES5_PKT0_PKT1_PKT2_S8_PT3_21rocsparse_index_base_b,"axG",@progbits,_ZN9rocsparseL27csrmvn_symm_adaptive_kernelIii21rocsparse_complex_numIfES2_S2_S2_EEvbT_S3_PKS3_NS_24const_host_device_scalarIT4_EES5_PKT0_PKT1_PKT2_S8_PT3_21rocsparse_index_base_b,comdat
.Lfunc_end24:
	.size	_ZN9rocsparseL27csrmvn_symm_adaptive_kernelIii21rocsparse_complex_numIfES2_S2_S2_EEvbT_S3_PKS3_NS_24const_host_device_scalarIT4_EES5_PKT0_PKT1_PKT2_S8_PT3_21rocsparse_index_base_b, .Lfunc_end24-_ZN9rocsparseL27csrmvn_symm_adaptive_kernelIii21rocsparse_complex_numIfES2_S2_S2_EEvbT_S3_PKS3_NS_24const_host_device_scalarIT4_EES5_PKT0_PKT1_PKT2_S8_PT3_21rocsparse_index_base_b
                                        ; -- End function
	.section	.AMDGPU.csdata,"",@progbits
; Kernel info:
; codeLenInByte = 9480
; NumSgprs: 53
; NumVgprs: 56
; NumAgprs: 0
; TotalNumVgprs: 56
; ScratchSize: 0
; MemoryBound: 0
; FloatMode: 240
; IeeeMode: 1
; LDSByteSize: 8192 bytes/workgroup (compile time only)
; SGPRBlocks: 6
; VGPRBlocks: 6
; NumSGPRsForWavesPerEU: 53
; NumVGPRsForWavesPerEU: 56
; AccumOffset: 56
; Occupancy: 8
; WaveLimiterHint : 1
; COMPUTE_PGM_RSRC2:SCRATCH_EN: 0
; COMPUTE_PGM_RSRC2:USER_SGPR: 6
; COMPUTE_PGM_RSRC2:TRAP_HANDLER: 0
; COMPUTE_PGM_RSRC2:TGID_X_EN: 1
; COMPUTE_PGM_RSRC2:TGID_Y_EN: 0
; COMPUTE_PGM_RSRC2:TGID_Z_EN: 0
; COMPUTE_PGM_RSRC2:TIDIG_COMP_CNT: 0
; COMPUTE_PGM_RSRC3_GFX90A:ACCUM_OFFSET: 13
; COMPUTE_PGM_RSRC3_GFX90A:TG_SPLIT: 0
	.section	.text._ZL33csrmvn_symm_large_adaptive_kernelIii21rocsparse_complex_numIfES1_S1_S1_EvbT_PKS2_N9rocsparse24const_host_device_scalarIT4_EES4_PKT0_PKT1_PKT2_S8_PT3_21rocsparse_index_base_b,"axG",@progbits,_ZL33csrmvn_symm_large_adaptive_kernelIii21rocsparse_complex_numIfES1_S1_S1_EvbT_PKS2_N9rocsparse24const_host_device_scalarIT4_EES4_PKT0_PKT1_PKT2_S8_PT3_21rocsparse_index_base_b,comdat
	.globl	_ZL33csrmvn_symm_large_adaptive_kernelIii21rocsparse_complex_numIfES1_S1_S1_EvbT_PKS2_N9rocsparse24const_host_device_scalarIT4_EES4_PKT0_PKT1_PKT2_S8_PT3_21rocsparse_index_base_b ; -- Begin function _ZL33csrmvn_symm_large_adaptive_kernelIii21rocsparse_complex_numIfES1_S1_S1_EvbT_PKS2_N9rocsparse24const_host_device_scalarIT4_EES4_PKT0_PKT1_PKT2_S8_PT3_21rocsparse_index_base_b
	.p2align	8
	.type	_ZL33csrmvn_symm_large_adaptive_kernelIii21rocsparse_complex_numIfES1_S1_S1_EvbT_PKS2_N9rocsparse24const_host_device_scalarIT4_EES4_PKT0_PKT1_PKT2_S8_PT3_21rocsparse_index_base_b,@function
_ZL33csrmvn_symm_large_adaptive_kernelIii21rocsparse_complex_numIfES1_S1_S1_EvbT_PKS2_N9rocsparse24const_host_device_scalarIT4_EES4_PKT0_PKT1_PKT2_S8_PT3_21rocsparse_index_base_b: ; @_ZL33csrmvn_symm_large_adaptive_kernelIii21rocsparse_complex_numIfES1_S1_S1_EvbT_PKS2_N9rocsparse24const_host_device_scalarIT4_EES4_PKT0_PKT1_PKT2_S8_PT3_21rocsparse_index_base_b
; %bb.0:
	s_load_dwordx2 s[20:21], s[4:5], 0x48
	s_load_dwordx2 s[8:9], s[4:5], 0x10
	;; [unrolled: 1-line block ×3, first 2 shown]
	s_waitcnt lgkmcnt(0)
	s_bitcmp1_b32 s21, 0
	s_cselect_b64 s[0:1], -1, 0
	s_xor_b64 s[10:11], s[0:1], -1
	s_and_b64 vcc, exec, s[0:1]
	v_mov_b32_e32 v8, s8
	s_cbranch_vccnz .LBB25_2
; %bb.1:
	v_pk_mov_b32 v[2:3], s[8:9], s[8:9] op_sel:[0,1]
	flat_load_dword v8, v[2:3]
.LBB25_2:
	v_cndmask_b32_e64 v1, 0, 1, s[10:11]
	v_cmp_ne_u32_e64 s[0:1], 1, v1
	s_andn2_b64 vcc, exec, s[10:11]
	v_mov_b32_e32 v9, s9
	s_cbranch_vccz .LBB25_11
; %bb.3:
	s_and_b64 vcc, exec, s[0:1]
	v_mov_b32_e32 v1, s2
	s_cbranch_vccz .LBB25_12
.LBB25_4:
	s_and_b64 vcc, exec, s[0:1]
	v_mov_b32_e32 v2, s3
	s_cbranch_vccnz .LBB25_6
.LBB25_5:
	v_pk_mov_b32 v[2:3], s[2:3], s[2:3] op_sel:[0,1]
	flat_load_dword v2, v[2:3] offset:4
.LBB25_6:
	s_waitcnt vmcnt(0) lgkmcnt(0)
	v_cmp_eq_f32_e32 vcc, 0, v8
	v_cmp_eq_f32_e64 s[0:1], 0, v9
	s_and_b64 s[8:9], vcc, s[0:1]
	s_mov_b64 s[0:1], -1
	s_and_saveexec_b64 s[2:3], s[8:9]
; %bb.7:
	v_cmp_neq_f32_e32 vcc, 1.0, v1
	v_and_b32_e32 v1, 0x7fffffff, v2
	v_cmp_ne_u32_e64 s[0:1], 0, v1
	s_or_b64 s[0:1], vcc, s[0:1]
	s_orn2_b64 s[0:1], s[0:1], exec
; %bb.8:
	s_or_b64 exec, exec, s[2:3]
	s_and_saveexec_b64 s[2:3], s[0:1]
	s_cbranch_execz .LBB25_55
; %bb.9:
	s_load_dword s7, s[4:5], 0x0
	s_load_dwordx2 s[0:1], s[4:5], 0x8
	s_mov_b32 s2, 0
	s_mov_b32 s3, s2
	v_pk_mov_b32 v[2:3], s[2:3], s[2:3] op_sel:[0,1]
	s_waitcnt lgkmcnt(0)
	s_bitcmp1_b32 s7, 0
	s_cselect_b64 s[22:23], -1, 0
	s_ashr_i32 s7, s6, 31
	s_lshl_b64 s[2:3], s[6:7], 2
	s_add_u32 s0, s0, s2
	v_lshlrev_b32_e32 v10, 3, v0
	s_addc_u32 s1, s1, s3
	ds_write2st64_b64 v10, v[2:3], v[2:3] offset1:4
	ds_write2st64_b64 v10, v[2:3], v[2:3] offset0:8 offset1:12
	s_waitcnt lgkmcnt(0)
	s_barrier
	s_load_dwordx2 s[24:25], s[0:1], 0x0
	s_load_dwordx8 s[12:19], s[4:5], 0x18
	s_load_dwordx2 s[26:27], s[4:5], 0x40
	s_waitcnt lgkmcnt(0)
	s_cmp_lt_i32 s24, s25
	s_cbranch_scc1 .LBB25_13
; %bb.10:
	s_ashr_i32 s1, s24, 31
	s_mov_b32 s0, s24
	s_lshl_b64 s[0:1], s[0:1], 2
	s_add_u32 s0, s12, s0
	s_addc_u32 s1, s13, s1
	s_load_dword s21, s[0:1], 0x0
	v_subrev_u32_e32 v11, s20, v0
	s_cbranch_execz .LBB25_14
	s_branch .LBB25_43
.LBB25_11:
	v_pk_mov_b32 v[2:3], s[8:9], s[8:9] op_sel:[0,1]
	flat_load_dword v9, v[2:3] offset:4
	s_and_b64 vcc, exec, s[0:1]
	v_mov_b32_e32 v1, s2
	s_cbranch_vccnz .LBB25_4
.LBB25_12:
	v_pk_mov_b32 v[2:3], s[2:3], s[2:3] op_sel:[0,1]
	flat_load_dword v1, v[2:3]
	s_and_b64 vcc, exec, s[0:1]
	v_mov_b32_e32 v2, s3
	s_cbranch_vccz .LBB25_5
	s_branch .LBB25_6
.LBB25_13:
                                        ; implicit-def: $sgpr21
	v_subrev_u32_e32 v11, s20, v0
.LBB25_14:
	s_ashr_i32 s11, s24, 31
	s_mov_b32 s10, s24
	s_lshl_b64 s[10:11], s[10:11], 2
	s_add_u32 s10, s12, s10
	s_addc_u32 s11, s13, s11
	s_waitcnt lgkmcnt(0)
	s_load_dword s21, s[10:11], 0x0
	s_add_u32 s33, s12, 4
	s_addc_u32 s38, s13, 0
	s_movk_i32 s0, 0x100
	s_add_u32 s39, s16, 4
	v_cmp_gt_u32_e64 s[0:1], s0, v0
	v_cmp_gt_u32_e64 s[2:3], 64, v0
	;; [unrolled: 1-line block ×4, first 2 shown]
	v_cmp_eq_u32_e64 s[8:9], 0, v0
	s_addc_u32 s40, s17, 0
	v_mov_b32_e32 v12, s19
	v_mov_b32_e32 v13, 0
	s_waitcnt lgkmcnt(0)
	s_mov_b32 s41, s21
	s_mov_b32 s28, s24
	s_branch .LBB25_16
.LBB25_15:                              ;   in Loop: Header=BB25_16 Depth=1
	s_or_b64 exec, exec, s[10:11]
	s_add_i32 s28, s28, 1
	s_cmp_ge_i32 s28, s25
	s_cbranch_scc1 .LBB25_43
.LBB25_16:                              ; =>This Loop Header: Depth=1
                                        ;     Child Loop BB25_18 Depth 2
                                        ;     Child Loop BB25_32 Depth 2
                                        ;     Child Loop BB25_35 Depth 2
                                        ;     Child Loop BB25_38 Depth 2
                                        ;     Child Loop BB25_41 Depth 2
	s_ashr_i32 s29, s28, 31
	s_lshl_b64 s[10:11], s[28:29], 2
	s_add_u32 s10, s33, s10
	s_addc_u32 s11, s38, s11
	s_mov_b32 s30, s41
	s_load_dword s41, s[10:11], 0x0
	v_add_u32_e32 v0, s30, v11
	v_mov_b32_e32 v3, 0
	v_mov_b32_e32 v2, 0
	s_waitcnt lgkmcnt(0)
	s_sub_i32 s36, s41, s20
	v_cmp_gt_i32_e32 vcc, s36, v0
	s_and_saveexec_b64 s[30:31], vcc
	s_cbranch_execz .LBB25_20
; %bb.17:                               ;   in Loop: Header=BB25_16 Depth=1
	v_ashrrev_i32_e32 v1, 31, v0
	v_lshlrev_b64 v[2:3], 2, v[0:1]
	v_mov_b32_e32 v5, s15
	v_add_co_u32_e32 v4, vcc, s14, v2
	v_addc_co_u32_e32 v5, vcc, v5, v3, vcc
	v_lshlrev_b64 v[2:3], 3, v[0:1]
	v_mov_b32_e32 v1, s40
	v_add_co_u32_e32 v6, vcc, s39, v2
	v_mov_b32_e32 v2, 0
	v_addc_co_u32_e32 v7, vcc, v1, v3, vcc
	s_mov_b64 s[34:35], 0
	v_mov_b32_e32 v3, v2
.LBB25_18:                              ;   Parent Loop BB25_16 Depth=1
                                        ; =>  This Inner Loop Header: Depth=2
	global_load_dword v1, v[4:5], off
	global_load_dwordx2 v[14:15], v[6:7], off offset:-4
	v_add_u32_e32 v0, 0x100, v0
	v_cmp_le_i32_e64 s[10:11], s36, v0
	s_or_b64 s[34:35], s[10:11], s[34:35]
	s_waitcnt vmcnt(1)
	v_subrev_u32_e32 v16, s20, v1
	v_ashrrev_i32_e32 v17, 31, v16
	v_lshlrev_b64 v[16:17], 3, v[16:17]
	v_add_co_u32_e32 v16, vcc, s18, v16
	v_addc_co_u32_e32 v17, vcc, v12, v17, vcc
	global_load_dwordx2 v[16:17], v[16:17], off
	v_add_co_u32_e32 v4, vcc, 0x400, v4
	v_addc_co_u32_e32 v5, vcc, 0, v5, vcc
	s_waitcnt vmcnt(1)
	v_cndmask_b32_e64 v15, v15, -v15, s[22:23]
	v_add_co_u32_e32 v6, vcc, 0x800, v6
	v_mov_b32_e32 v19, v14
	v_xor_b32_e32 v18, 0x80000000, v15
	v_addc_co_u32_e32 v7, vcc, 0, v7, vcc
	s_waitcnt vmcnt(0)
	v_pk_fma_f32 v[2:3], v[14:15], v[16:17], v[2:3] op_sel_hi:[1,0,1]
	v_pk_fma_f32 v[2:3], v[18:19], v[16:17], v[2:3] op_sel:[0,1,0]
	s_andn2_b64 exec, exec, s[34:35]
	s_cbranch_execnz .LBB25_18
; %bb.19:                               ;   in Loop: Header=BB25_16 Depth=1
	s_or_b64 exec, exec, s[34:35]
.LBB25_20:                              ;   in Loop: Header=BB25_16 Depth=1
	s_or_b64 exec, exec, s[30:31]
	ds_write_b64 v10, v[2:3]
	s_waitcnt lgkmcnt(0)
	s_barrier
	s_and_saveexec_b64 s[10:11], s[0:1]
	s_cbranch_execz .LBB25_22
; %bb.21:                               ;   in Loop: Header=BB25_16 Depth=1
	ds_read2st64_b64 v[0:3], v10 offset1:4
	ds_read2st64_b64 v[4:7], v10 offset0:8 offset1:12
	s_waitcnt lgkmcnt(0)
	v_pk_add_f32 v[2:3], v[4:5], v[2:3]
	v_pk_add_f32 v[2:3], v[2:3], v[6:7]
	;; [unrolled: 1-line block ×3, first 2 shown]
	ds_write_b64 v10, v[0:1]
.LBB25_22:                              ;   in Loop: Header=BB25_16 Depth=1
	s_or_b64 exec, exec, s[10:11]
	s_waitcnt lgkmcnt(0)
	s_barrier
	s_and_saveexec_b64 s[10:11], s[2:3]
	s_cbranch_execz .LBB25_24
; %bb.23:                               ;   in Loop: Header=BB25_16 Depth=1
	ds_read2st64_b64 v[0:3], v10 offset1:1
	ds_read2st64_b64 v[4:7], v10 offset0:2 offset1:3
	s_waitcnt lgkmcnt(0)
	v_pk_add_f32 v[2:3], v[4:5], v[2:3]
	v_pk_add_f32 v[2:3], v[2:3], v[6:7]
	;; [unrolled: 1-line block ×3, first 2 shown]
	ds_write_b64 v10, v[0:1]
.LBB25_24:                              ;   in Loop: Header=BB25_16 Depth=1
	s_or_b64 exec, exec, s[10:11]
	s_waitcnt lgkmcnt(0)
	s_barrier
	s_and_saveexec_b64 s[10:11], s[4:5]
	s_cbranch_execz .LBB25_26
; %bb.25:                               ;   in Loop: Header=BB25_16 Depth=1
	ds_read2_b64 v[0:3], v10 offset1:16
	ds_read2_b64 v[4:7], v10 offset0:32 offset1:48
	s_waitcnt lgkmcnt(0)
	v_pk_add_f32 v[2:3], v[4:5], v[2:3]
	v_pk_add_f32 v[2:3], v[2:3], v[6:7]
	;; [unrolled: 1-line block ×3, first 2 shown]
	ds_write_b64 v10, v[0:1]
.LBB25_26:                              ;   in Loop: Header=BB25_16 Depth=1
	s_or_b64 exec, exec, s[10:11]
	s_waitcnt lgkmcnt(0)
	s_barrier
	s_and_saveexec_b64 s[10:11], s[6:7]
	s_cbranch_execz .LBB25_28
; %bb.27:                               ;   in Loop: Header=BB25_16 Depth=1
	ds_read2_b64 v[0:3], v10 offset1:4
	ds_read2_b64 v[4:7], v10 offset0:8 offset1:12
	s_waitcnt lgkmcnt(0)
	v_pk_add_f32 v[2:3], v[4:5], v[2:3]
	v_pk_add_f32 v[2:3], v[2:3], v[6:7]
	;; [unrolled: 1-line block ×3, first 2 shown]
	ds_write_b64 v10, v[0:1]
.LBB25_28:                              ;   in Loop: Header=BB25_16 Depth=1
	s_or_b64 exec, exec, s[10:11]
	s_waitcnt lgkmcnt(0)
	s_barrier
	s_and_saveexec_b64 s[10:11], s[8:9]
	s_cbranch_execz .LBB25_30
; %bb.29:                               ;   in Loop: Header=BB25_16 Depth=1
	ds_read_b128 v[0:3], v13 offset:16
	ds_read_b64 v[4:5], v13 offset:8
	ds_read_b64 v[6:7], v10
	s_waitcnt lgkmcnt(1)
	v_pk_add_f32 v[0:1], v[0:1], v[4:5]
	v_pk_add_f32 v[0:1], v[0:1], v[2:3]
	s_waitcnt lgkmcnt(0)
	v_pk_add_f32 v[0:1], v[0:1], v[6:7]
	ds_write_b64 v10, v[0:1]
.LBB25_30:                              ;   in Loop: Header=BB25_16 Depth=1
	s_or_b64 exec, exec, s[10:11]
	s_waitcnt lgkmcnt(0)
	s_barrier
	s_and_saveexec_b64 s[10:11], s[8:9]
	s_cbranch_execz .LBB25_15
; %bb.31:                               ;   in Loop: Header=BB25_16 Depth=1
	ds_read_b64 v[0:1], v13
	s_mov_b64 s[30:31], exec
	v_bfrev_b32_e32 v4, 1
	s_waitcnt lgkmcnt(0)
	v_mul_f32_e64 v2, v1, -v9
	v_fmac_f32_e32 v2, v8, v0
.LBB25_32:                              ;   Parent Loop BB25_16 Depth=1
                                        ; =>  This Inner Loop Header: Depth=2
	s_ff1_i32_b64 s34, s[30:31]
	v_readlane_b32 s36, v2, s34
	s_lshl_b64 s[34:35], 1, s34
	s_andn2_b64 s[30:31], s[30:31], s[34:35]
	s_cmp_lg_u64 s[30:31], 0
	v_add_f32_e32 v4, s36, v4
	s_cbranch_scc1 .LBB25_32
; %bb.33:                               ;   in Loop: Header=BB25_16 Depth=1
	s_lshl_b64 s[30:31], s[28:29], 3
	v_mbcnt_lo_u32_b32 v2, exec_lo, 0
	s_add_u32 s30, s26, s30
	v_mbcnt_hi_u32_b32 v2, exec_hi, v2
	s_addc_u32 s31, s27, s31
	v_cmp_eq_u32_e32 vcc, 0, v2
	s_and_saveexec_b64 s[34:35], vcc
	s_xor_b64 s[34:35], exec, s[34:35]
	s_cbranch_execz .LBB25_37
; %bb.34:                               ;   in Loop: Header=BB25_16 Depth=1
	global_load_dword v3, v13, s[30:31]
	s_mov_b64 s[36:37], 0
.LBB25_35:                              ;   Parent Loop BB25_16 Depth=1
                                        ; =>  This Inner Loop Header: Depth=2
	s_waitcnt vmcnt(0)
	v_add_f32_e32 v2, v3, v4
	global_atomic_cmpswap v2, v13, v[2:3], s[30:31] glc
	s_waitcnt vmcnt(0)
	v_cmp_eq_u32_e32 vcc, v2, v3
	s_or_b64 s[36:37], vcc, s[36:37]
	v_mov_b32_e32 v3, v2
	s_andn2_b64 exec, exec, s[36:37]
	s_cbranch_execnz .LBB25_35
; %bb.36:                               ;   in Loop: Header=BB25_16 Depth=1
	s_or_b64 exec, exec, s[36:37]
.LBB25_37:                              ;   in Loop: Header=BB25_16 Depth=1
	s_or_b64 exec, exec, s[34:35]
	v_mul_f32_e32 v1, v1, v8
	s_mov_b64 s[34:35], exec
	v_fmac_f32_e32 v1, v9, v0
	v_bfrev_b32_e32 v2, 1
.LBB25_38:                              ;   Parent Loop BB25_16 Depth=1
                                        ; =>  This Inner Loop Header: Depth=2
	s_ff1_i32_b64 s29, s[34:35]
	s_lshl_b64 s[36:37], 1, s29
	v_readlane_b32 s42, v1, s29
	s_andn2_b64 s[34:35], s[34:35], s[36:37]
	s_cmp_lg_u64 s[34:35], 0
	v_add_f32_e32 v2, s42, v2
	s_cbranch_scc1 .LBB25_38
; %bb.39:                               ;   in Loop: Header=BB25_16 Depth=1
	v_mbcnt_lo_u32_b32 v0, exec_lo, 0
	v_mbcnt_hi_u32_b32 v0, exec_hi, v0
	v_cmp_eq_u32_e32 vcc, 0, v0
	s_and_saveexec_b64 s[34:35], vcc
	s_xor_b64 s[34:35], exec, s[34:35]
	s_cbranch_execz .LBB25_15
; %bb.40:                               ;   in Loop: Header=BB25_16 Depth=1
	global_load_dword v1, v13, s[30:31] offset:4
	s_mov_b64 s[34:35], 0
.LBB25_41:                              ;   Parent Loop BB25_16 Depth=1
                                        ; =>  This Inner Loop Header: Depth=2
	s_waitcnt vmcnt(0)
	v_add_f32_e32 v0, v1, v2
	global_atomic_cmpswap v0, v13, v[0:1], s[30:31] offset:4 glc
	s_waitcnt vmcnt(0)
	v_cmp_eq_u32_e32 vcc, v0, v1
	s_or_b64 s[34:35], vcc, s[34:35]
	v_mov_b32_e32 v1, v0
	s_andn2_b64 exec, exec, s[34:35]
	s_cbranch_execnz .LBB25_41
; %bb.42:                               ;   in Loop: Header=BB25_16 Depth=1
	s_or_b64 exec, exec, s[34:35]
	s_branch .LBB25_15
.LBB25_43:
	s_ashr_i32 s1, s25, 31
	s_mov_b32 s0, s25
	s_lshl_b64 s[0:1], s[0:1], 2
	s_add_u32 s0, s12, s0
	s_addc_u32 s1, s13, s1
	s_load_dword s0, s[0:1], 0x0
	s_waitcnt lgkmcnt(0)
	v_add_u32_e32 v0, s21, v11
	s_sub_i32 s8, s0, s20
	v_cmp_gt_i32_e32 vcc, s8, v0
	s_and_b64 exec, exec, vcc
	s_cbranch_execz .LBB25_55
; %bb.44:
	s_add_i32 s9, s25, -1
	s_cmp_gt_i32 s9, s24
	s_cselect_b64 s[0:1], -1, 0
	s_add_i32 s2, s25, -2
	s_cmp_lg_u32 s2, s24
	s_cselect_b64 s[2:3], -1, 0
	s_and_b64 s[0:1], s[0:1], s[2:3]
	v_cndmask_b32_e64 v1, 0, 1, s[0:1]
	s_mov_b64 s[4:5], 0
	v_cmp_ne_u32_e64 s[0:1], 1, v1
	v_mov_b32_e32 v10, s13
	v_mov_b32_e32 v11, s15
	s_branch .LBB25_46
.LBB25_45:                              ;   in Loop: Header=BB25_46 Depth=1
	s_or_b64 exec, exec, s[2:3]
	v_add_u32_e32 v0, 0x100, v0
	v_cmp_le_i32_e32 vcc, s8, v0
	s_or_b64 s[4:5], vcc, s[4:5]
	s_andn2_b64 exec, exec, s[4:5]
	s_cbranch_execz .LBB25_55
.LBB25_46:                              ; =>This Loop Header: Depth=1
                                        ;     Child Loop BB25_48 Depth 2
                                        ;     Child Loop BB25_52 Depth 2
	;; [unrolled: 1-line block ×3, first 2 shown]
	s_and_b64 vcc, exec, s[0:1]
	v_mov_b32_e32 v4, s24
	v_mov_b32_e32 v2, s9
	s_cbranch_vccnz .LBB25_50
; %bb.47:                               ;   in Loop: Header=BB25_46 Depth=1
	s_mov_b64 s[6:7], 0
	v_mov_b32_e32 v4, s24
	v_mov_b32_e32 v2, s9
.LBB25_48:                              ;   Parent Loop BB25_46 Depth=1
                                        ; =>  This Inner Loop Header: Depth=2
	v_add_u32_e32 v1, v2, v4
	v_lshrrev_b32_e32 v5, 31, v1
	v_add_u32_e32 v1, v1, v5
	v_ashrrev_i32_e32 v6, 1, v1
	v_ashrrev_i32_e32 v7, 31, v6
	v_lshlrev_b64 v[12:13], 2, v[6:7]
	v_mov_b32_e32 v3, s13
	v_add_co_u32_e32 v12, vcc, s12, v12
	v_addc_co_u32_e32 v13, vcc, v3, v13, vcc
	global_load_dword v1, v[12:13], off
	s_waitcnt vmcnt(0)
	v_subrev_u32_e32 v1, s20, v1
	v_cmp_gt_i32_e32 vcc, v1, v0
	v_cndmask_b32_e32 v2, v2, v6, vcc
	v_cndmask_b32_e32 v4, v6, v4, vcc
	v_add_u32_e32 v1, -1, v2
	v_cmp_ge_i32_e32 vcc, v4, v2
	v_cmp_eq_u32_e64 s[2:3], v4, v1
	s_or_b64 s[2:3], vcc, s[2:3]
	s_and_b64 s[2:3], exec, s[2:3]
	s_or_b64 s[6:7], s[2:3], s[6:7]
	s_andn2_b64 exec, exec, s[6:7]
	s_cbranch_execnz .LBB25_48
; %bb.49:                               ;   in Loop: Header=BB25_46 Depth=1
	s_or_b64 exec, exec, s[6:7]
.LBB25_50:                              ;   in Loop: Header=BB25_46 Depth=1
	v_ashrrev_i32_e32 v3, 31, v2
	v_lshlrev_b64 v[6:7], 2, v[2:3]
	v_add_co_u32_e32 v6, vcc, s12, v6
	v_addc_co_u32_e32 v7, vcc, v10, v7, vcc
	v_ashrrev_i32_e32 v1, 31, v0
	global_load_dword v3, v[6:7], off
	v_lshlrev_b64 v[6:7], 2, v[0:1]
	v_add_co_u32_e32 v6, vcc, s14, v6
	v_addc_co_u32_e32 v7, vcc, v11, v7, vcc
	global_load_dword v5, v[6:7], off
	s_waitcnt vmcnt(1)
	v_subrev_u32_e32 v3, s20, v3
	v_cmp_gt_i32_e32 vcc, v3, v0
	v_cndmask_b32_e32 v2, v2, v4, vcc
	s_waitcnt vmcnt(0)
	v_subrev_u32_e32 v4, s20, v5
	v_cmp_ne_u32_e32 vcc, v4, v2
	s_and_saveexec_b64 s[2:3], vcc
	s_cbranch_execz .LBB25_45
; %bb.51:                               ;   in Loop: Header=BB25_46 Depth=1
	v_ashrrev_i32_e32 v5, 31, v4
	v_lshlrev_b64 v[6:7], 3, v[4:5]
	v_lshlrev_b64 v[4:5], 3, v[0:1]
	v_mov_b32_e32 v1, s17
	v_add_co_u32_e32 v4, vcc, s16, v4
	v_addc_co_u32_e32 v5, vcc, v1, v5, vcc
	v_ashrrev_i32_e32 v3, 31, v2
	global_load_dwordx2 v[14:15], v[4:5], off
	v_lshlrev_b64 v[2:3], 3, v[2:3]
	v_mov_b32_e32 v1, s19
	v_add_co_u32_e32 v2, vcc, s18, v2
	v_addc_co_u32_e32 v3, vcc, v1, v3, vcc
	v_mov_b32_e32 v12, s27
	global_load_dwordx2 v[4:5], v[2:3], off
	v_add_co_u32_e32 v2, vcc, s26, v6
	v_addc_co_u32_e32 v3, vcc, v12, v7, vcc
	global_load_dword v7, v[2:3], off
	s_mov_b64 s[6:7], 0
	s_waitcnt vmcnt(2)
	v_cndmask_b32_e64 v6, v15, -v15, s[22:23]
	v_mul_f32_e32 v12, v6, v8
	v_mul_f32_e64 v1, v6, -v9
	v_fmac_f32_e32 v12, v9, v14
	v_fmac_f32_e32 v1, v8, v14
	s_waitcnt vmcnt(1)
	v_mul_f32_e64 v13, v5, -v12
	v_fmac_f32_e32 v13, v1, v4
.LBB25_52:                              ;   Parent Loop BB25_46 Depth=1
                                        ; =>  This Inner Loop Header: Depth=2
	s_waitcnt vmcnt(0)
	v_add_f32_e32 v6, v7, v13
	global_atomic_cmpswap v6, v[2:3], v[6:7], off glc
	s_waitcnt vmcnt(0)
	v_cmp_eq_u32_e32 vcc, v6, v7
	s_or_b64 s[6:7], vcc, s[6:7]
	v_mov_b32_e32 v7, v6
	s_andn2_b64 exec, exec, s[6:7]
	s_cbranch_execnz .LBB25_52
; %bb.53:                               ;   in Loop: Header=BB25_46 Depth=1
	s_or_b64 exec, exec, s[6:7]
	global_load_dword v7, v[2:3], off offset:4
	v_mul_f32_e32 v1, v5, v1
	v_fmac_f32_e32 v1, v12, v4
	s_mov_b64 s[6:7], 0
.LBB25_54:                              ;   Parent Loop BB25_46 Depth=1
                                        ; =>  This Inner Loop Header: Depth=2
	s_waitcnt vmcnt(0)
	v_add_f32_e32 v6, v7, v1
	global_atomic_cmpswap v4, v[2:3], v[6:7], off offset:4 glc
	s_waitcnt vmcnt(0)
	v_cmp_eq_u32_e32 vcc, v4, v7
	s_or_b64 s[6:7], vcc, s[6:7]
	v_mov_b32_e32 v7, v4
	s_andn2_b64 exec, exec, s[6:7]
	s_cbranch_execnz .LBB25_54
	s_branch .LBB25_45
.LBB25_55:
	s_endpgm
	.section	.rodata,"a",@progbits
	.p2align	6, 0x0
	.amdhsa_kernel _ZL33csrmvn_symm_large_adaptive_kernelIii21rocsparse_complex_numIfES1_S1_S1_EvbT_PKS2_N9rocsparse24const_host_device_scalarIT4_EES4_PKT0_PKT1_PKT2_S8_PT3_21rocsparse_index_base_b
		.amdhsa_group_segment_fixed_size 8192
		.amdhsa_private_segment_fixed_size 0
		.amdhsa_kernarg_size 80
		.amdhsa_user_sgpr_count 6
		.amdhsa_user_sgpr_private_segment_buffer 1
		.amdhsa_user_sgpr_dispatch_ptr 0
		.amdhsa_user_sgpr_queue_ptr 0
		.amdhsa_user_sgpr_kernarg_segment_ptr 1
		.amdhsa_user_sgpr_dispatch_id 0
		.amdhsa_user_sgpr_flat_scratch_init 0
		.amdhsa_user_sgpr_kernarg_preload_length 0
		.amdhsa_user_sgpr_kernarg_preload_offset 0
		.amdhsa_user_sgpr_private_segment_size 0
		.amdhsa_uses_dynamic_stack 0
		.amdhsa_system_sgpr_private_segment_wavefront_offset 0
		.amdhsa_system_sgpr_workgroup_id_x 1
		.amdhsa_system_sgpr_workgroup_id_y 0
		.amdhsa_system_sgpr_workgroup_id_z 0
		.amdhsa_system_sgpr_workgroup_info 0
		.amdhsa_system_vgpr_workitem_id 0
		.amdhsa_next_free_vgpr 20
		.amdhsa_next_free_sgpr 43
		.amdhsa_accum_offset 20
		.amdhsa_reserve_vcc 1
		.amdhsa_reserve_flat_scratch 0
		.amdhsa_float_round_mode_32 0
		.amdhsa_float_round_mode_16_64 0
		.amdhsa_float_denorm_mode_32 3
		.amdhsa_float_denorm_mode_16_64 3
		.amdhsa_dx10_clamp 1
		.amdhsa_ieee_mode 1
		.amdhsa_fp16_overflow 0
		.amdhsa_tg_split 0
		.amdhsa_exception_fp_ieee_invalid_op 0
		.amdhsa_exception_fp_denorm_src 0
		.amdhsa_exception_fp_ieee_div_zero 0
		.amdhsa_exception_fp_ieee_overflow 0
		.amdhsa_exception_fp_ieee_underflow 0
		.amdhsa_exception_fp_ieee_inexact 0
		.amdhsa_exception_int_div_zero 0
	.end_amdhsa_kernel
	.section	.text._ZL33csrmvn_symm_large_adaptive_kernelIii21rocsparse_complex_numIfES1_S1_S1_EvbT_PKS2_N9rocsparse24const_host_device_scalarIT4_EES4_PKT0_PKT1_PKT2_S8_PT3_21rocsparse_index_base_b,"axG",@progbits,_ZL33csrmvn_symm_large_adaptive_kernelIii21rocsparse_complex_numIfES1_S1_S1_EvbT_PKS2_N9rocsparse24const_host_device_scalarIT4_EES4_PKT0_PKT1_PKT2_S8_PT3_21rocsparse_index_base_b,comdat
.Lfunc_end25:
	.size	_ZL33csrmvn_symm_large_adaptive_kernelIii21rocsparse_complex_numIfES1_S1_S1_EvbT_PKS2_N9rocsparse24const_host_device_scalarIT4_EES4_PKT0_PKT1_PKT2_S8_PT3_21rocsparse_index_base_b, .Lfunc_end25-_ZL33csrmvn_symm_large_adaptive_kernelIii21rocsparse_complex_numIfES1_S1_S1_EvbT_PKS2_N9rocsparse24const_host_device_scalarIT4_EES4_PKT0_PKT1_PKT2_S8_PT3_21rocsparse_index_base_b
                                        ; -- End function
	.section	.AMDGPU.csdata,"",@progbits
; Kernel info:
; codeLenInByte = 2164
; NumSgprs: 47
; NumVgprs: 20
; NumAgprs: 0
; TotalNumVgprs: 20
; ScratchSize: 0
; MemoryBound: 0
; FloatMode: 240
; IeeeMode: 1
; LDSByteSize: 8192 bytes/workgroup (compile time only)
; SGPRBlocks: 5
; VGPRBlocks: 2
; NumSGPRsForWavesPerEU: 47
; NumVGPRsForWavesPerEU: 20
; AccumOffset: 20
; Occupancy: 8
; WaveLimiterHint : 1
; COMPUTE_PGM_RSRC2:SCRATCH_EN: 0
; COMPUTE_PGM_RSRC2:USER_SGPR: 6
; COMPUTE_PGM_RSRC2:TRAP_HANDLER: 0
; COMPUTE_PGM_RSRC2:TGID_X_EN: 1
; COMPUTE_PGM_RSRC2:TGID_Y_EN: 0
; COMPUTE_PGM_RSRC2:TGID_Z_EN: 0
; COMPUTE_PGM_RSRC2:TIDIG_COMP_CNT: 0
; COMPUTE_PGM_RSRC3_GFX90A:ACCUM_OFFSET: 4
; COMPUTE_PGM_RSRC3_GFX90A:TG_SPLIT: 0
	.section	.text._ZN9rocsparseL22csrmvn_adaptive_kernelIli21rocsparse_complex_numIfES2_S2_S2_EEvbT_PKS3_PjPKT0_NS_24const_host_device_scalarIT4_EES5_S9_PKT1_PKT2_SC_PT3_21rocsparse_index_base_b,"axG",@progbits,_ZN9rocsparseL22csrmvn_adaptive_kernelIli21rocsparse_complex_numIfES2_S2_S2_EEvbT_PKS3_PjPKT0_NS_24const_host_device_scalarIT4_EES5_S9_PKT1_PKT2_SC_PT3_21rocsparse_index_base_b,comdat
	.globl	_ZN9rocsparseL22csrmvn_adaptive_kernelIli21rocsparse_complex_numIfES2_S2_S2_EEvbT_PKS3_PjPKT0_NS_24const_host_device_scalarIT4_EES5_S9_PKT1_PKT2_SC_PT3_21rocsparse_index_base_b ; -- Begin function _ZN9rocsparseL22csrmvn_adaptive_kernelIli21rocsparse_complex_numIfES2_S2_S2_EEvbT_PKS3_PjPKT0_NS_24const_host_device_scalarIT4_EES5_S9_PKT1_PKT2_SC_PT3_21rocsparse_index_base_b
	.p2align	8
	.type	_ZN9rocsparseL22csrmvn_adaptive_kernelIli21rocsparse_complex_numIfES2_S2_S2_EEvbT_PKS3_PjPKT0_NS_24const_host_device_scalarIT4_EES5_S9_PKT1_PKT2_SC_PT3_21rocsparse_index_base_b,@function
_ZN9rocsparseL22csrmvn_adaptive_kernelIli21rocsparse_complex_numIfES2_S2_S2_EEvbT_PKS3_PjPKT0_NS_24const_host_device_scalarIT4_EES5_S9_PKT1_PKT2_SC_PT3_21rocsparse_index_base_b: ; @_ZN9rocsparseL22csrmvn_adaptive_kernelIli21rocsparse_complex_numIfES2_S2_S2_EEvbT_PKS3_PjPKT0_NS_24const_host_device_scalarIT4_EES5_S9_PKT1_PKT2_SC_PT3_21rocsparse_index_base_b
; %bb.0:
	s_load_dwordx2 s[44:45], s[4:5], 0x60
	s_load_dwordx2 s[8:9], s[4:5], 0x28
	;; [unrolled: 1-line block ×3, first 2 shown]
	s_waitcnt lgkmcnt(0)
	s_bitcmp1_b32 s45, 0
	s_cselect_b64 s[0:1], -1, 0
	s_xor_b64 s[10:11], s[0:1], -1
	s_and_b64 vcc, exec, s[0:1]
	v_mov_b32_e32 v4, s8
	s_cbranch_vccnz .LBB26_2
; %bb.1:
	v_pk_mov_b32 v[2:3], s[8:9], s[8:9] op_sel:[0,1]
	flat_load_dword v4, v[2:3]
.LBB26_2:
	v_cndmask_b32_e64 v1, 0, 1, s[10:11]
	v_cmp_ne_u32_e64 s[0:1], 1, v1
	s_andn2_b64 vcc, exec, s[10:11]
	v_mov_b32_e32 v5, s9
	s_cbranch_vccz .LBB26_38
; %bb.3:
	s_and_b64 vcc, exec, s[0:1]
	v_mov_b32_e32 v6, s2
	s_cbranch_vccz .LBB26_39
.LBB26_4:
	s_and_b64 vcc, exec, s[0:1]
	v_mov_b32_e32 v7, s3
	s_cbranch_vccnz .LBB26_6
.LBB26_5:
	v_pk_mov_b32 v[2:3], s[2:3], s[2:3] op_sel:[0,1]
	flat_load_dword v7, v[2:3] offset:4
.LBB26_6:
	s_waitcnt vmcnt(0) lgkmcnt(0)
	v_and_b32_e32 v1, 0x7fffffff, v4
	v_cmp_eq_u32_e32 vcc, 0, v1
	v_cmp_eq_f32_e64 s[0:1], 0, v5
	s_and_b64 s[8:9], vcc, s[0:1]
	s_mov_b64 s[0:1], -1
	s_and_saveexec_b64 s[2:3], s[8:9]
; %bb.7:
	v_and_b32_e32 v1, 0x7fffffff, v7
	v_cmp_neq_f32_e32 vcc, 1.0, v6
	v_cmp_ne_u32_e64 s[0:1], 0, v1
	s_or_b64 s[0:1], vcc, s[0:1]
	s_orn2_b64 s[0:1], s[0:1], exec
; %bb.8:
	s_or_b64 exec, exec, s[2:3]
	s_and_saveexec_b64 s[2:3], s[0:1]
	s_cbranch_execz .LBB26_132
; %bb.9:
	s_load_dwordx2 s[2:3], s[4:5], 0x20
	s_load_dword s0, s[4:5], 0x0
	s_load_dwordx2 s[8:9], s[4:5], 0x10
	s_waitcnt lgkmcnt(0)
	s_bitcmp1_b32 s0, 0
	s_cselect_b64 s[0:1], -1, 0
	s_ashr_i32 s7, s6, 31
	s_lshl_b64 s[10:11], s[6:7], 3
	s_add_u32 s8, s8, s10
	s_addc_u32 s9, s9, s11
	s_load_dwordx4 s[36:39], s[8:9], 0x0
	s_load_dwordx2 s[34:35], s[4:5], 0x58
	s_load_dwordx8 s[24:31], s[4:5], 0x30
	s_lshl_b64 s[48:49], s[6:7], 2
	s_waitcnt lgkmcnt(0)
	s_sub_i32 s7, s38, s36
	s_add_u32 s2, s2, s48
	s_addc_u32 s3, s3, s49
	s_lshl_b64 s[46:47], s[36:37], 3
	s_add_u32 s40, s24, s46
	s_addc_u32 s41, s25, s47
	s_load_dword s33, s[2:3], 0x0
	s_load_dwordx2 s[42:43], s[40:41], 0x0
	s_cmp_lt_i32 s7, 2
	s_mov_b64 s[2:3], -1
	s_cbranch_scc0 .LBB26_81
; %bb.10:
	s_cmp_lg_u32 s7, 1
	s_cselect_b64 s[2:3], -1, 0
	s_waitcnt lgkmcnt(0)
	s_cmp_lg_u32 s33, 0
	s_cselect_b64 s[8:9], -1, 0
	s_or_b64 s[8:9], s[2:3], s[8:9]
	s_mov_b64 s[2:3], -1
	s_and_b64 vcc, exec, s[8:9]
	s_cbranch_vccnz .LBB26_41
; %bb.11:
	v_pk_mov_b32 v[2:3], s[36:37], s[36:37] op_sel:[0,1]
	v_cmp_le_i64_e32 vcc, s[38:39], v[2:3]
	s_cbranch_vccnz .LBB26_40
; %bb.12:
	v_subrev_co_u32_e32 v1, vcc, s44, v0
	v_and_b32_e32 v3, 0x7fffffff, v6
	v_subb_co_u32_e64 v20, s[2:3], 0, 0, vcc
	v_cmp_ne_u32_e32 vcc, 0, v3
	v_cmp_neq_f32_e64 s[22:23], 0, v7
	s_or_b64 s[50:51], vcc, s[22:23]
	s_add_u32 s7, s24, 8
	s_addc_u32 s45, s25, 0
	s_movk_i32 s2, 0x80
	s_add_u32 s64, s28, 4
	v_xor_b32_e32 v2, 0x80000000, v5
	v_lshlrev_b32_e32 v21, 3, v0
	v_cmp_gt_u32_e64 s[2:3], s2, v0
	v_cmp_gt_u32_e64 s[8:9], 64, v0
	;; [unrolled: 1-line block ×7, first 2 shown]
	v_cmp_eq_u32_e64 s[20:21], 0, v0
	v_xor_b32_e32 v8, 0x80000000, v7
	v_mov_b32_e32 v9, v6
	v_mov_b32_e32 v3, v4
	s_addc_u32 s65, s29, 0
	v_mov_b32_e32 v22, s31
	s_movk_i32 s66, 0x100
	v_mov_b32_e32 v23, 0
	v_pk_mov_b32 v[10:11], s[38:39], s[38:39] op_sel:[0,1]
	s_mov_b64 s[54:55], s[42:43]
	s_mov_b64 s[52:53], s[36:37]
	s_branch .LBB26_15
.LBB26_13:                              ;   in Loop: Header=BB26_15 Depth=1
	s_or_b64 exec, exec, s[58:59]
	s_add_u32 s56, s34, s56
	s_addc_u32 s57, s35, s57
	s_waitcnt lgkmcnt(0)
	global_store_dwordx2 v23, v[12:13], s[56:57]
.LBB26_14:                              ;   in Loop: Header=BB26_15 Depth=1
	s_or_b64 exec, exec, s[22:23]
	s_add_u32 s52, s52, 1
	s_addc_u32 s53, s53, 0
	v_cmp_ge_i64_e32 vcc, s[52:53], v[10:11]
	s_cbranch_vccnz .LBB26_40
.LBB26_15:                              ; =>This Loop Header: Depth=1
                                        ;     Child Loop BB26_17 Depth 2
	s_lshl_b64 s[56:57], s[52:53], 3
	s_mov_b64 s[22:23], s[54:55]
	s_add_u32 s54, s7, s56
	s_addc_u32 s55, s45, s57
	s_load_dwordx2 s[54:55], s[54:55], 0x0
	v_mov_b32_e32 v13, s23
	v_add_co_u32_e32 v12, vcc, s22, v1
	v_addc_co_u32_e32 v13, vcc, v13, v20, vcc
	s_waitcnt lgkmcnt(0)
	s_sub_u32 s58, s54, s44
	s_subb_u32 s59, s55, 0
	v_cmp_gt_i64_e32 vcc, s[58:59], v[12:13]
	v_mov_b32_e32 v15, 0
	v_mov_b32_e32 v14, 0
	s_and_saveexec_b64 s[60:61], vcc
	s_cbranch_execz .LBB26_19
; %bb.16:                               ;   in Loop: Header=BB26_15 Depth=1
	v_lshlrev_b64 v[14:15], 3, v[12:13]
	v_mov_b32_e32 v17, s65
	v_add_co_u32_e32 v16, vcc, s64, v14
	v_addc_co_u32_e32 v17, vcc, v17, v15, vcc
	v_lshlrev_b64 v[14:15], 2, v[12:13]
	v_mov_b32_e32 v19, s27
	v_add_co_u32_e32 v18, vcc, s26, v14
	v_mov_b32_e32 v14, 0
	v_addc_co_u32_e32 v19, vcc, v19, v15, vcc
	s_mov_b64 s[62:63], 0
	v_mov_b32_e32 v15, v14
.LBB26_17:                              ;   Parent Loop BB26_15 Depth=1
                                        ; =>  This Inner Loop Header: Depth=2
	global_load_dword v26, v[18:19], off
	global_load_dwordx2 v[24:25], v[16:17], off offset:-4
	s_waitcnt vmcnt(1)
	v_subrev_u32_e32 v26, s44, v26
	v_ashrrev_i32_e32 v27, 31, v26
	v_lshlrev_b64 v[26:27], 3, v[26:27]
	v_add_co_u32_e32 v26, vcc, s30, v26
	v_addc_co_u32_e32 v27, vcc, v22, v27, vcc
	global_load_dwordx2 v[26:27], v[26:27], off
	v_add_co_u32_e32 v12, vcc, s66, v12
	v_addc_co_u32_e32 v13, vcc, 0, v13, vcc
	s_waitcnt vmcnt(1)
	v_cndmask_b32_e64 v28, v25, -v25, s[0:1]
	v_add_co_u32_e32 v16, vcc, 0x800, v16
	v_pk_mul_f32 v[28:29], v[28:29], v[2:3] op_sel_hi:[0,1]
	v_addc_co_u32_e32 v17, vcc, 0, v17, vcc
	v_pk_fma_f32 v[24:25], v[4:5], v[24:25], v[28:29] op_sel_hi:[1,0,1]
	v_add_co_u32_e32 v18, vcc, 0x400, v18
	v_cmp_le_i64_e64 s[22:23], s[58:59], v[12:13]
	v_addc_co_u32_e32 v19, vcc, 0, v19, vcc
	s_or_b64 s[62:63], s[22:23], s[62:63]
	s_waitcnt vmcnt(0)
	v_pk_fma_f32 v[14:15], v[24:25], v[26:27], v[14:15] op_sel_hi:[1,0,1]
	v_pk_fma_f32 v[14:15], v[24:25], v[26:27], v[14:15] op_sel:[1,1,0] op_sel_hi:[0,1,1] neg_lo:[1,0,0]
	s_andn2_b64 exec, exec, s[62:63]
	s_cbranch_execnz .LBB26_17
; %bb.18:                               ;   in Loop: Header=BB26_15 Depth=1
	s_or_b64 exec, exec, s[62:63]
.LBB26_19:                              ;   in Loop: Header=BB26_15 Depth=1
	s_or_b64 exec, exec, s[60:61]
	ds_write_b64 v21, v[14:15]
	s_waitcnt lgkmcnt(0)
	s_barrier
	s_and_saveexec_b64 s[22:23], s[2:3]
	s_cbranch_execz .LBB26_21
; %bb.20:                               ;   in Loop: Header=BB26_15 Depth=1
	ds_read2st64_b64 v[12:15], v21 offset1:2
	s_waitcnt lgkmcnt(0)
	v_pk_add_f32 v[12:13], v[14:15], v[12:13]
	ds_write_b64 v21, v[12:13]
.LBB26_21:                              ;   in Loop: Header=BB26_15 Depth=1
	s_or_b64 exec, exec, s[22:23]
	s_waitcnt lgkmcnt(0)
	s_barrier
	s_and_saveexec_b64 s[22:23], s[8:9]
	s_cbranch_execz .LBB26_23
; %bb.22:                               ;   in Loop: Header=BB26_15 Depth=1
	ds_read2st64_b64 v[12:15], v21 offset1:1
	s_waitcnt lgkmcnt(0)
	v_pk_add_f32 v[12:13], v[14:15], v[12:13]
	ds_write_b64 v21, v[12:13]
.LBB26_23:                              ;   in Loop: Header=BB26_15 Depth=1
	s_or_b64 exec, exec, s[22:23]
	s_waitcnt lgkmcnt(0)
	s_barrier
	s_and_saveexec_b64 s[22:23], s[10:11]
	s_cbranch_execz .LBB26_25
; %bb.24:                               ;   in Loop: Header=BB26_15 Depth=1
	ds_read2_b64 v[12:15], v21 offset1:32
	s_waitcnt lgkmcnt(0)
	v_pk_add_f32 v[12:13], v[14:15], v[12:13]
	ds_write_b64 v21, v[12:13]
.LBB26_25:                              ;   in Loop: Header=BB26_15 Depth=1
	s_or_b64 exec, exec, s[22:23]
	s_waitcnt lgkmcnt(0)
	s_barrier
	s_and_saveexec_b64 s[22:23], s[12:13]
	s_cbranch_execz .LBB26_27
; %bb.26:                               ;   in Loop: Header=BB26_15 Depth=1
	ds_read2_b64 v[12:15], v21 offset1:16
	s_waitcnt lgkmcnt(0)
	v_pk_add_f32 v[12:13], v[14:15], v[12:13]
	ds_write_b64 v21, v[12:13]
.LBB26_27:                              ;   in Loop: Header=BB26_15 Depth=1
	s_or_b64 exec, exec, s[22:23]
	s_waitcnt lgkmcnt(0)
	s_barrier
	s_and_saveexec_b64 s[22:23], s[14:15]
	s_cbranch_execz .LBB26_29
; %bb.28:                               ;   in Loop: Header=BB26_15 Depth=1
	ds_read2_b64 v[12:15], v21 offset1:8
	s_waitcnt lgkmcnt(0)
	v_pk_add_f32 v[12:13], v[14:15], v[12:13]
	ds_write_b64 v21, v[12:13]
.LBB26_29:                              ;   in Loop: Header=BB26_15 Depth=1
	s_or_b64 exec, exec, s[22:23]
	s_waitcnt lgkmcnt(0)
	s_barrier
	s_and_saveexec_b64 s[22:23], s[16:17]
	s_cbranch_execz .LBB26_31
; %bb.30:                               ;   in Loop: Header=BB26_15 Depth=1
	ds_read2_b64 v[12:15], v21 offset1:4
	s_waitcnt lgkmcnt(0)
	v_pk_add_f32 v[12:13], v[14:15], v[12:13]
	ds_write_b64 v21, v[12:13]
.LBB26_31:                              ;   in Loop: Header=BB26_15 Depth=1
	s_or_b64 exec, exec, s[22:23]
	s_waitcnt lgkmcnt(0)
	s_barrier
	s_and_saveexec_b64 s[22:23], s[18:19]
	s_cbranch_execz .LBB26_33
; %bb.32:                               ;   in Loop: Header=BB26_15 Depth=1
	ds_read2_b64 v[12:15], v21 offset1:2
	s_waitcnt lgkmcnt(0)
	v_pk_add_f32 v[12:13], v[14:15], v[12:13]
	ds_write_b64 v21, v[12:13]
.LBB26_33:                              ;   in Loop: Header=BB26_15 Depth=1
	s_or_b64 exec, exec, s[22:23]
	s_waitcnt lgkmcnt(0)
	s_barrier
	s_and_saveexec_b64 s[22:23], s[20:21]
	s_cbranch_execz .LBB26_35
; %bb.34:                               ;   in Loop: Header=BB26_15 Depth=1
	ds_read2_b64 v[12:15], v23 offset1:1
	s_waitcnt lgkmcnt(0)
	v_pk_add_f32 v[12:13], v[14:15], v[12:13]
	ds_write_b64 v23, v[12:13]
.LBB26_35:                              ;   in Loop: Header=BB26_15 Depth=1
	s_or_b64 exec, exec, s[22:23]
	s_waitcnt lgkmcnt(0)
	s_barrier
	s_and_saveexec_b64 s[22:23], s[20:21]
	s_cbranch_execz .LBB26_14
; %bb.36:                               ;   in Loop: Header=BB26_15 Depth=1
	ds_read_b64 v[12:13], v23
	s_and_saveexec_b64 s[58:59], s[50:51]
	s_cbranch_execz .LBB26_13
; %bb.37:                               ;   in Loop: Header=BB26_15 Depth=1
	s_add_u32 s60, s34, s56
	s_addc_u32 s61, s35, s57
	global_load_dwordx2 v[14:15], v23, s[60:61]
	s_waitcnt vmcnt(0) lgkmcnt(0)
	v_pk_fma_f32 v[12:13], v[6:7], v[14:15], v[12:13] op_sel_hi:[1,0,1]
	v_pk_fma_f32 v[12:13], v[8:9], v[14:15], v[12:13] op_sel:[0,1,0]
	s_branch .LBB26_13
.LBB26_38:
	v_pk_mov_b32 v[2:3], s[8:9], s[8:9] op_sel:[0,1]
	flat_load_dword v5, v[2:3] offset:4
	s_and_b64 vcc, exec, s[0:1]
	v_mov_b32_e32 v6, s2
	s_cbranch_vccnz .LBB26_4
.LBB26_39:
	v_pk_mov_b32 v[2:3], s[2:3], s[2:3] op_sel:[0,1]
	flat_load_dword v6, v[2:3]
	s_and_b64 vcc, exec, s[0:1]
	v_mov_b32_e32 v7, s3
	s_cbranch_vccz .LBB26_5
	s_branch .LBB26_6
.LBB26_40:
	s_mov_b64 s[2:3], 0
.LBB26_41:
	s_andn2_b64 vcc, exec, s[2:3]
	s_cbranch_vccnz .LBB26_80
; %bb.42:
	s_load_dwordx2 s[8:9], s[4:5], 0x18
	s_sub_i32 s10, s6, s33
	s_mov_b32 s2, 0
	v_or_b32_e32 v1, s33, v0
	s_mov_b32 s3, s2
	s_waitcnt lgkmcnt(0)
	s_add_u32 s6, s8, s48
	s_addc_u32 s7, s9, s49
	s_load_dword s18, s[6:7], 0x0
	v_cmp_eq_u32_e32 vcc, 0, v1
	v_pk_mov_b32 v[2:3], s[2:3], s[2:3] op_sel:[0,1]
	s_and_saveexec_b64 s[2:3], vcc
	s_cbranch_execz .LBB26_46
; %bb.43:
	s_add_u32 s14, s34, s46
	s_addc_u32 s15, s35, s47
	v_mov_b32_e32 v1, 0
	global_load_dwordx2 v[2:3], v1, s[14:15]
	s_mov_b64 s[12:13], exec
	v_mbcnt_lo_u32_b32 v12, s12, 0
	v_add_f32_e32 v11, -1.0, v6
	v_xor_b32_e32 v10, 0x80000000, v7
	v_mbcnt_hi_u32_b32 v12, s13, v12
	v_mov_b32_e32 v9, v7
	v_mov_b32_e32 v8, v11
	v_cmp_eq_u32_e32 vcc, 0, v12
	s_waitcnt vmcnt(0) expcnt(0) lgkmcnt(0)
	v_pk_mul_f32 v[10:11], v[2:3], v[10:11] op_sel:[1,0]
	s_and_saveexec_b64 s[14:15], vcc
	s_cbranch_execz .LBB26_45
; %bb.44:
	s_ashr_i32 s11, s10, 31
	s_lshl_b64 s[16:17], s[10:11], 2
	s_add_u32 s16, s8, s16
	s_addc_u32 s17, s9, s17
	s_bcnt1_i32_b64 s11, s[12:13]
	s_and_b32 s11, s11, 1
	v_mov_b32_e32 v12, s11
	global_atomic_xor v1, v12, s[16:17]
.LBB26_45:
	s_or_b64 exec, exec, s[14:15]
	v_pk_fma_f32 v[2:3], v[8:9], v[2:3], v[10:11] op_sel_hi:[1,0,1]
.LBB26_46:
	s_or_b64 exec, exec, s[2:3]
	s_load_dwordx2 s[2:3], s[40:41], 0x8
	s_sub_u32 s13, s42, s44
	s_mul_i32 s11, s33, 0xc00
	s_subb_u32 s14, s43, 0
	s_mul_hi_i32 s12, s33, 0xc00
	s_add_u32 s11, s13, s11
	s_addc_u32 s14, s14, s12
	s_waitcnt lgkmcnt(0)
	s_sub_u32 s2, s2, s44
	v_mov_b32_e32 v1, s14
	v_add_co_u32_e32 v8, vcc, s11, v0
	s_subb_u32 s3, s3, 0
	v_addc_co_u32_e32 v9, vcc, 0, v1, vcc
	v_cmp_gt_i64_e32 vcc, s[2:3], v[8:9]
	s_and_saveexec_b64 s[12:13], vcc
	s_cbranch_execz .LBB26_50
; %bb.47:
	s_add_u32 s16, s11, 0xc00
	s_addc_u32 s17, s14, 0
	v_pk_mov_b32 v[10:11], s[2:3], s[2:3] op_sel:[0,1]
	v_cmp_lt_i64_e32 vcc, s[16:17], v[10:11]
	v_lshlrev_b64 v[12:13], 3, v[8:9]
	s_and_b64 s[14:15], vcc, exec
	v_mov_b32_e32 v1, s29
	v_add_co_u32_e32 v12, vcc, s28, v12
	v_addc_co_u32_e32 v1, vcc, v13, v1, vcc
	v_add_co_u32_e32 v12, vcc, 4, v12
	v_addc_co_u32_e32 v13, vcc, 0, v1, vcc
	v_lshlrev_b64 v[14:15], 2, v[8:9]
	v_mov_b32_e32 v1, s27
	v_add_co_u32_e32 v14, vcc, s26, v14
	s_cselect_b32 s15, s17, s3
	s_cselect_b32 s14, s16, s2
	v_xor_b32_e32 v10, 0x80000000, v5
	v_mov_b32_e32 v11, v4
	v_addc_co_u32_e32 v15, vcc, v1, v15, vcc
	s_mov_b64 s[16:17], 0
	v_mov_b32_e32 v1, s31
	s_movk_i32 s11, 0x100
.LBB26_48:                              ; =>This Inner Loop Header: Depth=1
	global_load_dword v18, v[14:15], off
	global_load_dwordx2 v[16:17], v[12:13], off offset:-4
	s_waitcnt vmcnt(1)
	v_subrev_u32_e32 v18, s44, v18
	v_ashrrev_i32_e32 v19, 31, v18
	v_lshlrev_b64 v[18:19], 3, v[18:19]
	v_add_co_u32_e32 v18, vcc, s30, v18
	v_addc_co_u32_e32 v19, vcc, v1, v19, vcc
	global_load_dwordx2 v[18:19], v[18:19], off
	v_add_co_u32_e32 v8, vcc, s11, v8
	v_addc_co_u32_e32 v9, vcc, 0, v9, vcc
	s_waitcnt vmcnt(1)
	v_cndmask_b32_e64 v20, v17, -v17, s[0:1]
	v_add_co_u32_e32 v12, vcc, 0x800, v12
	v_pk_mul_f32 v[20:21], v[20:21], v[10:11] op_sel_hi:[0,1]
	v_addc_co_u32_e32 v13, vcc, 0, v13, vcc
	v_pk_fma_f32 v[16:17], v[4:5], v[16:17], v[20:21] op_sel_hi:[1,0,1]
	v_add_co_u32_e32 v14, vcc, 0x400, v14
	v_cmp_le_i64_e64 s[2:3], s[14:15], v[8:9]
	v_addc_co_u32_e32 v15, vcc, 0, v15, vcc
	s_or_b64 s[16:17], s[2:3], s[16:17]
	s_waitcnt vmcnt(0)
	v_pk_fma_f32 v[2:3], v[16:17], v[18:19], v[2:3] op_sel_hi:[1,0,1]
	v_pk_fma_f32 v[2:3], v[16:17], v[18:19], v[2:3] op_sel:[1,1,0] op_sel_hi:[0,1,1] neg_lo:[1,0,0]
	s_andn2_b64 exec, exec, s[16:17]
	s_cbranch_execnz .LBB26_48
; %bb.49:
	s_or_b64 exec, exec, s[16:17]
.LBB26_50:
	s_or_b64 exec, exec, s[12:13]
	s_movk_i32 s2, 0x80
	v_lshlrev_b32_e32 v1, 3, v0
	v_cmp_gt_u32_e32 vcc, s2, v0
	ds_write_b64 v1, v[2:3]
	s_waitcnt lgkmcnt(0)
	s_barrier
	s_and_saveexec_b64 s[2:3], vcc
	s_cbranch_execz .LBB26_52
; %bb.51:
	ds_read2st64_b64 v[8:11], v1 offset1:2
	s_waitcnt lgkmcnt(0)
	v_pk_add_f32 v[2:3], v[10:11], v[8:9]
	ds_write_b64 v1, v[2:3]
.LBB26_52:
	s_or_b64 exec, exec, s[2:3]
	v_cmp_gt_u32_e32 vcc, 64, v0
	s_waitcnt lgkmcnt(0)
	s_barrier
	s_and_saveexec_b64 s[2:3], vcc
	s_cbranch_execz .LBB26_54
; %bb.53:
	ds_read2st64_b64 v[8:11], v1 offset1:1
	s_waitcnt lgkmcnt(0)
	v_pk_add_f32 v[2:3], v[10:11], v[8:9]
	ds_write_b64 v1, v[2:3]
.LBB26_54:
	s_or_b64 exec, exec, s[2:3]
	v_cmp_gt_u32_e32 vcc, 32, v0
	s_waitcnt lgkmcnt(0)
	s_barrier
	s_and_saveexec_b64 s[2:3], vcc
	s_cbranch_execz .LBB26_56
; %bb.55:
	ds_read2_b64 v[8:11], v1 offset1:32
	s_waitcnt lgkmcnt(0)
	v_pk_add_f32 v[2:3], v[10:11], v[8:9]
	ds_write_b64 v1, v[2:3]
.LBB26_56:
	s_or_b64 exec, exec, s[2:3]
	v_cmp_gt_u32_e32 vcc, 16, v0
	s_waitcnt lgkmcnt(0)
	s_barrier
	s_and_saveexec_b64 s[2:3], vcc
	s_cbranch_execz .LBB26_58
; %bb.57:
	ds_read2_b64 v[8:11], v1 offset1:16
	s_waitcnt lgkmcnt(0)
	v_pk_add_f32 v[2:3], v[10:11], v[8:9]
	ds_write_b64 v1, v[2:3]
.LBB26_58:
	s_or_b64 exec, exec, s[2:3]
	v_cmp_gt_u32_e32 vcc, 8, v0
	s_waitcnt lgkmcnt(0)
	s_barrier
	s_and_saveexec_b64 s[2:3], vcc
	s_cbranch_execz .LBB26_60
; %bb.59:
	ds_read2_b64 v[8:11], v1 offset1:8
	s_waitcnt lgkmcnt(0)
	v_pk_add_f32 v[2:3], v[10:11], v[8:9]
	ds_write_b64 v1, v[2:3]
.LBB26_60:
	s_or_b64 exec, exec, s[2:3]
	v_cmp_gt_u32_e32 vcc, 4, v0
	s_waitcnt lgkmcnt(0)
	s_barrier
	s_and_saveexec_b64 s[2:3], vcc
	s_cbranch_execz .LBB26_62
; %bb.61:
	ds_read2_b64 v[8:11], v1 offset1:4
	s_waitcnt lgkmcnt(0)
	v_pk_add_f32 v[2:3], v[10:11], v[8:9]
	ds_write_b64 v1, v[2:3]
.LBB26_62:
	s_or_b64 exec, exec, s[2:3]
	v_cmp_gt_u32_e32 vcc, 2, v0
	s_waitcnt lgkmcnt(0)
	s_barrier
	s_and_saveexec_b64 s[2:3], vcc
	s_cbranch_execz .LBB26_64
; %bb.63:
	ds_read2_b64 v[8:11], v1 offset1:2
	s_waitcnt lgkmcnt(0)
	v_pk_add_f32 v[2:3], v[10:11], v[8:9]
	ds_write_b64 v1, v[2:3]
.LBB26_64:
	s_or_b64 exec, exec, s[2:3]
	v_cmp_eq_u32_e32 vcc, 0, v0
	s_waitcnt lgkmcnt(0)
	s_barrier
	s_and_saveexec_b64 s[2:3], vcc
	s_cbranch_execz .LBB26_66
; %bb.65:
	v_mov_b32_e32 v1, 0
	ds_read2_b64 v[8:11], v1 offset1:1
	s_waitcnt lgkmcnt(0)
	v_pk_add_f32 v[2:3], v[10:11], v[8:9]
	ds_write_b64 v1, v[2:3]
.LBB26_66:
	s_or_b64 exec, exec, s[2:3]
	s_waitcnt lgkmcnt(0)
	s_barrier
	s_and_saveexec_b64 s[2:3], vcc
	s_cbranch_execz .LBB26_79
; %bb.67:
	s_cmp_eq_u32 s33, 0
	s_cbranch_scc1 .LBB26_73
; %bb.68:
	s_ashr_i32 s11, s10, 31
	s_lshl_b64 s[10:11], s[10:11], 2
	s_add_u32 s8, s8, s10
	s_addc_u32 s9, s9, s11
	v_mov_b32_e32 v1, 0
	s_branch .LBB26_70
.LBB26_69:                              ;   in Loop: Header=BB26_70 Depth=1
	s_or_b64 exec, exec, s[10:11]
	s_waitcnt vmcnt(0)
	v_readfirstlane_b32 s10, v2
	s_cmp_eq_u32 s10, s18
	s_cbranch_scc0 .LBB26_72
.LBB26_70:                              ; =>This Inner Loop Header: Depth=1
	v_mbcnt_lo_u32_b32 v2, exec_lo, 0
	v_mbcnt_hi_u32_b32 v2, exec_hi, v2
	v_cmp_eq_u32_e32 vcc, 0, v2
                                        ; implicit-def: $vgpr2
	s_and_saveexec_b64 s[10:11], vcc
	s_cbranch_execz .LBB26_69
; %bb.71:                               ;   in Loop: Header=BB26_70 Depth=1
	global_load_dword v2, v1, s[8:9] glc
	s_branch .LBB26_69
.LBB26_72:
	v_mov_b32_e32 v1, 0
	global_load_dword v2, v1, s[6:7]
	s_waitcnt vmcnt(0)
	v_xor_b32_e32 v2, 1, v2
	global_store_dword v1, v2, s[6:7]
.LBB26_73:
	v_mov_b32_e32 v1, 0
	ds_read_b64 v[2:3], v1
	s_mov_b64 s[10:11], exec
	v_mbcnt_lo_u32_b32 v8, s10, 0
	s_add_u32 s6, s34, s46
	v_mbcnt_hi_u32_b32 v8, s11, v8
	s_addc_u32 s7, s35, s47
	v_cmp_eq_u32_e32 vcc, 0, v8
	s_and_saveexec_b64 s[8:9], vcc
	s_cbranch_execz .LBB26_76
; %bb.74:
	global_load_dword v9, v1, s[6:7]
	s_bcnt1_i32_b64 s10, s[10:11]
	v_cvt_f32_ubyte0_e32 v8, s10
	s_waitcnt lgkmcnt(0)
	v_mul_f32_e32 v2, v2, v8
	s_mov_b64 s[10:11], 0
.LBB26_75:                              ; =>This Inner Loop Header: Depth=1
	s_waitcnt vmcnt(0)
	v_add_f32_e32 v8, v9, v2
	global_atomic_cmpswap v8, v1, v[8:9], s[6:7] glc
	s_waitcnt vmcnt(0)
	v_cmp_eq_u32_e32 vcc, v8, v9
	s_or_b64 s[10:11], vcc, s[10:11]
	v_mov_b32_e32 v9, v8
	s_andn2_b64 exec, exec, s[10:11]
	s_cbranch_execnz .LBB26_75
.LBB26_76:
	s_or_b64 exec, exec, s[8:9]
	s_mov_b64 s[8:9], exec
	v_mbcnt_lo_u32_b32 v1, s8, 0
	v_mbcnt_hi_u32_b32 v1, s9, v1
	v_cmp_eq_u32_e32 vcc, 0, v1
	s_and_b64 s[10:11], exec, vcc
	s_mov_b64 exec, s[10:11]
	s_cbranch_execz .LBB26_79
; %bb.77:
	v_mov_b32_e32 v1, 0
	global_load_dword v9, v1, s[6:7] offset:4
	s_bcnt1_i32_b64 s8, s[8:9]
	s_waitcnt lgkmcnt(0)
	v_cvt_f32_ubyte0_e32 v2, s8
	v_mul_f32_e32 v2, v3, v2
	s_mov_b64 s[8:9], 0
.LBB26_78:                              ; =>This Inner Loop Header: Depth=1
	s_waitcnt vmcnt(0)
	v_add_f32_e32 v8, v9, v2
	global_atomic_cmpswap v3, v1, v[8:9], s[6:7] offset:4 glc
	s_waitcnt vmcnt(0)
	v_cmp_eq_u32_e32 vcc, v3, v9
	s_or_b64 s[8:9], vcc, s[8:9]
	v_mov_b32_e32 v9, v3
	s_andn2_b64 exec, exec, s[8:9]
	s_cbranch_execnz .LBB26_78
.LBB26_79:
	s_or_b64 exec, exec, s[2:3]
.LBB26_80:
	s_mov_b64 s[2:3], 0
.LBB26_81:
	s_andn2_b64 vcc, exec, s[2:3]
	s_cbranch_vccnz .LBB26_132
; %bb.82:
	s_load_dwordx2 s[2:3], s[4:5], 0x8
	v_subrev_co_u32_e32 v1, vcc, s44, v0
	s_waitcnt lgkmcnt(0)
	v_subb_co_u32_e64 v2, s[4:5], 0, 0, vcc
	v_mov_b32_e32 v3, s43
	v_add_co_u32_e32 v8, vcc, s42, v1
	v_addc_co_u32_e32 v9, vcc, v3, v2, vcc
	v_add_co_u32_e32 v2, vcc, 0x300, v8
	v_addc_co_u32_e32 v3, vcc, 0, v9, vcc
	s_mov_b32 s22, 0
	v_cmp_le_i64_e32 vcc, s[2:3], v[2:3]
	s_and_saveexec_b64 s[2:3], vcc
	s_xor_b64 s[8:9], exec, s[2:3]
	s_cbranch_execz .LBB26_94
; %bb.83:
	s_lshl_b64 s[2:3], s[38:39], 3
	s_add_u32 s2, s24, s2
	s_addc_u32 s3, s25, s3
	s_load_dwordx2 s[2:3], s[2:3], 0x0
	s_waitcnt lgkmcnt(0)
	s_sub_u32 s10, s2, s44
	s_subb_u32 s11, s3, 0
	v_cmp_gt_i64_e32 vcc, s[10:11], v[8:9]
	s_and_saveexec_b64 s[12:13], vcc
	s_cbranch_execz .LBB26_93
; %bb.84:
	v_mov_b32_e32 v1, s43
	v_add_co_u32_e32 v2, vcc, s42, v0
	v_addc_co_u32_e32 v1, vcc, 0, v1, vcc
	v_mov_b32_e32 v3, s22
	v_subrev_co_u32_e32 v2, vcc, s44, v2
	v_subb_co_u32_e32 v1, vcc, v1, v3, vcc
	v_add_co_u32_e32 v2, vcc, 0x100, v2
	v_addc_co_u32_e32 v3, vcc, 0, v1, vcc
	v_mov_b32_e32 v1, s11
	v_cmp_lt_i64_e32 vcc, s[10:11], v[2:3]
	s_not_b64 s[2:3], s[42:43]
	v_cndmask_b32_e32 v1, v1, v3, vcc
	v_mov_b32_e32 v3, s10
	s_add_u32 s2, s2, s44
	v_cndmask_b32_e32 v2, v3, v2, vcc
	s_addc_u32 s3, s3, 0
	v_mov_b32_e32 v3, s3
	v_add_co_u32_e32 v2, vcc, s2, v2
	v_addc_co_u32_e32 v1, vcc, v3, v1, vcc
	v_sub_co_u32_e32 v2, vcc, v2, v0
	v_subbrev_co_u32_e32 v3, vcc, 0, v1, vcc
	s_mov_b64 s[2:3], 0x1300
	v_cmp_gt_u64_e32 vcc, s[2:3], v[2:3]
	s_mov_b64 s[2:3], 0x12ff
	v_cmp_lt_u64_e64 s[2:3], s[2:3], v[2:3]
	v_pk_mov_b32 v[14:15], 0, 0
	s_and_saveexec_b64 s[14:15], s[2:3]
	s_cbranch_execz .LBB26_90
; %bb.85:
	v_lshlrev_b32_e32 v1, 3, v0
	v_alignbit_b32 v10, v3, v2, 8
	s_mov_b32 s2, 0x1fffff
	s_mov_b32 s6, -1
	v_cmp_lt_u32_e64 s[2:3], s2, v10
	v_lshl_or_b32 v10, v10, 11, v1
	s_movk_i32 s7, 0xff
	v_cmp_lt_u32_e64 s[4:5], v10, v1
	v_or_b32_e32 v1, 4, v1
	v_or_b32_e32 v10, 4, v10
	v_cmp_lt_u64_e64 s[6:7], s[6:7], v[2:3]
	s_or_b64 s[16:17], s[4:5], s[2:3]
	v_cmp_lt_u32_e64 s[4:5], v10, v1
	s_or_b64 s[2:3], s[2:3], s[6:7]
	s_or_b64 s[2:3], s[2:3], s[4:5]
	;; [unrolled: 1-line block ×3, first 2 shown]
	s_mov_b64 s[2:3], -1
	s_xor_b64 s[4:5], s[4:5], -1
	v_pk_mov_b32 v[14:15], 0, 0
	s_and_saveexec_b64 s[6:7], s[4:5]
	s_cbranch_execz .LBB26_89
; %bb.86:
	v_lshrrev_b64 v[2:3], 8, v[2:3]
	v_add_co_u32_e64 v10, s[2:3], 1, v2
	v_addc_co_u32_e64 v11, s[2:3], 0, v3, s[2:3]
	v_and_b32_e32 v12, -2, v10
	v_mov_b32_e32 v13, v11
	v_xor_b32_e32 v14, 0x80000000, v5
	v_mov_b32_e32 v2, v8
	v_mov_b32_e32 v3, v9
	;; [unrolled: 1-line block ×7, first 2 shown]
	s_mov_b32 s23, s44
	s_mov_b32 s45, s44
	v_mov_b32_e32 v1, v0
	s_mov_b64 s[18:19], 0x100
	s_mov_b64 s[16:17], 0
	v_mov_b32_e32 v22, s29
	v_mov_b32_e32 v23, s27
	;; [unrolled: 1-line block ×3, first 2 shown]
	v_pk_mov_b32 v[20:21], v[12:13], v[12:13] op_sel:[0,1]
	s_mov_b64 s[20:21], 0
.LBB26_87:                              ; =>This Inner Loop Header: Depth=1
	v_mov_b32_e32 v27, s21
	v_add_co_u32_e64 v26, s[2:3], s20, v8
	v_addc_co_u32_e64 v27, s[2:3], v27, v9, s[2:3]
	v_mov_b32_e32 v25, s19
	v_add_co_u32_e64 v28, s[4:5], s18, v2
	v_lshlrev_b64 v[30:31], 2, v[26:27]
	v_addc_co_u32_e64 v29, s[4:5], v25, v3, s[4:5]
	v_add_co_u32_e64 v30, s[2:3], s26, v30
	v_lshlrev_b64 v[32:33], 2, v[28:29]
	v_addc_co_u32_e64 v31, s[2:3], v23, v31, s[2:3]
	v_add_co_u32_e64 v32, s[2:3], s26, v32
	v_addc_co_u32_e64 v33, s[2:3], v23, v33, s[2:3]
	global_load_dword v25, v[30:31], off
	global_load_dword v34, v[32:33], off
	v_lshlrev_b64 v[26:27], 3, v[26:27]
	v_add_co_u32_e64 v26, s[2:3], s28, v26
	v_lshlrev_b64 v[28:29], 3, v[28:29]
	v_addc_co_u32_e64 v27, s[2:3], v22, v27, s[2:3]
	v_add_co_u32_e64 v28, s[2:3], s28, v28
	v_addc_co_u32_e64 v29, s[2:3], v22, v29, s[2:3]
	global_load_dwordx2 v[30:31], v[26:27], off
	global_load_dwordx2 v[32:33], v[28:29], off
	v_add_lshl_u32 v38, v1, s18, 3
	s_waitcnt vmcnt(3)
	v_subrev_u32_e32 v26, s23, v25
	v_ashrrev_i32_e32 v27, 31, v26
	s_waitcnt vmcnt(2)
	v_subrev_u32_e32 v28, s45, v34
	v_lshlrev_b64 v[26:27], 3, v[26:27]
	v_ashrrev_i32_e32 v29, 31, v28
	v_add_co_u32_e64 v26, s[2:3], s30, v26
	v_lshlrev_b64 v[28:29], 3, v[28:29]
	v_addc_co_u32_e64 v27, s[2:3], v24, v27, s[2:3]
	v_add_co_u32_e64 v28, s[2:3], s30, v28
	v_addc_co_u32_e64 v29, s[2:3], v24, v29, s[2:3]
	global_load_dwordx2 v[34:35], v[26:27], off
	global_load_dwordx2 v[36:37], v[28:29], off
	s_waitcnt vmcnt(2)
	v_mov_b32_e32 v27, v32
	v_mov_b32_e32 v32, v31
	v_pk_add_f32 v[28:29], v[32:33], 0 neg_lo:[1,1] neg_hi:[1,1]
	v_cndmask_b32_e64 v29, v33, v29, s[0:1]
	v_cndmask_b32_e64 v28, v31, v28, s[0:1]
	v_add_lshl_u32 v25, v0, s20, 3
	s_add_u32 s20, s20, 0x200
	v_mov_b32_e32 v26, v30
	v_pk_mul_f32 v[30:31], v[28:29], v[14:15]
	v_pk_mul_f32 v[28:29], v[28:29], v[16:17]
	v_add_co_u32_e64 v20, s[2:3], -2, v20
	s_addc_u32 s21, s21, 0
	v_pk_fma_f32 v[30:31], v[16:17], v[26:27], v[30:31]
	v_pk_fma_f32 v[26:27], v[18:19], v[26:27], v[28:29]
	v_addc_co_u32_e64 v21, s[2:3], -1, v21, s[2:3]
	s_add_u32 s18, s18, 0x200
	v_cmp_eq_u64_e64 s[2:3], 0, v[20:21]
	s_addc_u32 s19, s19, 0
	s_or_b64 s[16:17], s[2:3], s[16:17]
	s_waitcnt vmcnt(1)
	v_mov_b32_e32 v28, v34
	s_waitcnt vmcnt(0)
	v_mov_b32_e32 v29, v36
	v_mov_b32_e32 v36, v35
	v_pk_mul_f32 v[32:33], v[36:37], v[26:27] neg_lo:[0,1] neg_hi:[0,1]
	v_pk_mul_f32 v[34:35], v[36:37], v[30:31]
	v_pk_fma_f32 v[30:31], v[30:31], v[28:29], v[32:33]
	v_pk_fma_f32 v[26:27], v[26:27], v[28:29], v[34:35]
	v_mov_b32_e32 v28, v30
	v_mov_b32_e32 v29, v26
	;; [unrolled: 1-line block ×3, first 2 shown]
	ds_write_b64 v25, v[28:29]
	ds_write_b64 v38, v[26:27]
	s_andn2_b64 exec, exec, s[16:17]
	s_cbranch_execnz .LBB26_87
; %bb.88:
	s_or_b64 exec, exec, s[16:17]
	v_cmp_ne_u64_e64 s[2:3], v[10:11], v[12:13]
	v_lshlrev_b64 v[14:15], 8, v[12:13]
	s_orn2_b64 s[2:3], s[2:3], exec
.LBB26_89:
	s_or_b64 exec, exec, s[6:7]
	s_andn2_b64 s[4:5], vcc, exec
	s_and_b64 s[2:3], s[2:3], exec
	s_or_b64 vcc, s[4:5], s[2:3]
.LBB26_90:
	s_or_b64 exec, exec, s[14:15]
	s_and_b64 exec, exec, vcc
	s_cbranch_execz .LBB26_93
; %bb.91:
	v_mov_b32_e32 v1, s43
	v_add_co_u32_e32 v8, vcc, s42, v14
	v_addc_co_u32_e32 v1, vcc, v15, v1, vcc
	v_add_co_u32_e32 v8, vcc, v8, v0
	v_addc_co_u32_e32 v1, vcc, 0, v1, vcc
	v_mov_b32_e32 v9, s22
	v_subrev_co_u32_e32 v8, vcc, s44, v8
	v_subb_co_u32_e32 v9, vcc, v1, v9, vcc
	v_lshlrev_b64 v[10:11], 3, v[8:9]
	v_mov_b32_e32 v12, s29
	v_add_co_u32_e32 v10, vcc, s28, v10
	v_addc_co_u32_e32 v11, vcc, v11, v12, vcc
	v_add_co_u32_e32 v10, vcc, 4, v10
	v_addc_co_u32_e32 v11, vcc, 0, v11, vcc
	v_lshlrev_b64 v[12:13], 2, v[8:9]
	v_add_lshl_u32 v1, v0, v14, 3
	v_mov_b32_e32 v14, s27
	v_add_co_u32_e32 v12, vcc, s26, v12
	v_xor_b32_e32 v2, 0x80000000, v5
	v_mov_b32_e32 v3, v4
	v_addc_co_u32_e32 v13, vcc, v14, v13, vcc
	s_mov_b64 s[4:5], 0
	v_mov_b32_e32 v14, s31
	s_movk_i32 s6, 0x100
.LBB26_92:                              ; =>This Inner Loop Header: Depth=1
	global_load_dword v15, v[12:13], off
	global_load_dwordx2 v[16:17], v[10:11], off offset:-4
	s_waitcnt vmcnt(1)
	v_subrev_u32_e32 v18, s44, v15
	v_ashrrev_i32_e32 v19, 31, v18
	v_lshlrev_b64 v[18:19], 3, v[18:19]
	v_add_co_u32_e32 v18, vcc, s30, v18
	v_addc_co_u32_e32 v19, vcc, v14, v19, vcc
	global_load_dwordx2 v[18:19], v[18:19], off
	v_add_co_u32_e32 v8, vcc, s6, v8
	s_waitcnt vmcnt(1)
	v_cndmask_b32_e64 v20, v17, -v17, s[0:1]
	v_addc_co_u32_e32 v9, vcc, 0, v9, vcc
	v_pk_mul_f32 v[20:21], v[20:21], v[2:3] op_sel_hi:[0,1]
	v_add_co_u32_e32 v10, vcc, 0x800, v10
	v_pk_fma_f32 v[16:17], v[4:5], v[16:17], v[20:21] op_sel_hi:[1,0,1]
	v_addc_co_u32_e32 v11, vcc, 0, v11, vcc
	v_add_co_u32_e32 v12, vcc, 0x400, v12
	v_cmp_le_i64_e64 s[2:3], s[10:11], v[8:9]
	v_addc_co_u32_e32 v13, vcc, 0, v13, vcc
	s_or_b64 s[4:5], s[2:3], s[4:5]
	s_waitcnt vmcnt(0)
	v_pk_mul_f32 v[20:21], v[18:19], v[16:17] op_sel:[1,1] op_sel_hi:[1,0] neg_lo:[0,1]
	v_pk_fma_f32 v[16:17], v[16:17], v[18:19], v[20:21] op_sel_hi:[1,0,1]
	ds_write_b64 v1, v[16:17]
	v_add_u32_e32 v1, 0x800, v1
	s_andn2_b64 exec, exec, s[4:5]
	s_cbranch_execnz .LBB26_92
.LBB26_93:
	s_or_b64 exec, exec, s[12:13]
                                        ; implicit-def: $vgpr5
                                        ; implicit-def: $vgpr8_vgpr9
.LBB26_94:
	s_or_saveexec_b64 s[2:3], s[8:9]
	v_lshlrev_b32_e32 v14, 3, v0
	s_xor_b64 exec, exec, s[2:3]
	s_cbranch_execz .LBB26_96
; %bb.95:
	v_lshlrev_b64 v[2:3], 2, v[8:9]
	v_mov_b32_e32 v1, s27
	v_add_co_u32_e32 v2, vcc, s26, v2
	v_addc_co_u32_e32 v3, vcc, v1, v3, vcc
	global_load_dword v1, v[2:3], off
	global_load_dword v15, v[2:3], off offset:1024
	global_load_dword v19, v[2:3], off offset:2048
	;; [unrolled: 1-line block ×3, first 2 shown]
	v_lshlrev_b64 v[2:3], 3, v[8:9]
	v_mov_b32_e32 v8, s29
	v_add_co_u32_e32 v2, vcc, s28, v2
	s_movk_i32 s4, 0x1000
	v_addc_co_u32_e32 v3, vcc, v8, v3, vcc
	global_load_dwordx2 v[8:9], v[2:3], off
	global_load_dwordx2 v[10:11], v[2:3], off offset:2048
	v_add_co_u32_e32 v2, vcc, s4, v2
	v_addc_co_u32_e32 v3, vcc, 0, v3, vcc
	global_load_dwordx2 v[12:13], v[2:3], off
	global_load_dwordx2 v[16:17], v[2:3], off offset:2048
	v_mov_b32_e32 v24, s31
	s_waitcnt vmcnt(7)
	v_subrev_u32_e32 v2, s44, v1
	v_ashrrev_i32_e32 v3, 31, v2
	s_waitcnt vmcnt(6)
	v_subrev_u32_e32 v18, s44, v15
	v_lshlrev_b64 v[2:3], 3, v[2:3]
	s_waitcnt vmcnt(5)
	v_subrev_u32_e32 v20, s44, v19
	v_ashrrev_i32_e32 v19, 31, v18
	v_add_co_u32_e32 v2, vcc, s30, v2
	v_lshlrev_b64 v[18:19], 3, v[18:19]
	v_addc_co_u32_e32 v3, vcc, v24, v3, vcc
	s_waitcnt vmcnt(4)
	v_subrev_u32_e32 v22, s44, v21
	v_ashrrev_i32_e32 v21, 31, v20
	v_add_co_u32_e32 v18, vcc, s30, v18
	v_lshlrev_b64 v[20:21], 3, v[20:21]
	v_addc_co_u32_e32 v19, vcc, v24, v19, vcc
	v_ashrrev_i32_e32 v23, 31, v22
	v_add_co_u32_e32 v20, vcc, s30, v20
	v_lshlrev_b64 v[22:23], 3, v[22:23]
	v_addc_co_u32_e32 v21, vcc, v24, v21, vcc
	v_add_co_u32_e32 v22, vcc, s30, v22
	v_addc_co_u32_e32 v23, vcc, v24, v23, vcc
	global_load_dwordx2 v[24:25], v[2:3], off
	global_load_dwordx2 v[26:27], v[18:19], off
	;; [unrolled: 1-line block ×4, first 2 shown]
	v_xor_b32_e32 v2, 0x80000000, v5
	v_mov_b32_e32 v3, v4
	s_waitcnt vmcnt(7)
	v_cndmask_b32_e64 v18, v9, -v9, s[0:1]
	s_waitcnt vmcnt(6)
	v_cndmask_b32_e64 v20, v11, -v11, s[0:1]
	v_pk_mul_f32 v[18:19], v[18:19], v[2:3] op_sel_hi:[0,1]
	v_pk_mul_f32 v[20:21], v[20:21], v[2:3] op_sel_hi:[0,1]
	s_waitcnt vmcnt(5)
	v_cndmask_b32_e64 v22, v13, -v13, s[0:1]
	s_waitcnt vmcnt(4)
	v_cndmask_b32_e64 v32, v17, -v17, s[0:1]
	v_pk_fma_f32 v[8:9], v[4:5], v[8:9], v[18:19] op_sel_hi:[1,0,1]
	v_pk_fma_f32 v[10:11], v[4:5], v[10:11], v[20:21] op_sel_hi:[1,0,1]
	v_pk_mul_f32 v[18:19], v[22:23], v[2:3] op_sel_hi:[0,1]
	v_pk_mul_f32 v[2:3], v[32:33], v[2:3] op_sel_hi:[0,1]
	v_pk_fma_f32 v[12:13], v[4:5], v[12:13], v[18:19] op_sel_hi:[1,0,1]
	v_pk_fma_f32 v[2:3], v[4:5], v[16:17], v[2:3] op_sel_hi:[1,0,1]
	s_waitcnt vmcnt(3)
	v_pk_mul_f32 v[4:5], v[24:25], v[8:9] op_sel:[1,1] op_sel_hi:[1,0] neg_lo:[0,1]
	s_waitcnt vmcnt(2)
	v_pk_mul_f32 v[16:17], v[26:27], v[10:11] op_sel:[1,1] op_sel_hi:[1,0] neg_lo:[0,1]
	;; [unrolled: 2-line block ×4, first 2 shown]
	v_pk_fma_f32 v[4:5], v[8:9], v[24:25], v[4:5] op_sel_hi:[1,0,1]
	v_pk_fma_f32 v[8:9], v[10:11], v[26:27], v[16:17] op_sel_hi:[1,0,1]
	v_pk_fma_f32 v[10:11], v[12:13], v[28:29], v[18:19] op_sel_hi:[1,0,1]
	v_pk_fma_f32 v[2:3], v[2:3], v[30:31], v[20:21] op_sel_hi:[1,0,1]
	ds_write2st64_b64 v14, v[4:5], v[8:9] offset1:4
	ds_write2st64_b64 v14, v[10:11], v[2:3] offset0:8 offset1:12
.LBB26_96:
	s_or_b64 exec, exec, s[2:3]
	s_cmp_lt_i32 s33, 2
	s_mov_b64 s[0:1], -1
	s_waitcnt lgkmcnt(0)
	s_barrier
	s_cbranch_scc0 .LBB26_107
; %bb.97:
	v_mov_b32_e32 v1, s37
	v_add_co_u32_e32 v8, vcc, s36, v0
	v_addc_co_u32_e32 v9, vcc, 0, v1, vcc
	v_cmp_gt_i64_e32 vcc, s[38:39], v[8:9]
	s_and_saveexec_b64 s[2:3], vcc
	s_cbranch_execz .LBB26_106
; %bb.98:
	v_and_b32_e32 v1, 0x7fffffff, v6
	v_cmp_ne_u32_e32 vcc, 0, v1
	v_cmp_neq_f32_e64 s[0:1], 0, v7
	s_lshl_b32 s5, s42, 3
	s_mov_b32 s4, 0
	s_or_b64 s[0:1], vcc, s[0:1]
	v_xor_b32_e32 v10, 0x80000000, v7
	v_mov_b32_e32 v11, v6
	s_sub_i32 s12, 0, s5
	s_mov_b64 s[6:7], 0
	v_mov_b32_e32 v1, s25
	v_mov_b32_e32 v15, s35
	s_branch .LBB26_100
.LBB26_99:                              ;   in Loop: Header=BB26_100 Depth=1
	s_or_b64 exec, exec, s[8:9]
	v_add_co_u32_e32 v2, vcc, s34, v12
	v_addc_co_u32_e32 v3, vcc, v15, v13, vcc
	v_add_co_u32_e32 v8, vcc, 0x100, v8
	v_addc_co_u32_e32 v9, vcc, 0, v9, vcc
	v_cmp_le_i64_e32 vcc, s[38:39], v[8:9]
	s_or_b64 s[6:7], vcc, s[6:7]
	global_store_dwordx2 v[2:3], v[4:5], off
	s_andn2_b64 exec, exec, s[6:7]
	s_cbranch_execz .LBB26_106
.LBB26_100:                             ; =>This Loop Header: Depth=1
                                        ;     Child Loop BB26_102 Depth 2
	v_lshlrev_b64 v[12:13], 3, v[8:9]
	v_add_co_u32_e32 v2, vcc, s24, v12
	v_addc_co_u32_e32 v3, vcc, v1, v13, vcc
	global_load_dwordx4 v[2:5], v[2:3], off
	s_mov_b32 s5, s4
	s_waitcnt vmcnt(0)
	v_subrev_u32_e32 v3, s42, v2
	v_subrev_u32_e32 v16, s42, v4
	v_cmp_lt_i32_e32 vcc, v3, v16
	v_pk_mov_b32 v[4:5], s[4:5], s[4:5] op_sel:[0,1]
	s_and_saveexec_b64 s[8:9], vcc
	s_cbranch_execz .LBB26_104
; %bb.101:                              ;   in Loop: Header=BB26_100 Depth=1
	v_mov_b32_e32 v4, 0
	v_lshl_add_u32 v2, v2, 3, s12
	s_mov_b64 s[10:11], 0
	v_mov_b32_e32 v5, v4
.LBB26_102:                             ;   Parent Loop BB26_100 Depth=1
                                        ; =>  This Inner Loop Header: Depth=2
	ds_read_b64 v[18:19], v2
	v_add_u32_e32 v3, 1, v3
	v_cmp_ge_i32_e32 vcc, v3, v16
	v_add_u32_e32 v2, 8, v2
	s_or_b64 s[10:11], vcc, s[10:11]
	s_waitcnt lgkmcnt(0)
	v_pk_add_f32 v[4:5], v[4:5], v[18:19]
	s_andn2_b64 exec, exec, s[10:11]
	s_cbranch_execnz .LBB26_102
; %bb.103:                              ;   in Loop: Header=BB26_100 Depth=1
	s_or_b64 exec, exec, s[10:11]
.LBB26_104:                             ;   in Loop: Header=BB26_100 Depth=1
	s_or_b64 exec, exec, s[8:9]
	s_and_saveexec_b64 s[8:9], s[0:1]
	s_cbranch_execz .LBB26_99
; %bb.105:                              ;   in Loop: Header=BB26_100 Depth=1
	v_mov_b32_e32 v3, s35
	v_add_co_u32_e32 v2, vcc, s34, v12
	v_addc_co_u32_e32 v3, vcc, v3, v13, vcc
	global_load_dwordx2 v[2:3], v[2:3], off
	s_waitcnt vmcnt(0)
	v_pk_fma_f32 v[4:5], v[6:7], v[2:3], v[4:5] op_sel_hi:[1,0,1]
	v_pk_fma_f32 v[4:5], v[10:11], v[2:3], v[4:5] op_sel:[0,1,0]
	s_branch .LBB26_99
.LBB26_106:
	s_or_b64 exec, exec, s[2:3]
	s_mov_b64 s[0:1], 0
.LBB26_107:
	s_andn2_b64 vcc, exec, s[0:1]
	s_cbranch_vccnz .LBB26_132
; %bb.108:
	s_flbit_i32_b32 s0, s33
	s_xor_b32 s0, s0, 31
	v_lshrrev_b32_e32 v4, s0, v0
	v_mov_b32_e32 v1, s37
	v_add_co_u32_e32 v2, vcc, s36, v4
	s_mov_b32 s4, 0
	v_addc_co_u32_e32 v3, vcc, 0, v1, vcc
	s_add_i32 s0, s33, -1
	s_mov_b32 s5, s4
	v_and_b32_e32 v5, s0, v0
	v_cmp_le_i64_e32 vcc, s[38:39], v[2:3]
	v_cmp_gt_i64_e64 s[0:1], s[38:39], v[2:3]
	v_pk_mov_b32 v[0:1], s[4:5], s[4:5] op_sel:[0,1]
	s_and_saveexec_b64 s[2:3], s[0:1]
	s_cbranch_execz .LBB26_114
; %bb.109:
	v_lshlrev_b32_e32 v0, 3, v4
	global_load_dword v1, v0, s[40:41] offset:8
	global_load_dword v8, v0, s[40:41]
	s_waitcnt vmcnt(1)
	v_subrev_u32_e32 v4, s42, v1
	s_waitcnt vmcnt(0)
	v_subrev_u32_e32 v0, s42, v8
	v_add_u32_e32 v8, v5, v0
	v_cmp_lt_i32_e64 s[0:1], v8, v4
	v_pk_mov_b32 v[0:1], s[4:5], s[4:5] op_sel:[0,1]
	s_and_saveexec_b64 s[4:5], s[0:1]
	s_cbranch_execz .LBB26_113
; %bb.110:
	v_mov_b32_e32 v0, 0
	v_lshlrev_b32_e32 v9, 3, v8
	s_lshl_b32 s8, s33, 3
	s_mov_b64 s[6:7], 0
	v_mov_b32_e32 v1, v0
.LBB26_111:                             ; =>This Inner Loop Header: Depth=1
	ds_read_b64 v[10:11], v9
	v_add_u32_e32 v8, s33, v8
	v_cmp_ge_i32_e64 s[0:1], v8, v4
	v_add_u32_e32 v9, s8, v9
	s_or_b64 s[6:7], s[0:1], s[6:7]
	s_waitcnt lgkmcnt(0)
	v_pk_add_f32 v[0:1], v[0:1], v[10:11]
	s_andn2_b64 exec, exec, s[6:7]
	s_cbranch_execnz .LBB26_111
; %bb.112:
	s_or_b64 exec, exec, s[6:7]
.LBB26_113:
	s_or_b64 exec, exec, s[4:5]
.LBB26_114:
	s_or_b64 exec, exec, s[2:3]
	s_cmpk_lt_i32 s33, 0x81
	s_barrier
	ds_write_b64 v14, v[0:1]
	s_waitcnt lgkmcnt(0)
	s_barrier
	s_cbranch_scc1 .LBB26_116
; %bb.115:
	ds_read_b64 v[8:9], v14 offset:1024
	s_waitcnt lgkmcnt(0)
	s_barrier
	v_pk_add_f32 v[0:1], v[0:1], v[8:9]
	ds_write_b64 v14, v[0:1]
.LBB26_116:
	s_cmpk_lt_i32 s33, 0x41
	s_waitcnt lgkmcnt(0)
	s_barrier
	s_cbranch_scc1 .LBB26_118
; %bb.117:
	ds_read_b64 v[8:9], v14 offset:512
	s_waitcnt lgkmcnt(0)
	s_barrier
	v_pk_add_f32 v[0:1], v[0:1], v[8:9]
	ds_write_b64 v14, v[0:1]
.LBB26_118:
	s_cmp_lt_i32 s33, 33
	s_waitcnt lgkmcnt(0)
	s_barrier
	s_cbranch_scc1 .LBB26_120
; %bb.119:
	ds_read_b64 v[8:9], v14 offset:256
	s_waitcnt lgkmcnt(0)
	s_barrier
	v_pk_add_f32 v[0:1], v[0:1], v[8:9]
	ds_write_b64 v14, v[0:1]
.LBB26_120:
	s_cmp_lt_i32 s33, 17
	s_waitcnt lgkmcnt(0)
	s_barrier
	s_cbranch_scc1 .LBB26_122
; %bb.121:
	ds_read_b64 v[8:9], v14 offset:128
	s_waitcnt lgkmcnt(0)
	s_barrier
	v_pk_add_f32 v[0:1], v[0:1], v[8:9]
	ds_write_b64 v14, v[0:1]
.LBB26_122:
	s_cmp_lt_i32 s33, 9
	s_waitcnt lgkmcnt(0)
	s_barrier
	s_cbranch_scc1 .LBB26_124
; %bb.123:
	ds_read_b64 v[8:9], v14 offset:64
	s_waitcnt lgkmcnt(0)
	s_barrier
	v_pk_add_f32 v[0:1], v[0:1], v[8:9]
	ds_write_b64 v14, v[0:1]
.LBB26_124:
	s_cmp_lt_i32 s33, 5
	s_waitcnt lgkmcnt(0)
	s_barrier
	s_cbranch_scc1 .LBB26_126
; %bb.125:
	ds_read_b64 v[8:9], v14 offset:32
	s_waitcnt lgkmcnt(0)
	s_barrier
	v_pk_add_f32 v[0:1], v[0:1], v[8:9]
	ds_write_b64 v14, v[0:1]
.LBB26_126:
	s_cmp_eq_u32 s33, 2
	s_waitcnt lgkmcnt(0)
	s_barrier
	s_cbranch_scc1 .LBB26_128
; %bb.127:
	ds_read_b64 v[8:9], v14 offset:16
	s_waitcnt lgkmcnt(0)
	s_barrier
	v_pk_add_f32 v[0:1], v[0:1], v[8:9]
	ds_write_b64 v14, v[0:1]
.LBB26_128:
	s_waitcnt lgkmcnt(0)
	s_barrier
	ds_read_b64 v[8:9], v14 offset:8
	v_cmp_eq_u32_e64 s[0:1], 0, v5
	s_xor_b64 s[2:3], vcc, -1
	s_and_b64 s[0:1], s[0:1], s[2:3]
	s_waitcnt lgkmcnt(0)
	v_pk_add_f32 v[0:1], v[0:1], v[8:9]
	s_barrier
	ds_write_b64 v14, v[0:1]
	s_and_b64 exec, exec, s[0:1]
	s_cbranch_execz .LBB26_132
; %bb.129:
	v_and_b32_e32 v4, 0x7fffffff, v6
	v_cmp_ne_u32_e32 vcc, 0, v4
	v_cmp_neq_f32_e64 s[0:1], 0, v7
	s_or_b64 s[2:3], vcc, s[0:1]
	v_lshlrev_b64 v[2:3], 3, v[2:3]
	s_and_saveexec_b64 s[0:1], s[2:3]
	s_cbranch_execz .LBB26_131
; %bb.130:
	v_mov_b32_e32 v5, s35
	v_add_co_u32_e32 v4, vcc, s34, v2
	v_addc_co_u32_e32 v5, vcc, v5, v3, vcc
	global_load_dwordx2 v[4:5], v[4:5], off
	v_xor_b32_e32 v8, 0x80000000, v7
	v_mov_b32_e32 v9, v6
	s_waitcnt vmcnt(0)
	v_pk_fma_f32 v[0:1], v[6:7], v[4:5], v[0:1] op_sel_hi:[1,0,1]
	v_pk_fma_f32 v[0:1], v[8:9], v[4:5], v[0:1] op_sel:[0,1,0]
.LBB26_131:
	s_or_b64 exec, exec, s[0:1]
	v_mov_b32_e32 v4, s35
	v_add_co_u32_e32 v2, vcc, s34, v2
	v_addc_co_u32_e32 v3, vcc, v4, v3, vcc
	global_store_dwordx2 v[2:3], v[0:1], off
.LBB26_132:
	s_endpgm
	.section	.rodata,"a",@progbits
	.p2align	6, 0x0
	.amdhsa_kernel _ZN9rocsparseL22csrmvn_adaptive_kernelIli21rocsparse_complex_numIfES2_S2_S2_EEvbT_PKS3_PjPKT0_NS_24const_host_device_scalarIT4_EES5_S9_PKT1_PKT2_SC_PT3_21rocsparse_index_base_b
		.amdhsa_group_segment_fixed_size 8192
		.amdhsa_private_segment_fixed_size 0
		.amdhsa_kernarg_size 104
		.amdhsa_user_sgpr_count 6
		.amdhsa_user_sgpr_private_segment_buffer 1
		.amdhsa_user_sgpr_dispatch_ptr 0
		.amdhsa_user_sgpr_queue_ptr 0
		.amdhsa_user_sgpr_kernarg_segment_ptr 1
		.amdhsa_user_sgpr_dispatch_id 0
		.amdhsa_user_sgpr_flat_scratch_init 0
		.amdhsa_user_sgpr_kernarg_preload_length 0
		.amdhsa_user_sgpr_kernarg_preload_offset 0
		.amdhsa_user_sgpr_private_segment_size 0
		.amdhsa_uses_dynamic_stack 0
		.amdhsa_system_sgpr_private_segment_wavefront_offset 0
		.amdhsa_system_sgpr_workgroup_id_x 1
		.amdhsa_system_sgpr_workgroup_id_y 0
		.amdhsa_system_sgpr_workgroup_id_z 0
		.amdhsa_system_sgpr_workgroup_info 0
		.amdhsa_system_vgpr_workitem_id 0
		.amdhsa_next_free_vgpr 39
		.amdhsa_next_free_sgpr 67
		.amdhsa_accum_offset 40
		.amdhsa_reserve_vcc 1
		.amdhsa_reserve_flat_scratch 0
		.amdhsa_float_round_mode_32 0
		.amdhsa_float_round_mode_16_64 0
		.amdhsa_float_denorm_mode_32 3
		.amdhsa_float_denorm_mode_16_64 3
		.amdhsa_dx10_clamp 1
		.amdhsa_ieee_mode 1
		.amdhsa_fp16_overflow 0
		.amdhsa_tg_split 0
		.amdhsa_exception_fp_ieee_invalid_op 0
		.amdhsa_exception_fp_denorm_src 0
		.amdhsa_exception_fp_ieee_div_zero 0
		.amdhsa_exception_fp_ieee_overflow 0
		.amdhsa_exception_fp_ieee_underflow 0
		.amdhsa_exception_fp_ieee_inexact 0
		.amdhsa_exception_int_div_zero 0
	.end_amdhsa_kernel
	.section	.text._ZN9rocsparseL22csrmvn_adaptive_kernelIli21rocsparse_complex_numIfES2_S2_S2_EEvbT_PKS3_PjPKT0_NS_24const_host_device_scalarIT4_EES5_S9_PKT1_PKT2_SC_PT3_21rocsparse_index_base_b,"axG",@progbits,_ZN9rocsparseL22csrmvn_adaptive_kernelIli21rocsparse_complex_numIfES2_S2_S2_EEvbT_PKS3_PjPKT0_NS_24const_host_device_scalarIT4_EES5_S9_PKT1_PKT2_SC_PT3_21rocsparse_index_base_b,comdat
.Lfunc_end26:
	.size	_ZN9rocsparseL22csrmvn_adaptive_kernelIli21rocsparse_complex_numIfES2_S2_S2_EEvbT_PKS3_PjPKT0_NS_24const_host_device_scalarIT4_EES5_S9_PKT1_PKT2_SC_PT3_21rocsparse_index_base_b, .Lfunc_end26-_ZN9rocsparseL22csrmvn_adaptive_kernelIli21rocsparse_complex_numIfES2_S2_S2_EEvbT_PKS3_PjPKT0_NS_24const_host_device_scalarIT4_EES5_S9_PKT1_PKT2_SC_PT3_21rocsparse_index_base_b
                                        ; -- End function
	.section	.AMDGPU.csdata,"",@progbits
; Kernel info:
; codeLenInByte = 5704
; NumSgprs: 71
; NumVgprs: 39
; NumAgprs: 0
; TotalNumVgprs: 39
; ScratchSize: 0
; MemoryBound: 0
; FloatMode: 240
; IeeeMode: 1
; LDSByteSize: 8192 bytes/workgroup (compile time only)
; SGPRBlocks: 8
; VGPRBlocks: 4
; NumSGPRsForWavesPerEU: 71
; NumVGPRsForWavesPerEU: 39
; AccumOffset: 40
; Occupancy: 8
; WaveLimiterHint : 1
; COMPUTE_PGM_RSRC2:SCRATCH_EN: 0
; COMPUTE_PGM_RSRC2:USER_SGPR: 6
; COMPUTE_PGM_RSRC2:TRAP_HANDLER: 0
; COMPUTE_PGM_RSRC2:TGID_X_EN: 1
; COMPUTE_PGM_RSRC2:TGID_Y_EN: 0
; COMPUTE_PGM_RSRC2:TGID_Z_EN: 0
; COMPUTE_PGM_RSRC2:TIDIG_COMP_CNT: 0
; COMPUTE_PGM_RSRC3_GFX90A:ACCUM_OFFSET: 9
; COMPUTE_PGM_RSRC3_GFX90A:TG_SPLIT: 0
	.section	.text._ZN9rocsparseL27csrmvn_symm_adaptive_kernelIli21rocsparse_complex_numIfES2_S2_S2_EEvbT_S3_PKS3_NS_24const_host_device_scalarIT4_EES5_PKT0_PKT1_PKT2_S8_PT3_21rocsparse_index_base_b,"axG",@progbits,_ZN9rocsparseL27csrmvn_symm_adaptive_kernelIli21rocsparse_complex_numIfES2_S2_S2_EEvbT_S3_PKS3_NS_24const_host_device_scalarIT4_EES5_PKT0_PKT1_PKT2_S8_PT3_21rocsparse_index_base_b,comdat
	.globl	_ZN9rocsparseL27csrmvn_symm_adaptive_kernelIli21rocsparse_complex_numIfES2_S2_S2_EEvbT_S3_PKS3_NS_24const_host_device_scalarIT4_EES5_PKT0_PKT1_PKT2_S8_PT3_21rocsparse_index_base_b ; -- Begin function _ZN9rocsparseL27csrmvn_symm_adaptive_kernelIli21rocsparse_complex_numIfES2_S2_S2_EEvbT_S3_PKS3_NS_24const_host_device_scalarIT4_EES5_PKT0_PKT1_PKT2_S8_PT3_21rocsparse_index_base_b
	.p2align	8
	.type	_ZN9rocsparseL27csrmvn_symm_adaptive_kernelIli21rocsparse_complex_numIfES2_S2_S2_EEvbT_S3_PKS3_NS_24const_host_device_scalarIT4_EES5_PKT0_PKT1_PKT2_S8_PT3_21rocsparse_index_base_b,@function
_ZN9rocsparseL27csrmvn_symm_adaptive_kernelIli21rocsparse_complex_numIfES2_S2_S2_EEvbT_S3_PKS3_NS_24const_host_device_scalarIT4_EES5_PKT0_PKT1_PKT2_S8_PT3_21rocsparse_index_base_b: ; @_ZN9rocsparseL27csrmvn_symm_adaptive_kernelIli21rocsparse_complex_numIfES2_S2_S2_EEvbT_S3_PKS3_NS_24const_host_device_scalarIT4_EES5_PKT0_PKT1_PKT2_S8_PT3_21rocsparse_index_base_b
; %bb.0:
	s_load_dwordx2 s[34:35], s[4:5], 0x58
	s_load_dwordx2 s[8:9], s[4:5], 0x20
	;; [unrolled: 1-line block ×3, first 2 shown]
	s_waitcnt lgkmcnt(0)
	s_bitcmp1_b32 s35, 0
	s_cselect_b64 s[0:1], -1, 0
	s_xor_b64 s[10:11], s[0:1], -1
	s_and_b64 vcc, exec, s[0:1]
	v_mov_b32_e32 v2, s8
	s_cbranch_vccnz .LBB27_2
; %bb.1:
	v_pk_mov_b32 v[2:3], s[8:9], s[8:9] op_sel:[0,1]
	flat_load_dword v2, v[2:3]
.LBB27_2:
	v_cndmask_b32_e64 v1, 0, 1, s[10:11]
	v_cmp_ne_u32_e64 s[0:1], 1, v1
	s_andn2_b64 vcc, exec, s[10:11]
	v_mov_b32_e32 v3, s9
	s_cbranch_vccz .LBB27_12
; %bb.3:
	s_and_b64 vcc, exec, s[0:1]
	v_mov_b32_e32 v1, s2
	s_cbranch_vccz .LBB27_13
.LBB27_4:
	s_and_b64 vcc, exec, s[0:1]
	v_mov_b32_e32 v4, s3
	s_cbranch_vccnz .LBB27_6
.LBB27_5:
	v_pk_mov_b32 v[4:5], s[2:3], s[2:3] op_sel:[0,1]
	flat_load_dword v4, v[4:5] offset:4
.LBB27_6:
	s_waitcnt vmcnt(0) lgkmcnt(0)
	v_cmp_eq_f32_e32 vcc, 0, v2
	v_cmp_eq_f32_e64 s[0:1], 0, v3
	s_and_b64 s[8:9], vcc, s[0:1]
	s_mov_b64 s[0:1], -1
	s_and_saveexec_b64 s[2:3], s[8:9]
; %bb.7:
	v_cmp_neq_f32_e32 vcc, 1.0, v1
	v_and_b32_e32 v1, 0x7fffffff, v4
	v_cmp_ne_u32_e64 s[0:1], 0, v1
	s_or_b64 s[0:1], vcc, s[0:1]
	s_orn2_b64 s[0:1], s[0:1], exec
; %bb.8:
	s_or_b64 exec, exec, s[2:3]
	s_and_saveexec_b64 s[2:3], s[0:1]
	s_cbranch_execz .LBB27_216
; %bb.9:
	s_load_dword s0, s[4:5], 0x0
	s_load_dwordx2 s[2:3], s[4:5], 0x18
	s_mov_b32 s33, 0
	s_mov_b32 s8, s33
	;; [unrolled: 1-line block ×3, first 2 shown]
	s_waitcnt lgkmcnt(0)
	s_bitcmp1_b32 s0, 0
	s_cselect_b64 s[0:1], -1, 0
	s_ashr_i32 s7, s6, 31
	s_lshl_b64 s[6:7], s[6:7], 3
	s_add_u32 s2, s2, s6
	v_lshlrev_b32_e32 v24, 3, v0
	v_pk_mov_b32 v[4:5], s[8:9], s[8:9] op_sel:[0,1]
	s_addc_u32 s3, s3, s7
	ds_write2st64_b64 v24, v[4:5], v[4:5] offset1:4
	ds_write2st64_b64 v24, v[4:5], v[4:5] offset0:8 offset1:12
	s_waitcnt lgkmcnt(0)
	s_barrier
	s_load_dwordx4 s[24:27], s[2:3], 0x0
	s_load_dwordx8 s[16:23], s[4:5], 0x28
	s_load_dwordx2 s[28:29], s[4:5], 0x50
	s_mov_b64 s[2:3], -1
	s_waitcnt lgkmcnt(0)
	s_sub_u32 s30, s26, s24
	s_subb_u32 s31, s27, s25
	v_cmp_gt_i64_e64 s[6:7], s[30:31], 2
	s_and_b64 vcc, exec, s[6:7]
	s_cbranch_vccnz .LBB27_57
; %bb.10:
	v_pk_mov_b32 v[4:5], s[24:25], s[24:25] op_sel:[0,1]
	v_cmp_gt_i64_e32 vcc, s[26:27], v[4:5]
	v_subrev_co_u32_e64 v1, s[2:3], s34, v0
	v_subb_co_u32_e64 v12, s[2:3], 0, 0, s[2:3]
	s_cbranch_vccnz .LBB27_14
; %bb.11:
	s_lshl_b64 s[2:3], s[24:25], 3
	s_add_u32 s2, s16, s2
	s_addc_u32 s3, s17, s3
	s_load_dwordx2 s[36:37], s[2:3], 0x0
	s_cbranch_execz .LBB27_15
	s_branch .LBB27_44
.LBB27_12:
	v_pk_mov_b32 v[4:5], s[8:9], s[8:9] op_sel:[0,1]
	flat_load_dword v3, v[4:5] offset:4
	s_and_b64 vcc, exec, s[0:1]
	v_mov_b32_e32 v1, s2
	s_cbranch_vccnz .LBB27_4
.LBB27_13:
	v_pk_mov_b32 v[4:5], s[2:3], s[2:3] op_sel:[0,1]
	flat_load_dword v1, v[4:5]
	s_and_b64 vcc, exec, s[0:1]
	v_mov_b32_e32 v4, s3
	s_cbranch_vccz .LBB27_5
	s_branch .LBB27_6
.LBB27_14:
                                        ; implicit-def: $sgpr36_sgpr37
.LBB27_15:
	s_lshl_b64 s[14:15], s[24:25], 3
	s_add_u32 s14, s16, s14
	s_addc_u32 s15, s17, s15
	s_waitcnt lgkmcnt(0)
	s_load_dwordx2 s[36:37], s[14:15], 0x0
	s_add_u32 s50, s16, 8
	s_addc_u32 s51, s17, 0
	s_movk_i32 s35, 0x100
	s_add_u32 s52, s20, 4
	v_cmp_gt_u32_e64 s[2:3], s35, v0
	v_cmp_gt_u32_e64 s[6:7], 64, v0
	;; [unrolled: 1-line block ×4, first 2 shown]
	v_cmp_eq_u32_e64 s[12:13], 0, v0
	s_addc_u32 s53, s21, 0
	v_mov_b32_e32 v13, s23
	v_mov_b32_e32 v14, 0
	s_waitcnt lgkmcnt(0)
	s_mov_b64 s[40:41], s[36:37]
	s_mov_b64 s[38:39], s[24:25]
	s_branch .LBB27_17
.LBB27_16:                              ;   in Loop: Header=BB27_17 Depth=1
	s_or_b64 exec, exec, s[14:15]
	s_add_u32 s38, s38, 1
	s_addc_u32 s39, s39, 0
	v_pk_mov_b32 v[4:5], s[26:27], s[26:27] op_sel:[0,1]
	v_cmp_ge_i64_e32 vcc, s[38:39], v[4:5]
	s_cbranch_vccnz .LBB27_44
.LBB27_17:                              ; =>This Loop Header: Depth=1
                                        ;     Child Loop BB27_19 Depth 2
                                        ;     Child Loop BB27_33 Depth 2
	;; [unrolled: 1-line block ×5, first 2 shown]
	s_lshl_b64 s[42:43], s[38:39], 3
	s_mov_b64 s[14:15], s[40:41]
	s_add_u32 s40, s50, s42
	s_addc_u32 s41, s51, s43
	s_load_dwordx2 s[40:41], s[40:41], 0x0
	v_mov_b32_e32 v5, s15
	v_add_co_u32_e32 v4, vcc, s14, v1
	v_addc_co_u32_e32 v5, vcc, v5, v12, vcc
	s_waitcnt lgkmcnt(0)
	s_sub_u32 s44, s40, s34
	s_subb_u32 s45, s41, 0
	v_cmp_gt_i64_e32 vcc, s[44:45], v[4:5]
	v_mov_b32_e32 v7, 0
	v_mov_b32_e32 v6, 0
	s_and_saveexec_b64 s[46:47], vcc
	s_cbranch_execz .LBB27_21
; %bb.18:                               ;   in Loop: Header=BB27_17 Depth=1
	v_lshlrev_b64 v[6:7], 2, v[4:5]
	v_mov_b32_e32 v9, s19
	v_add_co_u32_e32 v8, vcc, s18, v6
	v_addc_co_u32_e32 v9, vcc, v9, v7, vcc
	v_lshlrev_b64 v[6:7], 3, v[4:5]
	v_mov_b32_e32 v11, s53
	v_add_co_u32_e32 v10, vcc, s52, v6
	v_mov_b32_e32 v6, 0
	v_addc_co_u32_e32 v11, vcc, v11, v7, vcc
	s_mov_b64 s[48:49], 0
	v_mov_b32_e32 v7, v6
.LBB27_19:                              ;   Parent Loop BB27_17 Depth=1
                                        ; =>  This Inner Loop Header: Depth=2
	global_load_dword v15, v[8:9], off
	global_load_dwordx2 v[16:17], v[10:11], off offset:-4
	s_waitcnt vmcnt(1)
	v_subrev_u32_e32 v18, s34, v15
	v_ashrrev_i32_e32 v19, 31, v18
	v_lshlrev_b64 v[18:19], 3, v[18:19]
	v_add_co_u32_e32 v18, vcc, s22, v18
	v_addc_co_u32_e32 v19, vcc, v13, v19, vcc
	global_load_dwordx2 v[18:19], v[18:19], off
	v_add_co_u32_e32 v4, vcc, s35, v4
	v_addc_co_u32_e32 v5, vcc, 0, v5, vcc
	v_add_co_u32_e32 v8, vcc, 0x400, v8
	v_addc_co_u32_e32 v9, vcc, 0, v9, vcc
	s_waitcnt vmcnt(1)
	v_cndmask_b32_e64 v17, v17, -v17, s[0:1]
	v_add_co_u32_e32 v10, vcc, 0x800, v10
	v_cmp_le_i64_e64 s[14:15], s[44:45], v[4:5]
	v_mov_b32_e32 v21, v16
	v_xor_b32_e32 v20, 0x80000000, v17
	v_addc_co_u32_e32 v11, vcc, 0, v11, vcc
	s_or_b64 s[48:49], s[14:15], s[48:49]
	s_waitcnt vmcnt(0)
	v_pk_fma_f32 v[6:7], v[16:17], v[18:19], v[6:7] op_sel_hi:[1,0,1]
	v_pk_fma_f32 v[6:7], v[20:21], v[18:19], v[6:7] op_sel:[0,1,0]
	s_andn2_b64 exec, exec, s[48:49]
	s_cbranch_execnz .LBB27_19
; %bb.20:                               ;   in Loop: Header=BB27_17 Depth=1
	s_or_b64 exec, exec, s[48:49]
.LBB27_21:                              ;   in Loop: Header=BB27_17 Depth=1
	s_or_b64 exec, exec, s[46:47]
	ds_write_b64 v24, v[6:7]
	s_waitcnt lgkmcnt(0)
	s_barrier
	s_and_saveexec_b64 s[14:15], s[2:3]
	s_cbranch_execz .LBB27_23
; %bb.22:                               ;   in Loop: Header=BB27_17 Depth=1
	ds_read2st64_b64 v[4:7], v24 offset1:4
	ds_read2st64_b64 v[8:11], v24 offset0:8 offset1:12
	s_waitcnt lgkmcnt(0)
	v_pk_add_f32 v[6:7], v[8:9], v[6:7]
	v_pk_add_f32 v[6:7], v[6:7], v[10:11]
	;; [unrolled: 1-line block ×3, first 2 shown]
	ds_write_b64 v24, v[4:5]
.LBB27_23:                              ;   in Loop: Header=BB27_17 Depth=1
	s_or_b64 exec, exec, s[14:15]
	s_waitcnt lgkmcnt(0)
	s_barrier
	s_and_saveexec_b64 s[14:15], s[6:7]
	s_cbranch_execz .LBB27_25
; %bb.24:                               ;   in Loop: Header=BB27_17 Depth=1
	ds_read2st64_b64 v[4:7], v24 offset1:1
	ds_read2st64_b64 v[8:11], v24 offset0:2 offset1:3
	s_waitcnt lgkmcnt(0)
	v_pk_add_f32 v[6:7], v[8:9], v[6:7]
	v_pk_add_f32 v[6:7], v[6:7], v[10:11]
	;; [unrolled: 1-line block ×3, first 2 shown]
	ds_write_b64 v24, v[4:5]
.LBB27_25:                              ;   in Loop: Header=BB27_17 Depth=1
	s_or_b64 exec, exec, s[14:15]
	s_waitcnt lgkmcnt(0)
	s_barrier
	s_and_saveexec_b64 s[14:15], s[8:9]
	s_cbranch_execz .LBB27_27
; %bb.26:                               ;   in Loop: Header=BB27_17 Depth=1
	ds_read2_b64 v[4:7], v24 offset1:16
	ds_read2_b64 v[8:11], v24 offset0:32 offset1:48
	s_waitcnt lgkmcnt(0)
	v_pk_add_f32 v[6:7], v[8:9], v[6:7]
	v_pk_add_f32 v[6:7], v[6:7], v[10:11]
	;; [unrolled: 1-line block ×3, first 2 shown]
	ds_write_b64 v24, v[4:5]
.LBB27_27:                              ;   in Loop: Header=BB27_17 Depth=1
	s_or_b64 exec, exec, s[14:15]
	s_waitcnt lgkmcnt(0)
	s_barrier
	s_and_saveexec_b64 s[14:15], s[10:11]
	s_cbranch_execz .LBB27_29
; %bb.28:                               ;   in Loop: Header=BB27_17 Depth=1
	ds_read2_b64 v[4:7], v24 offset1:4
	ds_read2_b64 v[8:11], v24 offset0:8 offset1:12
	s_waitcnt lgkmcnt(0)
	v_pk_add_f32 v[6:7], v[8:9], v[6:7]
	v_pk_add_f32 v[6:7], v[6:7], v[10:11]
	;; [unrolled: 1-line block ×3, first 2 shown]
	ds_write_b64 v24, v[4:5]
.LBB27_29:                              ;   in Loop: Header=BB27_17 Depth=1
	s_or_b64 exec, exec, s[14:15]
	s_waitcnt lgkmcnt(0)
	s_barrier
	s_and_saveexec_b64 s[14:15], s[12:13]
	s_cbranch_execz .LBB27_31
; %bb.30:                               ;   in Loop: Header=BB27_17 Depth=1
	ds_read_b128 v[4:7], v14 offset:16
	ds_read_b64 v[8:9], v14 offset:8
	ds_read_b64 v[10:11], v24
	s_waitcnt lgkmcnt(1)
	v_pk_add_f32 v[4:5], v[4:5], v[8:9]
	v_pk_add_f32 v[4:5], v[4:5], v[6:7]
	s_waitcnt lgkmcnt(0)
	v_pk_add_f32 v[4:5], v[4:5], v[10:11]
	ds_write_b64 v24, v[4:5]
.LBB27_31:                              ;   in Loop: Header=BB27_17 Depth=1
	s_or_b64 exec, exec, s[14:15]
	s_waitcnt lgkmcnt(0)
	s_barrier
	s_and_saveexec_b64 s[14:15], s[12:13]
	s_cbranch_execz .LBB27_16
; %bb.32:                               ;   in Loop: Header=BB27_17 Depth=1
	ds_read_b64 v[4:5], v14
	s_mov_b64 s[44:45], exec
	v_bfrev_b32_e32 v8, 1
	s_waitcnt lgkmcnt(0)
	v_mul_f32_e64 v6, v5, -v3
	v_fmac_f32_e32 v6, v2, v4
.LBB27_33:                              ;   Parent Loop BB27_17 Depth=1
                                        ; =>  This Inner Loop Header: Depth=2
	s_ff1_i32_b64 s46, s[44:45]
	v_readlane_b32 s48, v6, s46
	s_lshl_b64 s[46:47], 1, s46
	s_andn2_b64 s[44:45], s[44:45], s[46:47]
	s_cmp_lg_u64 s[44:45], 0
	v_add_f32_e32 v8, s48, v8
	s_cbranch_scc1 .LBB27_33
; %bb.34:                               ;   in Loop: Header=BB27_17 Depth=1
	v_mbcnt_lo_u32_b32 v6, exec_lo, 0
	s_add_u32 s42, s28, s42
	v_mbcnt_hi_u32_b32 v6, exec_hi, v6
	s_addc_u32 s43, s29, s43
	v_cmp_eq_u32_e32 vcc, 0, v6
	s_and_saveexec_b64 s[44:45], vcc
	s_xor_b64 s[44:45], exec, s[44:45]
	s_cbranch_execz .LBB27_38
; %bb.35:                               ;   in Loop: Header=BB27_17 Depth=1
	global_load_dword v7, v14, s[42:43]
	s_mov_b64 s[46:47], 0
.LBB27_36:                              ;   Parent Loop BB27_17 Depth=1
                                        ; =>  This Inner Loop Header: Depth=2
	s_waitcnt vmcnt(0)
	v_add_f32_e32 v6, v7, v8
	global_atomic_cmpswap v6, v14, v[6:7], s[42:43] glc
	s_waitcnt vmcnt(0)
	v_cmp_eq_u32_e32 vcc, v6, v7
	s_or_b64 s[46:47], vcc, s[46:47]
	v_mov_b32_e32 v7, v6
	s_andn2_b64 exec, exec, s[46:47]
	s_cbranch_execnz .LBB27_36
; %bb.37:                               ;   in Loop: Header=BB27_17 Depth=1
	s_or_b64 exec, exec, s[46:47]
.LBB27_38:                              ;   in Loop: Header=BB27_17 Depth=1
	s_or_b64 exec, exec, s[44:45]
	v_mul_f32_e32 v5, v5, v2
	s_mov_b64 s[44:45], exec
	v_fmac_f32_e32 v5, v3, v4
	v_bfrev_b32_e32 v6, 1
.LBB27_39:                              ;   Parent Loop BB27_17 Depth=1
                                        ; =>  This Inner Loop Header: Depth=2
	s_ff1_i32_b64 s46, s[44:45]
	v_readlane_b32 s48, v5, s46
	s_lshl_b64 s[46:47], 1, s46
	s_andn2_b64 s[44:45], s[44:45], s[46:47]
	s_cmp_lg_u64 s[44:45], 0
	v_add_f32_e32 v6, s48, v6
	s_cbranch_scc1 .LBB27_39
; %bb.40:                               ;   in Loop: Header=BB27_17 Depth=1
	v_mbcnt_lo_u32_b32 v4, exec_lo, 0
	v_mbcnt_hi_u32_b32 v4, exec_hi, v4
	v_cmp_eq_u32_e32 vcc, 0, v4
	s_and_saveexec_b64 s[44:45], vcc
	s_xor_b64 s[44:45], exec, s[44:45]
	s_cbranch_execz .LBB27_16
; %bb.41:                               ;   in Loop: Header=BB27_17 Depth=1
	global_load_dword v5, v14, s[42:43] offset:4
	s_mov_b64 s[44:45], 0
.LBB27_42:                              ;   Parent Loop BB27_17 Depth=1
                                        ; =>  This Inner Loop Header: Depth=2
	s_waitcnt vmcnt(0)
	v_add_f32_e32 v4, v5, v6
	global_atomic_cmpswap v4, v14, v[4:5], s[42:43] offset:4 glc
	s_waitcnt vmcnt(0)
	v_cmp_eq_u32_e32 vcc, v4, v5
	s_or_b64 s[44:45], vcc, s[44:45]
	v_mov_b32_e32 v5, v4
	s_andn2_b64 exec, exec, s[44:45]
	s_cbranch_execnz .LBB27_42
; %bb.43:                               ;   in Loop: Header=BB27_17 Depth=1
	s_or_b64 exec, exec, s[44:45]
	s_branch .LBB27_16
.LBB27_44:
	s_lshl_b64 s[2:3], s[26:27], 3
	s_add_u32 s2, s16, s2
	s_addc_u32 s3, s17, s3
	s_load_dwordx2 s[2:3], s[2:3], 0x0
	s_waitcnt lgkmcnt(0)
	v_mov_b32_e32 v5, s37
	v_add_co_u32_e32 v4, vcc, s36, v1
	v_addc_co_u32_e32 v5, vcc, v5, v12, vcc
	s_sub_u32 s8, s2, s34
	s_subb_u32 s9, s3, 0
	v_cmp_gt_i64_e32 vcc, s[8:9], v[4:5]
	s_and_saveexec_b64 s[10:11], vcc
	s_cbranch_execz .LBB27_56
; %bb.45:
	s_add_u32 s12, s26, -1
	s_addc_u32 s13, s27, -1
	s_add_u32 s2, s26, -2
	s_addc_u32 s3, s27, -1
	v_pk_mov_b32 v[6:7], s[24:25], s[24:25] op_sel:[0,1]
	s_cmp_lg_u64 s[2:3], s[24:25]
	v_cmp_gt_i64_e32 vcc, s[12:13], v[6:7]
	s_cselect_b64 s[2:3], -1, 0
	s_and_b64 s[2:3], vcc, s[2:3]
	v_cndmask_b32_e64 v1, 0, 1, s[2:3]
	s_mov_b64 s[14:15], 0
	v_cmp_ne_u32_e64 s[2:3], 1, v1
	v_mov_b32_e32 v1, s17
	v_mov_b32_e32 v12, s33
	;; [unrolled: 1-line block ×3, first 2 shown]
	s_branch .LBB27_47
.LBB27_46:                              ;   in Loop: Header=BB27_47 Depth=1
	s_or_b64 exec, exec, s[6:7]
	v_add_co_u32_e32 v4, vcc, 0x100, v4
	v_addc_co_u32_e32 v5, vcc, 0, v5, vcc
	v_cmp_le_i64_e32 vcc, s[8:9], v[4:5]
	s_or_b64 s[14:15], vcc, s[14:15]
	s_andn2_b64 exec, exec, s[14:15]
	s_cbranch_execz .LBB27_56
.LBB27_47:                              ; =>This Loop Header: Depth=1
                                        ;     Child Loop BB27_49 Depth 2
                                        ;     Child Loop BB27_53 Depth 2
                                        ;     Child Loop BB27_55 Depth 2
	s_and_b64 vcc, exec, s[2:3]
	v_pk_mov_b32 v[6:7], s[24:25], s[24:25] op_sel:[0,1]
	v_pk_mov_b32 v[8:9], s[12:13], s[12:13] op_sel:[0,1]
	s_cbranch_vccnz .LBB27_51
; %bb.48:                               ;   in Loop: Header=BB27_47 Depth=1
	s_mov_b64 s[36:37], 0
	v_pk_mov_b32 v[6:7], s[24:25], s[24:25] op_sel:[0,1]
	v_pk_mov_b32 v[8:9], s[12:13], s[12:13] op_sel:[0,1]
.LBB27_49:                              ;   Parent Loop BB27_47 Depth=1
                                        ; =>  This Inner Loop Header: Depth=2
	v_add_co_u32_e32 v10, vcc, v8, v6
	v_addc_co_u32_e32 v11, vcc, v9, v7, vcc
	v_lshrrev_b32_e32 v14, 31, v11
	v_add_co_u32_e32 v10, vcc, v10, v14
	v_addc_co_u32_e32 v11, vcc, 0, v11, vcc
	v_ashrrev_i64 v[10:11], 1, v[10:11]
	v_lshlrev_b64 v[14:15], 3, v[10:11]
	v_mov_b32_e32 v16, s17
	v_add_co_u32_e32 v14, vcc, s16, v14
	v_addc_co_u32_e32 v15, vcc, v16, v15, vcc
	global_load_dwordx2 v[14:15], v[14:15], off
	v_mov_b32_e32 v16, s33
	s_waitcnt vmcnt(0)
	v_subrev_co_u32_e32 v14, vcc, s34, v14
	v_subb_co_u32_e32 v15, vcc, v15, v16, vcc
	v_cmp_gt_i64_e32 vcc, v[14:15], v[4:5]
	v_cndmask_b32_e32 v8, v8, v10, vcc
	v_cndmask_b32_e32 v9, v9, v11, vcc
	v_cndmask_b32_e32 v6, v10, v6, vcc
	v_add_co_u32_e64 v10, s[6:7], -1, v8
	v_cndmask_b32_e32 v7, v11, v7, vcc
	v_addc_co_u32_e64 v11, s[6:7], -1, v9, s[6:7]
	v_cmp_ge_i64_e32 vcc, v[6:7], v[8:9]
	v_cmp_eq_u64_e64 s[6:7], v[6:7], v[10:11]
	s_or_b64 s[6:7], vcc, s[6:7]
	s_and_b64 s[6:7], exec, s[6:7]
	s_or_b64 s[36:37], s[6:7], s[36:37]
	s_andn2_b64 exec, exec, s[36:37]
	s_cbranch_execnz .LBB27_49
; %bb.50:                               ;   in Loop: Header=BB27_47 Depth=1
	s_or_b64 exec, exec, s[36:37]
.LBB27_51:                              ;   in Loop: Header=BB27_47 Depth=1
	v_lshlrev_b64 v[10:11], 3, v[8:9]
	v_add_co_u32_e32 v10, vcc, s16, v10
	v_addc_co_u32_e32 v11, vcc, v1, v11, vcc
	v_lshlrev_b64 v[14:15], 2, v[4:5]
	global_load_dwordx2 v[10:11], v[10:11], off
	v_add_co_u32_e32 v14, vcc, s18, v14
	v_addc_co_u32_e32 v15, vcc, v13, v15, vcc
	global_load_dword v16, v[14:15], off
	s_waitcnt vmcnt(1)
	v_subrev_co_u32_e32 v14, vcc, s34, v10
	v_subb_co_u32_e32 v15, vcc, v11, v12, vcc
	v_cmp_gt_i64_e32 vcc, v[14:15], v[4:5]
	s_waitcnt vmcnt(0)
	v_subrev_u32_e32 v10, s34, v16
	v_cndmask_b32_e32 v7, v9, v7, vcc
	v_cndmask_b32_e32 v6, v8, v6, vcc
	v_ashrrev_i32_e32 v11, 31, v10
	v_cmp_ne_u64_e32 vcc, v[6:7], v[10:11]
	s_and_saveexec_b64 s[6:7], vcc
	s_cbranch_execz .LBB27_46
; %bb.52:                               ;   in Loop: Header=BB27_47 Depth=1
	v_lshlrev_b64 v[8:9], 3, v[4:5]
	v_mov_b32_e32 v15, s21
	v_add_co_u32_e32 v8, vcc, s20, v8
	v_addc_co_u32_e32 v9, vcc, v15, v9, vcc
	global_load_dwordx2 v[16:17], v[8:9], off
	v_lshlrev_b64 v[6:7], 3, v[6:7]
	v_mov_b32_e32 v8, s23
	v_add_co_u32_e32 v6, vcc, s22, v6
	v_lshlrev_b64 v[10:11], 3, v[10:11]
	v_addc_co_u32_e32 v7, vcc, v8, v7, vcc
	v_mov_b32_e32 v14, s29
	global_load_dwordx2 v[8:9], v[6:7], off
	v_add_co_u32_e32 v6, vcc, s28, v10
	v_addc_co_u32_e32 v7, vcc, v14, v11, vcc
	global_load_dword v11, v[6:7], off
	s_mov_b64 s[36:37], 0
	s_waitcnt vmcnt(2)
	v_cndmask_b32_e64 v10, v17, -v17, s[0:1]
	v_mul_f32_e32 v15, v10, v2
	v_mul_f32_e64 v14, v10, -v3
	v_fmac_f32_e32 v15, v3, v16
	v_fmac_f32_e32 v14, v2, v16
	s_waitcnt vmcnt(1)
	v_mul_f32_e64 v16, v9, -v15
	v_fmac_f32_e32 v16, v14, v8
.LBB27_53:                              ;   Parent Loop BB27_47 Depth=1
                                        ; =>  This Inner Loop Header: Depth=2
	s_waitcnt vmcnt(0)
	v_add_f32_e32 v10, v11, v16
	global_atomic_cmpswap v10, v[6:7], v[10:11], off glc
	s_waitcnt vmcnt(0)
	v_cmp_eq_u32_e32 vcc, v10, v11
	s_or_b64 s[36:37], vcc, s[36:37]
	v_mov_b32_e32 v11, v10
	s_andn2_b64 exec, exec, s[36:37]
	s_cbranch_execnz .LBB27_53
; %bb.54:                               ;   in Loop: Header=BB27_47 Depth=1
	s_or_b64 exec, exec, s[36:37]
	global_load_dword v11, v[6:7], off offset:4
	v_mul_f32_e32 v9, v9, v14
	v_fmac_f32_e32 v9, v15, v8
	s_mov_b64 s[36:37], 0
.LBB27_55:                              ;   Parent Loop BB27_47 Depth=1
                                        ; =>  This Inner Loop Header: Depth=2
	s_waitcnt vmcnt(0)
	v_add_f32_e32 v10, v11, v9
	global_atomic_cmpswap v8, v[6:7], v[10:11], off offset:4 glc
	s_waitcnt vmcnt(0)
	v_cmp_eq_u32_e32 vcc, v8, v11
	s_or_b64 s[36:37], vcc, s[36:37]
	v_mov_b32_e32 v11, v8
	s_andn2_b64 exec, exec, s[36:37]
	s_cbranch_execnz .LBB27_55
	s_branch .LBB27_46
.LBB27_56:
	s_or_b64 exec, exec, s[10:11]
	s_mov_b64 s[2:3], 0
.LBB27_57:
	s_and_b64 vcc, exec, s[2:3]
	s_cbranch_vccz .LBB27_216
; %bb.58:
	s_load_dword s2, s[4:5], 0x6c
	s_mov_b32 s33, 0
	v_pk_mov_b32 v[4:5], s[30:31], s[30:31] op_sel:[0,1]
	s_mov_b32 s37, s33
	s_mov_b64 s[38:39], 0
	s_waitcnt lgkmcnt(0)
	s_and_b32 s36, s2, 0xffff
	v_cmp_lt_u64_e32 vcc, s[36:37], v[4:5]
	s_cbranch_vccnz .LBB27_60
; %bb.59:
	v_cvt_f32_u32_e32 v1, s30
	s_sub_i32 s2, 0, s30
	v_rcp_iflag_f32_e32 v1, v1
	v_mul_f32_e32 v1, 0x4f7ffffe, v1
	v_cvt_u32_f32_e32 v1, v1
	v_readfirstlane_b32 s3, v1
	s_mul_i32 s2, s2, s3
	s_mul_hi_u32 s2, s3, s2
	s_add_i32 s3, s3, s2
	s_mul_hi_u32 s2, s36, s3
	s_mul_i32 s6, s2, s30
	s_sub_i32 s6, s36, s6
	s_add_i32 s3, s2, 1
	s_sub_i32 s7, s6, s30
	s_cmp_ge_u32 s6, s30
	s_cselect_b32 s2, s3, s2
	s_cselect_b32 s6, s7, s6
	s_add_i32 s3, s2, 1
	s_cmp_ge_u32 s6, s30
	s_cselect_b32 s38, s3, s2
.LBB27_60:
	s_lshl_b64 s[2:3], s[24:25], 3
	s_add_u32 s14, s16, s2
	s_addc_u32 s15, s17, s3
	s_load_dwordx2 s[12:13], s[14:15], 0x0
	s_load_dwordx4 s[8:11], s[4:5], 0x8
	v_subrev_co_u32_e32 v4, vcc, s34, v0
	v_subb_co_u32_e64 v5, s[2:3], 0, 0, vcc
	s_waitcnt lgkmcnt(0)
	v_mov_b32_e32 v7, s13
	v_add_co_u32_e32 v6, vcc, s12, v4
	v_addc_co_u32_e32 v7, vcc, v7, v5, vcc
	v_add_co_u32_e32 v8, vcc, 0x300, v6
	v_addc_co_u32_e32 v9, vcc, 0, v7, vcc
	v_mov_b32_e32 v1, 0
	v_cmp_le_i64_e64 s[2:3], s[8:9], v[8:9]
	s_and_saveexec_b64 s[4:5], s[2:3]
	s_xor_b64 s[8:9], exec, s[4:5]
	s_cbranch_execnz .LBB27_63
; %bb.61:
	s_andn2_saveexec_b64 s[4:5], s[8:9]
	s_cbranch_execnz .LBB27_76
.LBB27_62:
	s_or_b64 exec, exec, s[4:5]
	v_cmp_gt_i64_e32 vcc, s[10:11], v[0:1]
	s_and_saveexec_b64 s[8:9], vcc
	s_cbranch_execnz .LBB27_77
	s_branch .LBB27_86
.LBB27_63:
	s_lshl_b64 s[4:5], s[26:27], 3
	s_add_u32 s4, s16, s4
	s_addc_u32 s5, s17, s5
	s_load_dwordx2 s[4:5], s[4:5], 0x0
	s_waitcnt lgkmcnt(0)
	s_sub_u32 s40, s4, s12
	s_subb_u32 s41, s5, s13
	v_cmp_gt_i64_e32 vcc, s[40:41], v[0:1]
	s_and_saveexec_b64 s[42:43], vcc
	s_cbranch_execz .LBB27_75
; %bb.64:
	s_not_b64 s[6:7], s[12:13]
	s_add_u32 s4, s4, s6
	s_addc_u32 s5, s5, s7
	v_mov_b32_e32 v5, s5
	v_sub_co_u32_e32 v4, vcc, s4, v0
	v_subbrev_co_u32_e32 v5, vcc, 0, v5, vcc
	s_mov_b64 s[4:5], 0x1aff
	v_cmp_lt_u64_e32 vcc, s[4:5], v[4:5]
	s_mov_b64 s[4:5], 0
                                        ; implicit-def: $vgpr12_vgpr13
                                        ; implicit-def: $vgpr25
	s_and_saveexec_b64 s[6:7], vcc
	s_xor_b64 s[44:45], exec, s[6:7]
	s_cbranch_execnz .LBB27_67
; %bb.65:
	s_andn2_saveexec_b64 s[6:7], s[44:45]
	s_cbranch_execnz .LBB27_72
.LBB27_66:
	s_or_b64 exec, exec, s[6:7]
	s_and_b64 exec, exec, s[4:5]
	s_cbranch_execnz .LBB27_73
	s_branch .LBB27_75
.LBB27_67:
	v_lshlrev_b32_e32 v25, 3, v0
	v_alignbit_b32 v10, v5, v4, 8
	s_mov_b32 s4, 0x1fffff
	s_mov_b32 s6, -1
	v_cmp_lt_u32_e32 vcc, s4, v10
	v_lshl_or_b32 v10, v10, 11, v25
	s_movk_i32 s7, 0xff
	v_cmp_lt_u32_e64 s[4:5], v10, v25
	v_or_b32_e32 v11, 4, v25
	v_or_b32_e32 v10, 4, v10
	v_cmp_lt_u64_e64 s[6:7], s[6:7], v[4:5]
	s_or_b64 s[46:47], s[4:5], vcc
	v_cmp_lt_u32_e64 s[4:5], v10, v11
	s_or_b64 s[6:7], vcc, s[6:7]
	s_or_b64 s[4:5], s[6:7], s[4:5]
	s_or_b64 s[4:5], s[46:47], s[4:5]
	s_mov_b64 s[6:7], -1
	s_xor_b64 s[46:47], s[4:5], -1
	v_pk_mov_b32 v[12:13], 0, 0
	s_and_saveexec_b64 s[4:5], s[46:47]
	s_cbranch_execz .LBB27_71
; %bb.68:
	v_lshrrev_b64 v[4:5], 8, v[4:5]
	v_add_co_u32_e32 v4, vcc, 1, v4
	v_addc_co_u32_e32 v5, vcc, 0, v5, vcc
	v_lshlrev_b64 v[20:21], 3, v[6:7]
	v_mov_b32_e32 v22, s21
	v_add_co_u32_e32 v20, vcc, s20, v20
	v_addc_co_u32_e32 v21, vcc, v21, v22, vcc
	s_movk_i32 s6, 0x804
	v_and_b32_e32 v10, -2, v4
	v_mov_b32_e32 v11, v5
	v_xor_b32_e32 v12, 0x80000000, v3
	v_add_co_u32_e32 v20, vcc, s6, v20
	v_mov_b32_e32 v13, v12
	v_mov_b32_e32 v14, v2
	;; [unrolled: 1-line block ×7, first 2 shown]
	v_addc_co_u32_e32 v21, vcc, 0, v21, vcc
	s_mov_b64 s[46:47], 0x100
	s_mov_b64 s[6:7], 0
	v_pk_mov_b32 v[22:23], v[10:11], v[10:11] op_sel:[0,1]
	s_mov_b64 s[48:49], 0
.LBB27_69:                              ; =>This Inner Loop Header: Depth=1
	global_load_dwordx2 v[26:27], v[20:21], off offset:-2052
	global_load_dwordx2 v[28:29], v[20:21], off offset:-4
	v_add_co_u32_e32 v22, vcc, -2, v22
	v_add_lshl_u32 v34, v18, s48, 3
	s_add_u32 s48, s48, 0x200
	v_addc_co_u32_e32 v23, vcc, -1, v23, vcc
	v_add_co_u32_e32 v20, vcc, 0x1000, v20
	s_addc_u32 s49, s49, 0
	v_add_lshl_u32 v35, v19, s46, 3
	v_addc_co_u32_e32 v21, vcc, 0, v21, vcc
	s_add_u32 s46, s46, 0x200
	v_cmp_eq_u64_e32 vcc, 0, v[22:23]
	s_addc_u32 s47, s47, 0
	s_or_b64 s[6:7], vcc, s[6:7]
	s_waitcnt vmcnt(1)
	v_mov_b32_e32 v30, v26
	s_waitcnt vmcnt(0)
	v_mov_b32_e32 v31, v28
	v_mov_b32_e32 v28, v27
	v_pk_add_f32 v[32:33], v[28:29], 0 neg_lo:[1,1] neg_hi:[1,1]
	v_cndmask_b32_e64 v29, v29, v33, s[0:1]
	v_cndmask_b32_e64 v28, v27, v32, s[0:1]
	v_pk_mul_f32 v[26:27], v[28:29], v[12:13]
	v_pk_mul_f32 v[28:29], v[28:29], v[14:15]
	v_pk_fma_f32 v[26:27], v[14:15], v[30:31], v[26:27]
	v_pk_fma_f32 v[28:29], v[16:17], v[30:31], v[28:29]
	v_mov_b32_e32 v30, v26
	v_mov_b32_e32 v31, v28
	;; [unrolled: 1-line block ×3, first 2 shown]
	ds_write_b64 v34, v[30:31]
	ds_write_b64 v35, v[28:29]
	s_andn2_b64 exec, exec, s[6:7]
	s_cbranch_execnz .LBB27_69
; %bb.70:
	s_or_b64 exec, exec, s[6:7]
	v_cmp_ne_u64_e32 vcc, v[4:5], v[10:11]
	v_lshlrev_b64 v[12:13], 8, v[10:11]
	s_orn2_b64 s[6:7], vcc, exec
.LBB27_71:
	s_or_b64 exec, exec, s[4:5]
	s_and_b64 s[4:5], s[6:7], exec
	s_andn2_saveexec_b64 s[6:7], s[44:45]
	s_cbranch_execz .LBB27_66
.LBB27_72:
	v_pk_mov_b32 v[12:13], 0, 0
	s_or_b64 s[4:5], s[4:5], exec
	v_mov_b32_e32 v25, v24
	s_or_b64 exec, exec, s[6:7]
	s_and_b64 exec, exec, s[4:5]
	s_cbranch_execz .LBB27_75
.LBB27_73:
	v_lshlrev_b64 v[10:11], 3, v[12:13]
	v_lshlrev_b64 v[14:15], 3, v[6:7]
	v_add_co_u32_e32 v10, vcc, v10, v14
	v_addc_co_u32_e32 v11, vcc, v11, v15, vcc
	v_mov_b32_e32 v14, s21
	v_add_co_u32_e32 v10, vcc, s20, v10
	v_addc_co_u32_e32 v11, vcc, v11, v14, vcc
	v_add_co_u32_e32 v10, vcc, 4, v10
	v_addc_co_u32_e32 v11, vcc, 0, v11, vcc
	v_add_co_u32_e32 v14, vcc, v12, v0
	v_xor_b32_e32 v4, 0x80000000, v3
	v_mov_b32_e32 v5, v2
	v_addc_co_u32_e32 v15, vcc, 0, v13, vcc
	v_lshl_add_u32 v12, v12, 3, v25
	s_mov_b64 s[4:5], 0
.LBB27_74:                              ; =>This Inner Loop Header: Depth=1
	global_load_dwordx2 v[16:17], v[10:11], off offset:-4
	v_add_co_u32_e32 v10, vcc, 0x800, v10
	v_addc_co_u32_e32 v11, vcc, 0, v11, vcc
	v_add_co_u32_e32 v14, vcc, 0x100, v14
	v_addc_co_u32_e32 v15, vcc, 0, v15, vcc
	v_cmp_le_i64_e32 vcc, s[40:41], v[14:15]
	s_or_b64 s[4:5], vcc, s[4:5]
	s_waitcnt vmcnt(0)
	v_cndmask_b32_e64 v18, v17, -v17, s[0:1]
	v_pk_mul_f32 v[18:19], v[18:19], v[4:5] op_sel_hi:[0,1]
	v_pk_fma_f32 v[16:17], v[2:3], v[16:17], v[18:19] op_sel_hi:[1,0,1]
	ds_write_b64 v12, v[16:17]
	v_add_u32_e32 v12, 0x800, v12
	s_andn2_b64 exec, exec, s[4:5]
	s_cbranch_execnz .LBB27_74
.LBB27_75:
	s_or_b64 exec, exec, s[42:43]
                                        ; implicit-def: $vgpr3
	s_andn2_saveexec_b64 s[4:5], s[8:9]
	s_cbranch_execz .LBB27_62
.LBB27_76:
	v_lshlrev_b64 v[4:5], 3, v[6:7]
	v_mov_b32_e32 v10, s21
	v_add_co_u32_e32 v4, vcc, s20, v4
	v_addc_co_u32_e32 v5, vcc, v10, v5, vcc
	s_movk_i32 s6, 0x1000
	global_load_dwordx2 v[10:11], v[4:5], off
	global_load_dwordx2 v[12:13], v[4:5], off offset:2048
	v_add_co_u32_e32 v4, vcc, s6, v4
	v_addc_co_u32_e32 v5, vcc, 0, v5, vcc
	global_load_dwordx2 v[14:15], v[4:5], off
	global_load_dwordx2 v[16:17], v[4:5], off offset:2048
	v_xor_b32_e32 v4, 0x80000000, v3
	v_mov_b32_e32 v5, v2
	s_waitcnt vmcnt(3)
	v_cndmask_b32_e64 v18, v11, -v11, s[0:1]
	s_waitcnt vmcnt(2)
	v_cndmask_b32_e64 v20, v13, -v13, s[0:1]
	v_pk_mul_f32 v[18:19], v[18:19], v[4:5] op_sel_hi:[0,1]
	v_pk_mul_f32 v[20:21], v[20:21], v[4:5] op_sel_hi:[0,1]
	v_pk_fma_f32 v[10:11], v[2:3], v[10:11], v[18:19] op_sel_hi:[1,0,1]
	s_waitcnt vmcnt(1)
	v_cndmask_b32_e64 v22, v15, -v15, s[0:1]
	s_waitcnt vmcnt(0)
	v_cndmask_b32_e64 v26, v17, -v17, s[0:1]
	v_pk_fma_f32 v[12:13], v[2:3], v[12:13], v[20:21] op_sel_hi:[1,0,1]
	v_pk_mul_f32 v[18:19], v[22:23], v[4:5] op_sel_hi:[0,1]
	v_pk_mul_f32 v[4:5], v[26:27], v[4:5] op_sel_hi:[0,1]
	ds_write2st64_b64 v24, v[10:11], v[12:13] offset1:4
	v_pk_fma_f32 v[10:11], v[2:3], v[14:15], v[18:19] op_sel_hi:[1,0,1]
	v_pk_fma_f32 v[2:3], v[2:3], v[16:17], v[4:5] op_sel_hi:[1,0,1]
	ds_write2st64_b64 v24, v[10:11], v[2:3] offset0:8 offset1:12
	s_or_b64 exec, exec, s[4:5]
	v_cmp_gt_i64_e32 vcc, s[10:11], v[0:1]
	s_and_saveexec_b64 s[8:9], vcc
	s_cbranch_execz .LBB27_86
.LBB27_77:
	v_not_b32_e32 v3, v0
	v_not_b32_e32 v2, 0
	v_mov_b32_e32 v5, s11
	v_add_co_u32_e32 v4, vcc, s10, v3
	v_addc_co_u32_e32 v5, vcc, v2, v5, vcc
	s_mov_b64 s[0:1], 0x3100
	s_mov_b64 s[4:5], 0x30ff
	v_cmp_gt_u64_e64 s[0:1], s[0:1], v[4:5]
	v_cmp_lt_u64_e32 vcc, s[4:5], v[4:5]
	v_pk_mov_b32 v[2:3], v[0:1], v[0:1] op_sel:[0,1]
	s_and_saveexec_b64 s[20:21], vcc
	s_cbranch_execz .LBB27_83
; %bb.78:
	v_mov_b32_e32 v16, 0x2000
	v_lshl_add_u32 v2, v0, 3, v16
	v_alignbit_b32 v3, v5, v4, 8
	s_mov_b32 s4, 0x1fffff
	s_mov_b32 s6, -1
	v_cmp_lt_u32_e32 vcc, s4, v3
	v_lshl_add_u32 v3, v3, 11, v2
	s_movk_i32 s7, 0xff
	v_cmp_lt_u32_e64 s[4:5], v3, v2
	v_add_u32_e32 v2, 4, v2
	v_add_u32_e32 v3, 4, v3
	v_cmp_lt_u64_e64 s[6:7], s[6:7], v[4:5]
	s_or_b64 s[40:41], s[4:5], vcc
	v_cmp_lt_u32_e64 s[4:5], v3, v2
	s_or_b64 s[6:7], vcc, s[6:7]
	s_or_b64 s[4:5], s[6:7], s[4:5]
	s_or_b64 s[6:7], s[40:41], s[4:5]
	s_mov_b64 s[4:5], -1
	s_xor_b64 s[40:41], s[6:7], -1
	v_pk_mov_b32 v[2:3], v[0:1], v[0:1] op_sel:[0,1]
	s_and_saveexec_b64 s[6:7], s[40:41]
	s_cbranch_execz .LBB27_82
; %bb.79:
	v_lshrrev_b64 v[2:3], 8, v[4:5]
	v_add_co_u32_e32 v10, vcc, 1, v2
	v_addc_co_u32_e32 v11, vcc, 0, v3, vcc
	v_or_b32_e32 v2, 0x100, v0
	v_mov_b32_e32 v3, v1
	v_and_b32_e32 v12, -4, v10
	v_mov_b32_e32 v13, v11
	v_pk_mov_b32 v[4:5], v[2:3], v[2:3] op_sel:[0,1]
	s_mov_b64 s[40:41], 0
	v_mov_b32_e32 v17, 0
	s_movk_i32 s35, 0x400
	v_pk_mov_b32 v[14:15], v[12:13], v[12:13] op_sel:[0,1]
	v_pk_mov_b32 v[2:3], v[0:1], v[0:1] op_sel:[0,1]
.LBB27_80:                              ; =>This Inner Loop Header: Depth=1
	v_lshl_add_u32 v19, v4, 3, v16
	v_add_co_u32_e32 v4, vcc, s35, v4
	v_add_co_u32_e64 v14, s[4:5], -4, v14
	v_addc_co_u32_e32 v5, vcc, 0, v5, vcc
	v_addc_co_u32_e64 v15, s[4:5], -1, v15, s[4:5]
	v_lshl_add_u32 v18, v2, 3, v16
	v_add_co_u32_e32 v2, vcc, 0x400, v2
	v_cmp_eq_u64_e64 s[4:5], 0, v[14:15]
	s_or_b64 s[40:41], s[4:5], s[40:41]
	v_addc_co_u32_e32 v3, vcc, 0, v3, vcc
	v_add_u32_e32 v20, 0x1000, v18
	v_add_u32_e32 v21, 0x1000, v19
	ds_write2_b32 v18, v17, v17 offset1:1
	ds_write2_b32 v19, v17, v17 offset1:1
	;; [unrolled: 1-line block ×4, first 2 shown]
	s_andn2_b64 exec, exec, s[40:41]
	s_cbranch_execnz .LBB27_80
; %bb.81:
	s_or_b64 exec, exec, s[40:41]
	v_lshlrev_b64 v[2:3], 8, v[12:13]
	v_cmp_ne_u64_e32 vcc, v[10:11], v[12:13]
	v_or_b32_e32 v3, 0, v3
	v_or_b32_e32 v2, v2, v0
	s_orn2_b64 s[4:5], vcc, exec
.LBB27_82:
	s_or_b64 exec, exec, s[6:7]
	s_andn2_b64 s[0:1], s[0:1], exec
	s_and_b64 s[4:5], s[4:5], exec
	s_or_b64 s[0:1], s[0:1], s[4:5]
.LBB27_83:
	s_or_b64 exec, exec, s[20:21]
	s_and_b64 exec, exec, s[0:1]
	s_cbranch_execz .LBB27_86
; %bb.84:
	v_mov_b32_e32 v4, 0x2000
	v_lshl_add_u32 v4, v2, 3, v4
	s_mov_b64 s[0:1], 0
	v_mov_b32_e32 v5, 0
.LBB27_85:                              ; =>This Inner Loop Header: Depth=1
	v_add_co_u32_e32 v2, vcc, 0x100, v2
	v_addc_co_u32_e32 v3, vcc, 0, v3, vcc
	v_cmp_le_i64_e32 vcc, s[10:11], v[2:3]
	ds_write2_b32 v4, v5, v5 offset1:1
	s_or_b64 s[0:1], vcc, s[0:1]
	v_add_u32_e32 v4, 0x800, v4
	s_andn2_b64 exec, exec, s[0:1]
	s_cbranch_execnz .LBB27_85
.LBB27_86:
	s_or_b64 exec, exec, s[8:9]
	s_sub_u32 s4, s26, s10
	v_pk_mov_b32 v[2:3], s[10:11], s[10:11] op_sel:[0,1]
	s_subb_u32 s5, s27, s11
	v_cmp_ge_i64_e32 vcc, s[26:27], v[2:3]
	s_and_b64 s[0:1], vcc, exec
	s_cselect_b32 s5, s5, 0
	s_cselect_b32 s4, s4, 0
	s_waitcnt lgkmcnt(0)
	s_barrier
	s_and_saveexec_b64 s[0:1], s[2:3]
	s_xor_b64 s[6:7], exec, s[0:1]
	s_cbranch_execz .LBB27_107
; %bb.87:
	s_lshl_b64 s[0:1], s[26:27], 3
	s_add_u32 s0, s16, s0
	s_addc_u32 s1, s17, s1
	s_load_dwordx2 s[0:1], s[0:1], 0x0
	s_waitcnt lgkmcnt(0)
	s_sub_u32 s8, s0, s12
	s_subb_u32 s9, s1, s13
	v_cmp_gt_i64_e32 vcc, s[8:9], v[0:1]
	s_and_saveexec_b64 s[20:21], vcc
	s_cbranch_execz .LBB27_106
; %bb.88:
	s_add_u32 s40, s26, -1
	s_addc_u32 s41, s27, -1
	s_add_u32 s2, s26, -2
	s_addc_u32 s3, s27, -1
	v_pk_mov_b32 v[2:3], s[24:25], s[24:25] op_sel:[0,1]
	s_cmp_lg_u64 s[2:3], s[24:25]
	v_cmp_gt_i64_e32 vcc, s[40:41], v[2:3]
	s_cselect_b64 s[2:3], -1, 0
	s_and_b64 s[2:3], vcc, s[2:3]
	s_sub_u32 s42, s0, s34
	v_cndmask_b32_e64 v2, 0, 1, s[2:3]
	s_subb_u32 s43, s1, 0
	s_mov_b64 s[44:45], 0
	v_cmp_ne_u32_e64 s[0:1], 1, v2
	v_mov_b32_e32 v14, s17
	v_mov_b32_e32 v15, s33
	;; [unrolled: 1-line block ×4, first 2 shown]
	s_mov_b64 s[46:47], 0
	s_branch .LBB27_91
.LBB27_89:                              ;   in Loop: Header=BB27_91 Depth=1
	s_or_b64 exec, exec, s[2:3]
.LBB27_90:                              ;   in Loop: Header=BB27_91 Depth=1
	s_or_b64 exec, exec, s[48:49]
	v_lshlrev_b64 v[2:3], 3, v[2:3]
	v_mov_b32_e32 v8, s23
	v_add_co_u32_e32 v2, vcc, s22, v2
	v_addc_co_u32_e32 v3, vcc, v8, v3, vcc
	global_load_dwordx2 v[2:3], v[2:3], off
	s_add_u32 s46, s46, 0x100
	s_addc_u32 s47, s47, 0
	v_mov_b32_e32 v9, s47
	v_add_co_u32_e32 v8, vcc, s46, v0
	v_addc_co_u32_e32 v9, vcc, 0, v9, vcc
	v_cmp_le_i64_e32 vcc, s[8:9], v[8:9]
	v_lshlrev_b32_e32 v10, 3, v18
	s_or_b64 s[44:45], vcc, s[44:45]
	s_waitcnt vmcnt(0) lgkmcnt(0)
	v_pk_mul_f32 v[8:9], v[2:3], v[4:5] op_sel:[1,1] op_sel_hi:[1,0] neg_lo:[0,1]
	v_pk_fma_f32 v[2:3], v[4:5], v[2:3], v[8:9] op_sel_hi:[1,0,1]
	ds_write_b64 v10, v[2:3]
	s_andn2_b64 exec, exec, s[44:45]
	s_cbranch_execz .LBB27_106
.LBB27_91:                              ; =>This Loop Header: Depth=1
                                        ;     Child Loop BB27_93 Depth 2
                                        ;     Child Loop BB27_100 Depth 2
	;; [unrolled: 1-line block ×3, first 2 shown]
	v_mov_b32_e32 v2, s47
	v_add_co_u32_e32 v4, vcc, s46, v6
	v_addc_co_u32_e32 v5, vcc, v2, v7, vcc
	s_and_b64 vcc, exec, s[0:1]
	v_pk_mov_b32 v[8:9], s[24:25], s[24:25] op_sel:[0,1]
	v_pk_mov_b32 v[10:11], s[40:41], s[40:41] op_sel:[0,1]
	s_cbranch_vccnz .LBB27_95
; %bb.92:                               ;   in Loop: Header=BB27_91 Depth=1
	s_mov_b64 s[48:49], 0
	v_pk_mov_b32 v[8:9], s[24:25], s[24:25] op_sel:[0,1]
	v_pk_mov_b32 v[10:11], s[40:41], s[40:41] op_sel:[0,1]
.LBB27_93:                              ;   Parent Loop BB27_91 Depth=1
                                        ; =>  This Inner Loop Header: Depth=2
	v_add_co_u32_e32 v2, vcc, v10, v8
	v_addc_co_u32_e32 v3, vcc, v11, v9, vcc
	v_lshrrev_b32_e32 v12, 31, v3
	v_add_co_u32_e32 v2, vcc, v2, v12
	v_addc_co_u32_e32 v3, vcc, 0, v3, vcc
	v_ashrrev_i64 v[2:3], 1, v[2:3]
	v_lshlrev_b64 v[12:13], 3, v[2:3]
	v_mov_b32_e32 v18, s17
	v_add_co_u32_e32 v12, vcc, s16, v12
	v_addc_co_u32_e32 v13, vcc, v18, v13, vcc
	global_load_dwordx2 v[12:13], v[12:13], off
	v_mov_b32_e32 v18, s33
	s_waitcnt vmcnt(0)
	v_subrev_co_u32_e32 v12, vcc, s34, v12
	v_subb_co_u32_e32 v13, vcc, v13, v18, vcc
	v_cmp_gt_i64_e32 vcc, v[12:13], v[4:5]
	v_cndmask_b32_e32 v10, v10, v2, vcc
	v_cndmask_b32_e32 v11, v11, v3, vcc
	;; [unrolled: 1-line block ×3, first 2 shown]
	v_add_co_u32_e64 v2, s[2:3], -1, v10
	v_cndmask_b32_e32 v9, v3, v9, vcc
	v_addc_co_u32_e64 v3, s[2:3], -1, v11, s[2:3]
	v_cmp_ge_i64_e32 vcc, v[8:9], v[10:11]
	v_cmp_eq_u64_e64 s[2:3], v[8:9], v[2:3]
	s_or_b64 s[2:3], vcc, s[2:3]
	s_and_b64 s[2:3], exec, s[2:3]
	s_or_b64 s[48:49], s[2:3], s[48:49]
	s_andn2_b64 exec, exec, s[48:49]
	s_cbranch_execnz .LBB27_93
; %bb.94:                               ;   in Loop: Header=BB27_91 Depth=1
	s_or_b64 exec, exec, s[48:49]
.LBB27_95:                              ;   in Loop: Header=BB27_91 Depth=1
	v_lshlrev_b64 v[2:3], 3, v[10:11]
	v_add_co_u32_e32 v2, vcc, s16, v2
	v_addc_co_u32_e32 v3, vcc, v14, v3, vcc
	v_lshlrev_b64 v[12:13], 2, v[4:5]
	global_load_dwordx2 v[2:3], v[2:3], off
	v_add_co_u32_e32 v12, vcc, s18, v12
	v_addc_co_u32_e32 v13, vcc, v16, v13, vcc
	global_load_dword v19, v[12:13], off
	v_add_co_u32_e32 v18, vcc, s46, v0
	v_cmp_le_i64_e32 vcc, s[42:43], v[4:5]
	s_waitcnt vmcnt(1)
	v_subrev_co_u32_e64 v12, s[2:3], s34, v2
	v_subb_co_u32_e64 v13, s[2:3], v3, v15, s[2:3]
	v_cmp_gt_i64_e64 s[2:3], v[12:13], v[4:5]
	s_waitcnt vmcnt(0)
	v_subrev_u32_e32 v2, s34, v19
	v_cndmask_b32_e64 v9, v11, v9, s[2:3]
	v_ashrrev_i32_e32 v3, 31, v2
	v_cndmask_b32_e64 v8, v10, v8, s[2:3]
	v_cmp_eq_u64_e64 s[2:3], v[8:9], v[2:3]
	s_or_b64 s[2:3], s[2:3], vcc
	v_lshlrev_b32_e32 v12, 3, v18
                                        ; implicit-def: $vgpr4_vgpr5
	s_and_saveexec_b64 s[48:49], s[2:3]
	s_xor_b64 s[2:3], exec, s[48:49]
	s_cbranch_execz .LBB27_97
; %bb.96:                               ;   in Loop: Header=BB27_91 Depth=1
	ds_read_b64 v[4:5], v12
                                        ; implicit-def: $vgpr12
                                        ; implicit-def: $vgpr8_vgpr9
.LBB27_97:                              ;   in Loop: Header=BB27_91 Depth=1
	s_andn2_saveexec_b64 s[48:49], s[2:3]
	s_cbranch_execz .LBB27_90
; %bb.98:                               ;   in Loop: Header=BB27_91 Depth=1
	v_cmp_gt_i64_e32 vcc, s[4:5], v[2:3]
	v_cmp_le_i64_e64 s[2:3], s[26:27], v[2:3]
	s_or_b64 s[2:3], vcc, s[2:3]
	v_lshlrev_b64 v[8:9], 3, v[8:9]
                                        ; implicit-def: $vgpr4_vgpr5
	s_and_saveexec_b64 s[50:51], s[2:3]
	s_xor_b64 s[2:3], exec, s[50:51]
	s_cbranch_execz .LBB27_104
; %bb.99:                               ;   in Loop: Header=BB27_91 Depth=1
	v_mov_b32_e32 v10, s23
	v_add_co_u32_e32 v8, vcc, s22, v8
	s_waitcnt lgkmcnt(0)
	v_lshlrev_b64 v[4:5], 3, v[2:3]
	v_addc_co_u32_e32 v9, vcc, v10, v9, vcc
	v_mov_b32_e32 v13, s29
	global_load_dwordx2 v[10:11], v[8:9], off
	v_add_co_u32_e32 v8, vcc, s28, v4
	v_addc_co_u32_e32 v9, vcc, v13, v5, vcc
	global_load_dword v13, v[8:9], off
	ds_read_b64 v[4:5], v12
	s_mov_b64 s[50:51], 0
	s_waitcnt vmcnt(1) lgkmcnt(0)
	v_mul_f32_e64 v19, v11, -v5
	v_fmac_f32_e32 v19, v4, v10
.LBB27_100:                             ;   Parent Loop BB27_91 Depth=1
                                        ; =>  This Inner Loop Header: Depth=2
	s_waitcnt vmcnt(0)
	v_add_f32_e32 v12, v13, v19
	global_atomic_cmpswap v12, v[8:9], v[12:13], off glc
	s_waitcnt vmcnt(0)
	v_cmp_eq_u32_e32 vcc, v12, v13
	s_or_b64 s[50:51], vcc, s[50:51]
	v_mov_b32_e32 v13, v12
	s_andn2_b64 exec, exec, s[50:51]
	s_cbranch_execnz .LBB27_100
; %bb.101:                              ;   in Loop: Header=BB27_91 Depth=1
	s_or_b64 exec, exec, s[50:51]
	global_load_dword v13, v[8:9], off offset:4
	v_mul_f32_e32 v11, v11, v4
	v_fmac_f32_e32 v11, v5, v10
	s_mov_b64 s[50:51], 0
.LBB27_102:                             ;   Parent Loop BB27_91 Depth=1
                                        ; =>  This Inner Loop Header: Depth=2
	s_waitcnt vmcnt(0)
	v_add_f32_e32 v12, v13, v11
	global_atomic_cmpswap v10, v[8:9], v[12:13], off offset:4 glc
	s_waitcnt vmcnt(0)
	v_cmp_eq_u32_e32 vcc, v10, v13
	s_or_b64 s[50:51], vcc, s[50:51]
	v_mov_b32_e32 v13, v10
	s_andn2_b64 exec, exec, s[50:51]
	s_cbranch_execnz .LBB27_102
; %bb.103:                              ;   in Loop: Header=BB27_91 Depth=1
	s_or_b64 exec, exec, s[50:51]
                                        ; implicit-def: $vgpr8_vgpr9
                                        ; implicit-def: $vgpr12
.LBB27_104:                             ;   in Loop: Header=BB27_91 Depth=1
	s_andn2_saveexec_b64 s[2:3], s[2:3]
	s_cbranch_execz .LBB27_89
; %bb.105:                              ;   in Loop: Header=BB27_91 Depth=1
	s_waitcnt lgkmcnt(0)
	v_mov_b32_e32 v5, s23
	v_add_co_u32_e32 v4, vcc, s22, v8
	v_addc_co_u32_e32 v5, vcc, v5, v9, vcc
	global_load_dwordx2 v[8:9], v[4:5], off
	ds_read_b64 v[4:5], v12
	v_subrev_u32_e32 v10, s4, v2
	v_lshl_add_u32 v10, v10, 3, v17
	s_waitcnt vmcnt(0) lgkmcnt(0)
	v_mul_f32_e64 v11, v9, -v5
	v_mul_f32_e32 v9, v9, v4
	v_fmac_f32_e32 v11, v4, v8
	v_fmac_f32_e32 v9, v5, v8
	ds_add_f32 v10, v11
	ds_add_f32 v10, v9 offset:4
	s_branch .LBB27_89
.LBB27_106:
	s_or_b64 exec, exec, s[20:21]
                                        ; implicit-def: $vgpr8_vgpr9
                                        ; implicit-def: $vgpr6
.LBB27_107:
	s_andn2_saveexec_b64 s[6:7], s[6:7]
	s_cbranch_execz .LBB27_165
; %bb.108:
	s_add_u32 s8, s26, -1
	s_addc_u32 s9, s27, -1
	s_add_u32 s0, s26, -2
	s_addc_u32 s1, s27, -1
	v_pk_mov_b32 v[10:11], s[24:25], s[24:25] op_sel:[0,1]
	s_cmp_eq_u64 s[0:1], s[24:25]
	v_cmp_le_i64_e32 vcc, s[8:9], v[10:11]
	s_cselect_b64 s[0:1], -1, 0
	s_or_b64 s[2:3], vcc, s[0:1]
	s_and_b64 vcc, exec, s[2:3]
	v_pk_mov_b32 v[12:13], s[8:9], s[8:9] op_sel:[0,1]
	s_cbranch_vccnz .LBB27_112
; %bb.109:
	s_mov_b64 s[20:21], 0
	v_pk_mov_b32 v[10:11], s[24:25], s[24:25] op_sel:[0,1]
	v_pk_mov_b32 v[12:13], s[8:9], s[8:9] op_sel:[0,1]
	v_mov_b32_e32 v2, s17
	v_mov_b32_e32 v3, s33
.LBB27_110:                             ; =>This Inner Loop Header: Depth=1
	v_add_co_u32_e32 v4, vcc, v12, v10
	v_addc_co_u32_e32 v5, vcc, v13, v11, vcc
	v_lshrrev_b32_e32 v14, 31, v5
	v_add_co_u32_e32 v4, vcc, v4, v14
	v_addc_co_u32_e32 v5, vcc, 0, v5, vcc
	v_ashrrev_i64 v[4:5], 1, v[4:5]
	v_lshlrev_b64 v[14:15], 3, v[4:5]
	v_add_co_u32_e32 v14, vcc, s16, v14
	v_addc_co_u32_e32 v15, vcc, v2, v15, vcc
	global_load_dwordx2 v[14:15], v[14:15], off
	s_waitcnt vmcnt(0)
	v_subrev_co_u32_e32 v14, vcc, s34, v14
	v_subb_co_u32_e32 v15, vcc, v15, v3, vcc
	v_cmp_gt_i64_e32 vcc, v[14:15], v[6:7]
	v_cndmask_b32_e32 v12, v12, v4, vcc
	v_cndmask_b32_e32 v13, v13, v5, vcc
	;; [unrolled: 1-line block ×3, first 2 shown]
	v_add_co_u32_e64 v4, s[0:1], -1, v12
	v_cndmask_b32_e32 v11, v5, v11, vcc
	v_addc_co_u32_e64 v5, s[0:1], -1, v13, s[0:1]
	v_cmp_ge_i64_e32 vcc, v[10:11], v[12:13]
	v_cmp_eq_u64_e64 s[0:1], v[10:11], v[4:5]
	s_or_b64 s[0:1], vcc, s[0:1]
	s_and_b64 s[0:1], exec, s[0:1]
	s_or_b64 s[20:21], s[0:1], s[20:21]
	s_andn2_b64 exec, exec, s[20:21]
	s_cbranch_execnz .LBB27_110
; %bb.111:
	s_or_b64 exec, exec, s[20:21]
.LBB27_112:
	v_lshlrev_b64 v[2:3], 3, v[12:13]
	v_mov_b32_e32 v4, s17
	v_add_co_u32_e32 v2, vcc, s16, v2
	v_addc_co_u32_e32 v3, vcc, v4, v3, vcc
	global_load_dwordx2 v[4:5], v[2:3], off
	v_lshlrev_b64 v[2:3], 2, v[6:7]
	v_mov_b32_e32 v14, s19
	v_add_co_u32_e32 v2, vcc, s18, v2
	v_addc_co_u32_e32 v3, vcc, v14, v3, vcc
	global_load_dword v16, v[2:3], off
	v_mov_b32_e32 v15, s33
	s_xor_b64 s[2:3], s[2:3], -1
	s_lshl_b64 s[0:1], s[26:27], 3
	s_add_u32 s18, s16, s0
	s_addc_u32 s19, s17, s1
	s_waitcnt vmcnt(1)
	v_subrev_co_u32_e32 v14, vcc, s34, v4
	v_subb_co_u32_e32 v15, vcc, v5, v15, vcc
	v_cmp_gt_i64_e32 vcc, v[14:15], v[6:7]
	v_cndmask_b32_e32 v11, v13, v11, vcc
	v_cndmask_b32_e32 v10, v12, v10, vcc
	s_waitcnt vmcnt(0)
	v_subrev_u32_e32 v4, s34, v16
	v_ashrrev_i32_e32 v5, 31, v4
	v_cmp_ne_u64_e32 vcc, v[10:11], v[4:5]
	s_and_saveexec_b64 s[20:21], vcc
	s_cbranch_execz .LBB27_122
; %bb.113:
	s_load_dwordx2 s[0:1], s[18:19], 0x0
	s_waitcnt lgkmcnt(0)
	s_sub_u32 s0, s0, s34
	s_subb_u32 s1, s1, 0
	v_cmp_gt_i64_e32 vcc, s[0:1], v[6:7]
	s_and_b64 exec, exec, vcc
	s_cbranch_execz .LBB27_122
; %bb.114:
	v_cmp_gt_i64_e32 vcc, s[4:5], v[4:5]
	v_cmp_le_i64_e64 s[0:1], s[26:27], v[4:5]
	s_or_b64 s[0:1], vcc, s[0:1]
	v_lshlrev_b64 v[10:11], 3, v[10:11]
	s_and_saveexec_b64 s[40:41], s[0:1]
	s_xor_b64 s[0:1], exec, s[40:41]
	s_cbranch_execz .LBB27_120
; %bb.115:
	v_mov_b32_e32 v12, s23
	v_add_co_u32_e32 v10, vcc, s22, v10
	v_lshlrev_b64 v[14:15], 3, v[4:5]
	v_addc_co_u32_e32 v11, vcc, v12, v11, vcc
	v_mov_b32_e32 v16, s29
	global_load_dwordx2 v[12:13], v[10:11], off
	v_add_co_u32_e32 v10, vcc, s28, v14
	v_addc_co_u32_e32 v11, vcc, v16, v15, vcc
	global_load_dword v17, v[10:11], off
	ds_read_b64 v[14:15], v24
	s_mov_b64 s[40:41], 0
	s_waitcnt vmcnt(1) lgkmcnt(0)
	v_mul_f32_e64 v18, v13, -v15
	v_fmac_f32_e32 v18, v14, v12
.LBB27_116:                             ; =>This Inner Loop Header: Depth=1
	s_waitcnt vmcnt(0)
	v_add_f32_e32 v16, v17, v18
	global_atomic_cmpswap v16, v[10:11], v[16:17], off glc
	s_waitcnt vmcnt(0)
	v_cmp_eq_u32_e32 vcc, v16, v17
	s_or_b64 s[40:41], vcc, s[40:41]
	v_mov_b32_e32 v17, v16
	s_andn2_b64 exec, exec, s[40:41]
	s_cbranch_execnz .LBB27_116
; %bb.117:
	s_or_b64 exec, exec, s[40:41]
	global_load_dword v17, v[10:11], off offset:4
	v_mul_f32_e32 v13, v13, v14
	v_fmac_f32_e32 v13, v15, v12
	s_mov_b64 s[40:41], 0
.LBB27_118:                             ; =>This Inner Loop Header: Depth=1
	s_waitcnt vmcnt(0)
	v_add_f32_e32 v16, v17, v13
	global_atomic_cmpswap v12, v[10:11], v[16:17], off offset:4 glc
	s_waitcnt vmcnt(0)
	v_cmp_eq_u32_e32 vcc, v12, v17
	s_or_b64 s[40:41], vcc, s[40:41]
	v_mov_b32_e32 v17, v12
	s_andn2_b64 exec, exec, s[40:41]
	s_cbranch_execnz .LBB27_118
; %bb.119:
	s_or_b64 exec, exec, s[40:41]
                                        ; implicit-def: $vgpr10_vgpr11
.LBB27_120:
	s_andn2_saveexec_b64 s[0:1], s[0:1]
	s_cbranch_execz .LBB27_122
; %bb.121:
	v_mov_b32_e32 v12, s23
	v_add_co_u32_e32 v10, vcc, s22, v10
	v_addc_co_u32_e32 v11, vcc, v12, v11, vcc
	global_load_dwordx2 v[10:11], v[10:11], off
	ds_read_b64 v[12:13], v24
	v_subrev_u32_e32 v14, s4, v4
	v_mov_b32_e32 v15, 0x2000
	v_lshl_add_u32 v14, v14, 3, v15
	s_waitcnt vmcnt(0) lgkmcnt(0)
	v_mul_f32_e64 v15, v11, -v13
	v_mul_f32_e32 v11, v11, v12
	v_fmac_f32_e32 v15, v12, v10
	v_fmac_f32_e32 v11, v13, v10
	ds_add_f32 v14, v15
	ds_add_f32 v14, v11 offset:4
.LBB27_122:
	s_or_b64 exec, exec, s[20:21]
	v_lshlrev_b64 v[4:5], 3, v[4:5]
	v_mov_b32_e32 v10, s23
	v_add_co_u32_e32 v4, vcc, s22, v4
	v_addc_co_u32_e32 v5, vcc, v10, v5, vcc
	global_load_dwordx2 v[4:5], v[4:5], off
	ds_read_b64 v[14:15], v24
	v_add_co_u32_e32 v10, vcc, 0x100, v6
	v_cndmask_b32_e64 v16, 0, 1, s[2:3]
	v_addc_co_u32_e32 v11, vcc, 0, v7, vcc
	v_cmp_ne_u32_e64 s[0:1], 1, v16
	v_pk_mov_b32 v[12:13], s[24:25], s[24:25] op_sel:[0,1]
	s_andn2_b64 vcc, exec, s[2:3]
	s_waitcnt vmcnt(0) lgkmcnt(0)
	v_pk_mul_f32 v[16:17], v[4:5], v[14:15] op_sel:[1,1] op_sel_hi:[1,0] neg_lo:[0,1]
	v_pk_fma_f32 v[4:5], v[14:15], v[4:5], v[16:17] op_sel_hi:[1,0,1]
	v_pk_mov_b32 v[14:15], s[8:9], s[8:9] op_sel:[0,1]
	ds_write_b64 v24, v[4:5]
	s_cbranch_vccnz .LBB27_126
; %bb.123:
	s_mov_b64 s[20:21], 0
	v_pk_mov_b32 v[12:13], s[24:25], s[24:25] op_sel:[0,1]
	v_pk_mov_b32 v[14:15], s[8:9], s[8:9] op_sel:[0,1]
	v_mov_b32_e32 v4, s17
	v_mov_b32_e32 v5, s33
.LBB27_124:                             ; =>This Inner Loop Header: Depth=1
	v_add_co_u32_e32 v16, vcc, v14, v12
	v_addc_co_u32_e32 v17, vcc, v15, v13, vcc
	v_lshrrev_b32_e32 v18, 31, v17
	v_add_co_u32_e32 v16, vcc, v16, v18
	v_addc_co_u32_e32 v17, vcc, 0, v17, vcc
	v_ashrrev_i64 v[16:17], 1, v[16:17]
	v_lshlrev_b64 v[18:19], 3, v[16:17]
	v_add_co_u32_e32 v18, vcc, s16, v18
	v_addc_co_u32_e32 v19, vcc, v4, v19, vcc
	global_load_dwordx2 v[18:19], v[18:19], off
	s_waitcnt vmcnt(0)
	v_subrev_co_u32_e32 v18, vcc, s34, v18
	v_subb_co_u32_e32 v19, vcc, v19, v5, vcc
	v_cmp_gt_i64_e32 vcc, v[18:19], v[10:11]
	v_cndmask_b32_e32 v14, v14, v16, vcc
	v_cndmask_b32_e32 v15, v15, v17, vcc
	;; [unrolled: 1-line block ×3, first 2 shown]
	v_add_co_u32_e64 v16, s[2:3], -1, v14
	v_cndmask_b32_e32 v13, v17, v13, vcc
	v_addc_co_u32_e64 v17, s[2:3], -1, v15, s[2:3]
	v_cmp_ge_i64_e32 vcc, v[12:13], v[14:15]
	v_cmp_eq_u64_e64 s[2:3], v[12:13], v[16:17]
	s_or_b64 s[2:3], vcc, s[2:3]
	s_and_b64 s[2:3], exec, s[2:3]
	s_or_b64 s[20:21], s[2:3], s[20:21]
	s_andn2_b64 exec, exec, s[20:21]
	s_cbranch_execnz .LBB27_124
; %bb.125:
	s_or_b64 exec, exec, s[20:21]
.LBB27_126:
	v_lshlrev_b64 v[4:5], 3, v[14:15]
	v_mov_b32_e32 v16, s17
	v_add_co_u32_e32 v4, vcc, s16, v4
	v_addc_co_u32_e32 v5, vcc, v16, v5, vcc
	global_load_dwordx2 v[16:17], v[4:5], off
	global_load_dword v18, v[2:3], off offset:1024
	v_mov_b32_e32 v5, s33
	s_waitcnt vmcnt(1)
	v_subrev_co_u32_e32 v16, vcc, s34, v16
	v_subb_co_u32_e32 v17, vcc, v17, v5, vcc
	s_waitcnt vmcnt(0)
	v_subrev_u32_e32 v4, s34, v18
	v_cmp_gt_i64_e32 vcc, v[16:17], v[10:11]
	v_cndmask_b32_e32 v13, v15, v13, vcc
	v_cndmask_b32_e32 v12, v14, v12, vcc
	v_ashrrev_i32_e32 v5, 31, v4
	v_cmp_ne_u64_e32 vcc, v[12:13], v[4:5]
	s_and_saveexec_b64 s[20:21], vcc
	s_cbranch_execz .LBB27_136
; %bb.127:
	s_load_dwordx2 s[2:3], s[18:19], 0x0
	s_waitcnt lgkmcnt(0)
	s_sub_u32 s2, s2, s34
	s_subb_u32 s3, s3, 0
	v_cmp_gt_i64_e32 vcc, s[2:3], v[10:11]
	s_and_b64 exec, exec, vcc
	s_cbranch_execz .LBB27_136
; %bb.128:
	v_cmp_gt_i64_e32 vcc, s[4:5], v[4:5]
	v_cmp_le_i64_e64 s[2:3], s[26:27], v[4:5]
	s_or_b64 s[2:3], vcc, s[2:3]
	v_lshlrev_b64 v[10:11], 3, v[12:13]
	s_and_saveexec_b64 s[40:41], s[2:3]
	s_xor_b64 s[2:3], exec, s[40:41]
	s_cbranch_execz .LBB27_134
; %bb.129:
	v_mov_b32_e32 v12, s23
	v_add_co_u32_e32 v10, vcc, s22, v10
	v_lshlrev_b64 v[14:15], 3, v[4:5]
	v_addc_co_u32_e32 v11, vcc, v12, v11, vcc
	v_mov_b32_e32 v16, s29
	global_load_dwordx2 v[12:13], v[10:11], off
	v_add_co_u32_e32 v10, vcc, s28, v14
	v_addc_co_u32_e32 v11, vcc, v16, v15, vcc
	global_load_dword v17, v[10:11], off
	ds_read_b64 v[14:15], v24 offset:2048
	s_mov_b64 s[40:41], 0
	s_waitcnt vmcnt(1) lgkmcnt(0)
	v_mul_f32_e64 v18, v13, -v15
	v_fmac_f32_e32 v18, v14, v12
.LBB27_130:                             ; =>This Inner Loop Header: Depth=1
	s_waitcnt vmcnt(0)
	v_add_f32_e32 v16, v17, v18
	global_atomic_cmpswap v16, v[10:11], v[16:17], off glc
	s_waitcnt vmcnt(0)
	v_cmp_eq_u32_e32 vcc, v16, v17
	s_or_b64 s[40:41], vcc, s[40:41]
	v_mov_b32_e32 v17, v16
	s_andn2_b64 exec, exec, s[40:41]
	s_cbranch_execnz .LBB27_130
; %bb.131:
	s_or_b64 exec, exec, s[40:41]
	global_load_dword v17, v[10:11], off offset:4
	v_mul_f32_e32 v13, v13, v14
	v_fmac_f32_e32 v13, v15, v12
	s_mov_b64 s[40:41], 0
.LBB27_132:                             ; =>This Inner Loop Header: Depth=1
	s_waitcnt vmcnt(0)
	v_add_f32_e32 v16, v17, v13
	global_atomic_cmpswap v12, v[10:11], v[16:17], off offset:4 glc
	s_waitcnt vmcnt(0)
	v_cmp_eq_u32_e32 vcc, v12, v17
	s_or_b64 s[40:41], vcc, s[40:41]
	v_mov_b32_e32 v17, v12
	s_andn2_b64 exec, exec, s[40:41]
	s_cbranch_execnz .LBB27_132
; %bb.133:
	s_or_b64 exec, exec, s[40:41]
                                        ; implicit-def: $vgpr10_vgpr11
.LBB27_134:
	s_andn2_saveexec_b64 s[2:3], s[2:3]
	s_cbranch_execz .LBB27_136
; %bb.135:
	v_mov_b32_e32 v12, s23
	v_add_co_u32_e32 v10, vcc, s22, v10
	v_addc_co_u32_e32 v11, vcc, v12, v11, vcc
	global_load_dwordx2 v[10:11], v[10:11], off
	ds_read_b64 v[12:13], v24 offset:2048
	v_subrev_u32_e32 v14, s4, v4
	v_mov_b32_e32 v15, 0x2000
	v_lshl_add_u32 v14, v14, 3, v15
	s_waitcnt vmcnt(0) lgkmcnt(0)
	v_mul_f32_e64 v15, v11, -v13
	v_mul_f32_e32 v11, v11, v12
	v_fmac_f32_e32 v15, v12, v10
	v_fmac_f32_e32 v11, v13, v10
	ds_add_f32 v14, v15
	ds_add_f32 v14, v11 offset:4
.LBB27_136:
	s_or_b64 exec, exec, s[20:21]
	v_lshlrev_b64 v[4:5], 3, v[4:5]
	v_mov_b32_e32 v10, s23
	v_add_co_u32_e32 v4, vcc, s22, v4
	v_addc_co_u32_e32 v5, vcc, v10, v5, vcc
	global_load_dwordx2 v[4:5], v[4:5], off
	ds_read_b64 v[12:13], v24 offset:2048
	v_add_co_u32_e32 v6, vcc, 0x200, v6
	v_addc_co_u32_e32 v7, vcc, 0, v7, vcc
	v_pk_mov_b32 v[10:11], s[24:25], s[24:25] op_sel:[0,1]
	s_and_b64 vcc, exec, s[0:1]
	s_waitcnt vmcnt(0) lgkmcnt(0)
	v_pk_mul_f32 v[14:15], v[4:5], v[12:13] op_sel:[1,1] op_sel_hi:[1,0] neg_lo:[0,1]
	v_pk_fma_f32 v[4:5], v[12:13], v[4:5], v[14:15] op_sel_hi:[1,0,1]
	v_pk_mov_b32 v[12:13], s[8:9], s[8:9] op_sel:[0,1]
	ds_write_b64 v24, v[4:5] offset:2048
	s_cbranch_vccnz .LBB27_140
; %bb.137:
	s_mov_b64 s[20:21], 0
	v_pk_mov_b32 v[10:11], s[24:25], s[24:25] op_sel:[0,1]
	v_pk_mov_b32 v[12:13], s[8:9], s[8:9] op_sel:[0,1]
	v_mov_b32_e32 v4, s17
	v_mov_b32_e32 v5, s33
.LBB27_138:                             ; =>This Inner Loop Header: Depth=1
	v_add_co_u32_e32 v14, vcc, v12, v10
	v_addc_co_u32_e32 v15, vcc, v13, v11, vcc
	v_lshrrev_b32_e32 v16, 31, v15
	v_add_co_u32_e32 v14, vcc, v14, v16
	v_addc_co_u32_e32 v15, vcc, 0, v15, vcc
	v_ashrrev_i64 v[14:15], 1, v[14:15]
	v_lshlrev_b64 v[16:17], 3, v[14:15]
	v_add_co_u32_e32 v16, vcc, s16, v16
	v_addc_co_u32_e32 v17, vcc, v4, v17, vcc
	global_load_dwordx2 v[16:17], v[16:17], off
	s_waitcnt vmcnt(0)
	v_subrev_co_u32_e32 v16, vcc, s34, v16
	v_subb_co_u32_e32 v17, vcc, v17, v5, vcc
	v_cmp_gt_i64_e32 vcc, v[16:17], v[6:7]
	v_cndmask_b32_e32 v12, v12, v14, vcc
	v_cndmask_b32_e32 v13, v13, v15, vcc
	v_cndmask_b32_e32 v10, v14, v10, vcc
	v_add_co_u32_e64 v14, s[2:3], -1, v12
	v_cndmask_b32_e32 v11, v15, v11, vcc
	v_addc_co_u32_e64 v15, s[2:3], -1, v13, s[2:3]
	v_cmp_ge_i64_e32 vcc, v[10:11], v[12:13]
	v_cmp_eq_u64_e64 s[2:3], v[10:11], v[14:15]
	s_or_b64 s[2:3], vcc, s[2:3]
	s_and_b64 s[2:3], exec, s[2:3]
	s_or_b64 s[20:21], s[2:3], s[20:21]
	s_andn2_b64 exec, exec, s[20:21]
	s_cbranch_execnz .LBB27_138
; %bb.139:
	s_or_b64 exec, exec, s[20:21]
.LBB27_140:
	v_lshlrev_b64 v[4:5], 3, v[12:13]
	v_mov_b32_e32 v14, s17
	v_add_co_u32_e32 v4, vcc, s16, v4
	v_addc_co_u32_e32 v5, vcc, v14, v5, vcc
	global_load_dwordx2 v[14:15], v[4:5], off
	global_load_dword v16, v[2:3], off offset:2048
	v_mov_b32_e32 v5, s33
	s_waitcnt vmcnt(1)
	v_subrev_co_u32_e32 v14, vcc, s34, v14
	v_subb_co_u32_e32 v15, vcc, v15, v5, vcc
	s_waitcnt vmcnt(0)
	v_subrev_u32_e32 v4, s34, v16
	v_cmp_gt_i64_e32 vcc, v[14:15], v[6:7]
	v_cndmask_b32_e32 v11, v13, v11, vcc
	v_cndmask_b32_e32 v10, v12, v10, vcc
	v_ashrrev_i32_e32 v5, 31, v4
	v_cmp_ne_u64_e32 vcc, v[10:11], v[4:5]
	s_and_saveexec_b64 s[20:21], vcc
	s_cbranch_execz .LBB27_150
; %bb.141:
	s_load_dwordx2 s[2:3], s[18:19], 0x0
	s_waitcnt lgkmcnt(0)
	s_sub_u32 s2, s2, s34
	s_subb_u32 s3, s3, 0
	v_cmp_gt_i64_e32 vcc, s[2:3], v[6:7]
	s_and_b64 exec, exec, vcc
	s_cbranch_execz .LBB27_150
; %bb.142:
	v_cmp_gt_i64_e32 vcc, s[4:5], v[4:5]
	v_cmp_le_i64_e64 s[2:3], s[26:27], v[4:5]
	s_or_b64 s[2:3], vcc, s[2:3]
	v_lshlrev_b64 v[6:7], 3, v[10:11]
	s_and_saveexec_b64 s[40:41], s[2:3]
	s_xor_b64 s[2:3], exec, s[40:41]
	s_cbranch_execz .LBB27_148
; %bb.143:
	v_mov_b32_e32 v10, s23
	v_add_co_u32_e32 v6, vcc, s22, v6
	v_lshlrev_b64 v[12:13], 3, v[4:5]
	v_addc_co_u32_e32 v7, vcc, v10, v7, vcc
	v_mov_b32_e32 v14, s29
	global_load_dwordx2 v[10:11], v[6:7], off
	v_add_co_u32_e32 v6, vcc, s28, v12
	v_addc_co_u32_e32 v7, vcc, v14, v13, vcc
	global_load_dword v15, v[6:7], off
	ds_read_b64 v[12:13], v24 offset:4096
	s_mov_b64 s[40:41], 0
	s_waitcnt vmcnt(1) lgkmcnt(0)
	v_mul_f32_e64 v16, v11, -v13
	v_fmac_f32_e32 v16, v12, v10
.LBB27_144:                             ; =>This Inner Loop Header: Depth=1
	s_waitcnt vmcnt(0)
	v_add_f32_e32 v14, v15, v16
	global_atomic_cmpswap v14, v[6:7], v[14:15], off glc
	s_waitcnt vmcnt(0)
	v_cmp_eq_u32_e32 vcc, v14, v15
	s_or_b64 s[40:41], vcc, s[40:41]
	v_mov_b32_e32 v15, v14
	s_andn2_b64 exec, exec, s[40:41]
	s_cbranch_execnz .LBB27_144
; %bb.145:
	s_or_b64 exec, exec, s[40:41]
	global_load_dword v15, v[6:7], off offset:4
	v_mul_f32_e32 v11, v11, v12
	v_fmac_f32_e32 v11, v13, v10
	s_mov_b64 s[40:41], 0
.LBB27_146:                             ; =>This Inner Loop Header: Depth=1
	s_waitcnt vmcnt(0)
	v_add_f32_e32 v14, v15, v11
	global_atomic_cmpswap v10, v[6:7], v[14:15], off offset:4 glc
	s_waitcnt vmcnt(0)
	v_cmp_eq_u32_e32 vcc, v10, v15
	s_or_b64 s[40:41], vcc, s[40:41]
	v_mov_b32_e32 v15, v10
	s_andn2_b64 exec, exec, s[40:41]
	s_cbranch_execnz .LBB27_146
; %bb.147:
	s_or_b64 exec, exec, s[40:41]
                                        ; implicit-def: $vgpr6_vgpr7
.LBB27_148:
	s_andn2_saveexec_b64 s[2:3], s[2:3]
	s_cbranch_execz .LBB27_150
; %bb.149:
	v_mov_b32_e32 v10, s23
	v_add_co_u32_e32 v6, vcc, s22, v6
	v_addc_co_u32_e32 v7, vcc, v10, v7, vcc
	global_load_dwordx2 v[6:7], v[6:7], off
	ds_read_b64 v[10:11], v24 offset:4096
	v_subrev_u32_e32 v12, s4, v4
	v_mov_b32_e32 v13, 0x2000
	v_lshl_add_u32 v12, v12, 3, v13
	s_waitcnt vmcnt(0) lgkmcnt(0)
	v_mul_f32_e64 v13, v7, -v11
	v_mul_f32_e32 v7, v7, v10
	v_fmac_f32_e32 v13, v10, v6
	v_fmac_f32_e32 v7, v11, v6
	ds_add_f32 v12, v13
	ds_add_f32 v12, v7 offset:4
.LBB27_150:
	s_or_b64 exec, exec, s[20:21]
	v_lshlrev_b64 v[4:5], 3, v[4:5]
	v_mov_b32_e32 v6, s23
	v_add_co_u32_e32 v4, vcc, s22, v4
	v_addc_co_u32_e32 v5, vcc, v6, v5, vcc
	global_load_dwordx2 v[6:7], v[4:5], off
	ds_read_b64 v[10:11], v24 offset:4096
	s_and_b64 vcc, exec, s[0:1]
	v_pk_mov_b32 v[4:5], s[24:25], s[24:25] op_sel:[0,1]
	s_waitcnt vmcnt(0) lgkmcnt(0)
	v_pk_mul_f32 v[12:13], v[6:7], v[10:11] op_sel:[1,1] op_sel_hi:[1,0] neg_lo:[0,1]
	v_pk_fma_f32 v[6:7], v[10:11], v[6:7], v[12:13] op_sel_hi:[1,0,1]
	ds_write_b64 v24, v[6:7] offset:4096
	v_pk_mov_b32 v[6:7], s[8:9], s[8:9] op_sel:[0,1]
	s_cbranch_vccnz .LBB27_154
; %bb.151:
	s_mov_b64 s[2:3], 0
	v_pk_mov_b32 v[4:5], s[24:25], s[24:25] op_sel:[0,1]
	v_pk_mov_b32 v[6:7], s[8:9], s[8:9] op_sel:[0,1]
	v_mov_b32_e32 v10, s17
	v_mov_b32_e32 v11, s33
.LBB27_152:                             ; =>This Inner Loop Header: Depth=1
	v_add_co_u32_e32 v12, vcc, v6, v4
	v_addc_co_u32_e32 v13, vcc, v7, v5, vcc
	v_lshrrev_b32_e32 v14, 31, v13
	v_add_co_u32_e32 v12, vcc, v12, v14
	v_addc_co_u32_e32 v13, vcc, 0, v13, vcc
	v_ashrrev_i64 v[12:13], 1, v[12:13]
	v_lshlrev_b64 v[14:15], 3, v[12:13]
	v_add_co_u32_e32 v14, vcc, s16, v14
	v_addc_co_u32_e32 v15, vcc, v10, v15, vcc
	global_load_dwordx2 v[14:15], v[14:15], off
	s_waitcnt vmcnt(0)
	v_subrev_co_u32_e32 v14, vcc, s34, v14
	v_subb_co_u32_e32 v15, vcc, v15, v11, vcc
	v_cmp_gt_i64_e32 vcc, v[14:15], v[8:9]
	v_cndmask_b32_e32 v6, v6, v12, vcc
	v_cndmask_b32_e32 v7, v7, v13, vcc
	;; [unrolled: 1-line block ×3, first 2 shown]
	v_add_co_u32_e64 v12, s[0:1], -1, v6
	v_cndmask_b32_e32 v5, v13, v5, vcc
	v_addc_co_u32_e64 v13, s[0:1], -1, v7, s[0:1]
	v_cmp_ge_i64_e32 vcc, v[4:5], v[6:7]
	v_cmp_eq_u64_e64 s[0:1], v[4:5], v[12:13]
	s_or_b64 s[0:1], vcc, s[0:1]
	s_and_b64 s[0:1], exec, s[0:1]
	s_or_b64 s[2:3], s[0:1], s[2:3]
	s_andn2_b64 exec, exec, s[2:3]
	s_cbranch_execnz .LBB27_152
; %bb.153:
	s_or_b64 exec, exec, s[2:3]
.LBB27_154:
	v_lshlrev_b64 v[10:11], 3, v[6:7]
	v_mov_b32_e32 v12, s17
	global_load_dword v13, v[2:3], off offset:3072
	v_add_co_u32_e32 v2, vcc, s16, v10
	v_addc_co_u32_e32 v3, vcc, v12, v11, vcc
	global_load_dwordx2 v[10:11], v[2:3], off
	v_mov_b32_e32 v3, s33
	s_waitcnt vmcnt(1)
	v_subrev_u32_e32 v2, s34, v13
	s_waitcnt vmcnt(0)
	v_subrev_co_u32_e32 v10, vcc, s34, v10
	v_subb_co_u32_e32 v11, vcc, v11, v3, vcc
	v_cmp_gt_i64_e32 vcc, v[10:11], v[8:9]
	v_cndmask_b32_e32 v5, v7, v5, vcc
	v_cndmask_b32_e32 v4, v6, v4, vcc
	v_ashrrev_i32_e32 v3, 31, v2
	v_cmp_ne_u64_e32 vcc, v[4:5], v[2:3]
	s_and_saveexec_b64 s[2:3], vcc
	s_cbranch_execz .LBB27_164
; %bb.155:
	s_load_dwordx2 s[0:1], s[18:19], 0x0
	s_waitcnt lgkmcnt(0)
	s_sub_u32 s0, s0, s34
	s_subb_u32 s1, s1, 0
	v_cmp_gt_i64_e32 vcc, s[0:1], v[8:9]
	s_and_b64 exec, exec, vcc
	s_cbranch_execz .LBB27_164
; %bb.156:
	v_cmp_gt_i64_e32 vcc, s[4:5], v[2:3]
	v_cmp_le_i64_e64 s[0:1], s[26:27], v[2:3]
	s_or_b64 s[0:1], vcc, s[0:1]
	v_lshlrev_b64 v[4:5], 3, v[4:5]
	s_and_saveexec_b64 s[8:9], s[0:1]
	s_xor_b64 s[0:1], exec, s[8:9]
	s_cbranch_execz .LBB27_162
; %bb.157:
	v_mov_b32_e32 v6, s23
	v_add_co_u32_e32 v4, vcc, s22, v4
	v_lshlrev_b64 v[8:9], 3, v[2:3]
	v_addc_co_u32_e32 v5, vcc, v6, v5, vcc
	v_mov_b32_e32 v10, s29
	global_load_dwordx2 v[6:7], v[4:5], off
	v_add_co_u32_e32 v4, vcc, s28, v8
	v_addc_co_u32_e32 v5, vcc, v10, v9, vcc
	global_load_dword v11, v[4:5], off
	ds_read_b64 v[8:9], v24 offset:6144
	s_mov_b64 s[8:9], 0
	s_waitcnt vmcnt(1) lgkmcnt(0)
	v_mul_f32_e64 v12, v7, -v9
	v_fmac_f32_e32 v12, v8, v6
.LBB27_158:                             ; =>This Inner Loop Header: Depth=1
	s_waitcnt vmcnt(0)
	v_add_f32_e32 v10, v11, v12
	global_atomic_cmpswap v10, v[4:5], v[10:11], off glc
	s_waitcnt vmcnt(0)
	v_cmp_eq_u32_e32 vcc, v10, v11
	s_or_b64 s[8:9], vcc, s[8:9]
	v_mov_b32_e32 v11, v10
	s_andn2_b64 exec, exec, s[8:9]
	s_cbranch_execnz .LBB27_158
; %bb.159:
	s_or_b64 exec, exec, s[8:9]
	global_load_dword v11, v[4:5], off offset:4
	v_mul_f32_e32 v7, v7, v8
	v_fmac_f32_e32 v7, v9, v6
	s_mov_b64 s[8:9], 0
.LBB27_160:                             ; =>This Inner Loop Header: Depth=1
	s_waitcnt vmcnt(0)
	v_add_f32_e32 v10, v11, v7
	global_atomic_cmpswap v6, v[4:5], v[10:11], off offset:4 glc
	s_waitcnt vmcnt(0)
	v_cmp_eq_u32_e32 vcc, v6, v11
	s_or_b64 s[8:9], vcc, s[8:9]
	v_mov_b32_e32 v11, v6
	s_andn2_b64 exec, exec, s[8:9]
	s_cbranch_execnz .LBB27_160
; %bb.161:
	s_or_b64 exec, exec, s[8:9]
                                        ; implicit-def: $vgpr4_vgpr5
.LBB27_162:
	s_andn2_saveexec_b64 s[0:1], s[0:1]
	s_cbranch_execz .LBB27_164
; %bb.163:
	v_mov_b32_e32 v6, s23
	v_add_co_u32_e32 v4, vcc, s22, v4
	v_addc_co_u32_e32 v5, vcc, v6, v5, vcc
	global_load_dwordx2 v[4:5], v[4:5], off
	ds_read_b64 v[6:7], v24 offset:6144
	v_subrev_u32_e32 v8, s4, v2
	v_mov_b32_e32 v9, 0x2000
	v_lshl_add_u32 v8, v8, 3, v9
	s_waitcnt vmcnt(0) lgkmcnt(0)
	v_mul_f32_e64 v9, v5, -v7
	v_mul_f32_e32 v5, v5, v6
	v_fmac_f32_e32 v9, v6, v4
	v_fmac_f32_e32 v5, v7, v4
	ds_add_f32 v8, v9
	ds_add_f32 v8, v5 offset:4
.LBB27_164:
	s_or_b64 exec, exec, s[2:3]
	v_lshlrev_b64 v[2:3], 3, v[2:3]
	v_mov_b32_e32 v4, s23
	v_add_co_u32_e32 v2, vcc, s22, v2
	v_addc_co_u32_e32 v3, vcc, v4, v3, vcc
	global_load_dwordx2 v[2:3], v[2:3], off
	ds_read_b64 v[4:5], v24 offset:6144
	s_waitcnt vmcnt(0) lgkmcnt(0)
	v_pk_mul_f32 v[6:7], v[2:3], v[4:5] op_sel:[1,1] op_sel_hi:[1,0] neg_lo:[0,1]
	v_pk_fma_f32 v[2:3], v[4:5], v[2:3], v[6:7] op_sel_hi:[1,0,1]
	ds_write_b64 v24, v[2:3] offset:6144
.LBB27_165:
	s_or_b64 exec, exec, s[6:7]
	v_pk_mov_b32 v[2:3], s[10:11], s[10:11] op_sel:[0,1]
	v_cmp_lt_i64_e32 vcc, s[26:27], v[2:3]
	s_and_b64 s[0:1], vcc, exec
	s_cselect_b32 s8, s26, s10
	s_cselect_b32 s0, s27, s11
	s_sub_u32 s2, s8, s30
	s_subb_u32 s3, s0, s31
	v_cmp_gt_i64_e32 vcc, s[2:3], v[0:1]
	s_waitcnt lgkmcnt(0)
	s_barrier
	s_and_saveexec_b64 s[0:1], vcc
	s_cbranch_execz .LBB27_172
; %bb.166:
	s_lshl_b64 s[4:5], s[4:5], 3
	s_add_u32 s9, s28, s4
	s_addc_u32 s6, s29, s5
	s_mov_b64 s[4:5], 0
	v_mov_b32_e32 v10, s6
	v_mov_b32_e32 v11, 0x2000
	v_pk_mov_b32 v[2:3], v[0:1], v[0:1] op_sel:[0,1]
.LBB27_167:                             ; =>This Loop Header: Depth=1
                                        ;     Child Loop BB27_168 Depth 2
                                        ;     Child Loop BB27_170 Depth 2
	v_lshlrev_b64 v[4:5], 3, v[2:3]
	v_add_co_u32_e32 v4, vcc, s9, v4
	v_addc_co_u32_e32 v5, vcc, v10, v5, vcc
	global_load_dword v9, v[4:5], off
	v_lshl_add_u32 v6, v2, 3, v11
	ds_read2_b32 v[6:7], v6 offset1:1
	s_mov_b64 s[6:7], 0
.LBB27_168:                             ;   Parent Loop BB27_167 Depth=1
                                        ; =>  This Inner Loop Header: Depth=2
	s_waitcnt vmcnt(0) lgkmcnt(0)
	v_add_f32_e32 v8, v9, v6
	global_atomic_cmpswap v8, v[4:5], v[8:9], off glc
	s_waitcnt vmcnt(0)
	v_cmp_eq_u32_e32 vcc, v8, v9
	s_or_b64 s[6:7], vcc, s[6:7]
	v_mov_b32_e32 v9, v8
	s_andn2_b64 exec, exec, s[6:7]
	s_cbranch_execnz .LBB27_168
; %bb.169:                              ;   in Loop: Header=BB27_167 Depth=1
	s_or_b64 exec, exec, s[6:7]
	global_load_dword v9, v[4:5], off offset:4
	s_mov_b64 s[6:7], 0
.LBB27_170:                             ;   Parent Loop BB27_167 Depth=1
                                        ; =>  This Inner Loop Header: Depth=2
	s_waitcnt vmcnt(0)
	v_add_f32_e32 v8, v9, v7
	global_atomic_cmpswap v6, v[4:5], v[8:9], off offset:4 glc
	s_waitcnt vmcnt(0)
	v_cmp_eq_u32_e32 vcc, v6, v9
	s_or_b64 s[6:7], vcc, s[6:7]
	v_mov_b32_e32 v9, v6
	s_andn2_b64 exec, exec, s[6:7]
	s_cbranch_execnz .LBB27_170
; %bb.171:                              ;   in Loop: Header=BB27_167 Depth=1
	s_or_b64 exec, exec, s[6:7]
	v_add_co_u32_e32 v2, vcc, 0x100, v2
	v_addc_co_u32_e32 v3, vcc, 0, v3, vcc
	v_cmp_le_i64_e32 vcc, s[2:3], v[2:3]
	s_or_b64 s[4:5], vcc, s[4:5]
	s_andn2_b64 exec, exec, s[4:5]
	s_cbranch_execnz .LBB27_167
.LBB27_172:
	s_or_b64 exec, exec, s[0:1]
	s_add_i32 s0, s38, -1
	s_ashr_i32 s1, s0, 1
	s_or_b32 s0, s1, s0
	s_ashr_i32 s1, s0, 2
	s_or_b32 s0, s1, s0
	;; [unrolled: 2-line block ×5, first 2 shown]
	s_add_i32 s3, s3, 1
	s_ashr_i32 s18, s3, 1
	v_mov_b32_e32 v2, s25
	v_add_co_u32_e32 v6, vcc, s24, v0
	v_addc_co_u32_e32 v7, vcc, 0, v2, vcc
	s_cmp_gt_i32 s18, 1
	s_mov_b64 s[0:1], -1
	s_barrier
	s_cbranch_scc1 .LBB27_185
; %bb.173:
	v_cmp_gt_i64_e32 vcc, s[26:27], v[6:7]
	s_and_saveexec_b64 s[0:1], vcc
	s_cbranch_execz .LBB27_184
; %bb.174:
	s_sub_i32 s4, s8, s26
	s_lshl_b32 s4, s4, 3
	s_add_i32 s10, s4, 0x2000
	s_lshl_b32 s4, s12, 3
	s_sub_i32 s11, 0, s4
	s_mov_b64 s[4:5], 0
	v_mov_b32_e32 v16, s17
	v_mov_b32_e32 v17, s29
	;; [unrolled: 1-line block ×3, first 2 shown]
	v_pk_mov_b32 v[8:9], v[6:7], v[6:7] op_sel:[0,1]
.LBB27_175:                             ; =>This Loop Header: Depth=1
                                        ;     Child Loop BB27_177 Depth 2
                                        ;     Child Loop BB27_180 Depth 2
	;; [unrolled: 1-line block ×3, first 2 shown]
	v_lshlrev_b64 v[10:11], 3, v[8:9]
	v_add_co_u32_e32 v2, vcc, s16, v10
	v_addc_co_u32_e32 v3, vcc, v16, v11, vcc
	global_load_dwordx4 v[2:5], v[2:3], off
	v_mov_b32_e32 v13, 0
	v_mov_b32_e32 v12, v13
	s_waitcnt vmcnt(0)
	v_cmp_lt_i64_e32 vcc, v[2:3], v[4:5]
	s_and_saveexec_b64 s[6:7], vcc
	s_cbranch_execz .LBB27_179
; %bb.176:                              ;   in Loop: Header=BB27_175 Depth=1
	v_mov_b32_e32 v12, s13
	v_subrev_co_u32_e32 v4, vcc, s12, v4
	v_subb_co_u32_e32 v5, vcc, v5, v12, vcc
	v_subrev_co_u32_e32 v14, vcc, s12, v2
	v_subb_co_u32_e32 v15, vcc, v3, v12, vcc
	v_mov_b32_e32 v12, 0
	v_lshl_add_u32 v2, v2, 3, s11
	s_mov_b64 s[8:9], 0
	v_mov_b32_e32 v13, v12
.LBB27_177:                             ;   Parent Loop BB27_175 Depth=1
                                        ; =>  This Inner Loop Header: Depth=2
	ds_read_b64 v[20:21], v2
	v_add_co_u32_e32 v14, vcc, 1, v14
	v_addc_co_u32_e32 v15, vcc, 0, v15, vcc
	v_cmp_ge_i64_e32 vcc, v[14:15], v[4:5]
	v_add_u32_e32 v2, 8, v2
	s_or_b64 s[8:9], vcc, s[8:9]
	s_waitcnt lgkmcnt(0)
	v_pk_add_f32 v[12:13], v[12:13], v[20:21]
	s_andn2_b64 exec, exec, s[8:9]
	s_cbranch_execnz .LBB27_177
; %bb.178:                              ;   in Loop: Header=BB27_175 Depth=1
	s_or_b64 exec, exec, s[8:9]
.LBB27_179:                             ;   in Loop: Header=BB27_175 Depth=1
	s_or_b64 exec, exec, s[6:7]
	v_add_co_u32_e32 v2, vcc, s28, v10
	v_addc_co_u32_e32 v3, vcc, v17, v11, vcc
	global_load_dword v11, v[2:3], off
	v_lshl_add_u32 v4, v8, 3, s10
	ds_read2_b32 v[4:5], v4 offset1:1
	s_mov_b64 s[6:7], 0
	s_waitcnt lgkmcnt(0)
	v_add_f32_e32 v4, v12, v4
.LBB27_180:                             ;   Parent Loop BB27_175 Depth=1
                                        ; =>  This Inner Loop Header: Depth=2
	s_waitcnt vmcnt(0)
	v_add_f32_e32 v10, v11, v4
	global_atomic_cmpswap v10, v[2:3], v[10:11], off glc
	s_waitcnt vmcnt(0)
	v_cmp_eq_u32_e32 vcc, v10, v11
	s_or_b64 s[6:7], vcc, s[6:7]
	v_mov_b32_e32 v11, v10
	s_andn2_b64 exec, exec, s[6:7]
	s_cbranch_execnz .LBB27_180
; %bb.181:                              ;   in Loop: Header=BB27_175 Depth=1
	s_or_b64 exec, exec, s[6:7]
	global_load_dword v11, v[2:3], off offset:4
	v_add_f32_e32 v4, v13, v5
	s_mov_b64 s[6:7], 0
.LBB27_182:                             ;   Parent Loop BB27_175 Depth=1
                                        ; =>  This Inner Loop Header: Depth=2
	s_waitcnt vmcnt(0)
	v_add_f32_e32 v10, v11, v4
	global_atomic_cmpswap v5, v[2:3], v[10:11], off offset:4 glc
	s_waitcnt vmcnt(0)
	v_cmp_eq_u32_e32 vcc, v5, v11
	s_or_b64 s[6:7], vcc, s[6:7]
	v_mov_b32_e32 v11, v5
	s_andn2_b64 exec, exec, s[6:7]
	s_cbranch_execnz .LBB27_182
; %bb.183:                              ;   in Loop: Header=BB27_175 Depth=1
	s_or_b64 exec, exec, s[6:7]
	v_add_co_u32_e32 v8, vcc, s36, v8
	v_addc_co_u32_e32 v9, vcc, v9, v18, vcc
	v_cmp_le_i64_e32 vcc, s[26:27], v[8:9]
	s_or_b64 s[4:5], vcc, s[4:5]
	s_andn2_b64 exec, exec, s[4:5]
	s_cbranch_execnz .LBB27_175
.LBB27_184:
	s_or_b64 exec, exec, s[0:1]
	s_mov_b64 s[0:1], 0
.LBB27_185:
	s_andn2_b64 vcc, exec, s[0:1]
	s_cbranch_vccnz .LBB27_216
; %bb.186:
	v_cvt_f32_u32_e32 v14, s18
	s_sub_i32 s6, 0, s18
	v_mov_b32_e32 v11, 0
	v_mov_b32_e32 v4, s15
	v_rcp_iflag_f32_e32 v2, v14
	v_mov_b32_e32 v12, s13
	v_mul_f32_e32 v2, 0x4f7ffffe, v2
	v_cvt_u32_f32_e32 v2, v2
	v_mul_lo_u32 v3, s6, v2
	v_mul_hi_u32 v3, v2, v3
	v_add_u32_e32 v2, v2, v3
	v_mul_hi_u32 v2, v0, v2
	v_mul_lo_u32 v3, v2, s18
	v_sub_u32_e32 v3, v0, v3
	v_add_u32_e32 v5, 1, v2
	v_cmp_le_u32_e32 vcc, s18, v3
	v_cndmask_b32_e32 v2, v2, v5, vcc
	v_subrev_u32_e32 v5, s18, v3
	v_cndmask_b32_e32 v3, v3, v5, vcc
	v_add_u32_e32 v5, 1, v2
	v_cmp_le_u32_e32 vcc, s18, v3
	v_cndmask_b32_e32 v10, v2, v5, vcc
	v_lshlrev_b64 v[2:3], 3, v[10:11]
	v_add_co_u32_e32 v2, vcc, s14, v2
	v_addc_co_u32_e32 v3, vcc, v4, v3, vcc
	global_load_dwordx4 v[2:5], v[2:3], off
	s_waitcnt vmcnt(0)
	v_subrev_co_u32_e32 v8, vcc, s12, v2
	v_subb_co_u32_e32 v9, vcc, v3, v12, vcc
	v_subrev_co_u32_e32 v18, vcc, s12, v4
	v_subb_co_u32_e32 v19, vcc, v5, v12, vcc
	v_sub_co_u32_e32 v3, vcc, v18, v8
	v_subb_co_u32_e32 v13, vcc, v19, v9, vcc
	v_mov_b32_e32 v12, v11
	v_cmp_ne_u64_e32 vcc, 0, v[12:13]
                                        ; implicit-def: $vgpr4_vgpr5
	s_and_saveexec_b64 s[0:1], vcc
	s_xor_b64 s[4:5], exec, s[0:1]
	s_cbranch_execz .LBB27_188
; %bb.187:
	v_cvt_f32_ubyte0_e32 v4, 0
	v_madmk_f32 v4, v4, 0x4f800000, v14
	v_rcp_f32_e32 v4, v4
	s_sub_u32 s0, 0, s18
	s_subb_u32 s1, 0, 0
	v_mul_f32_e32 v4, 0x5f7ffffc, v4
	v_mul_f32_e32 v5, 0x2f800000, v4
	v_trunc_f32_e32 v5, v5
	v_madmk_f32 v4, v5, 0xcf800000, v4
	v_cvt_u32_f32_e32 v5, v5
	v_cvt_u32_f32_e32 v4, v4
	v_mul_lo_u32 v12, s0, v5
	v_mul_hi_u32 v15, s0, v4
	v_mul_lo_u32 v14, s1, v4
	v_add_u32_e32 v12, v15, v12
	v_add_u32_e32 v12, v12, v14
	v_mul_lo_u32 v16, s0, v4
	v_mul_lo_u32 v15, v4, v12
	v_mul_hi_u32 v17, v4, v16
	v_mul_hi_u32 v14, v4, v12
	v_add_co_u32_e32 v15, vcc, v17, v15
	v_addc_co_u32_e32 v14, vcc, 0, v14, vcc
	v_mul_hi_u32 v20, v5, v16
	v_mul_lo_u32 v16, v5, v16
	v_add_co_u32_e32 v15, vcc, v15, v16
	v_mul_hi_u32 v17, v5, v12
	v_addc_co_u32_e32 v14, vcc, v14, v20, vcc
	v_addc_co_u32_e32 v15, vcc, 0, v17, vcc
	v_mul_lo_u32 v12, v5, v12
	v_add_co_u32_e32 v12, vcc, v14, v12
	v_addc_co_u32_e32 v14, vcc, 0, v15, vcc
	v_add_co_u32_e32 v4, vcc, v4, v12
	v_addc_co_u32_e32 v5, vcc, v5, v14, vcc
	v_mul_lo_u32 v12, s0, v5
	v_mul_hi_u32 v14, s0, v4
	v_add_u32_e32 v12, v14, v12
	v_mul_lo_u32 v14, s1, v4
	v_add_u32_e32 v12, v12, v14
	v_mul_lo_u32 v15, s0, v4
	v_mul_hi_u32 v16, v5, v15
	v_mul_lo_u32 v17, v5, v15
	v_mul_lo_u32 v21, v4, v12
	v_mul_hi_u32 v15, v4, v15
	v_mul_hi_u32 v20, v4, v12
	v_add_co_u32_e32 v15, vcc, v15, v21
	v_addc_co_u32_e32 v20, vcc, 0, v20, vcc
	v_add_co_u32_e32 v15, vcc, v15, v17
	v_mul_hi_u32 v14, v5, v12
	v_addc_co_u32_e32 v15, vcc, v20, v16, vcc
	v_addc_co_u32_e32 v14, vcc, 0, v14, vcc
	v_mul_lo_u32 v12, v5, v12
	v_add_co_u32_e32 v12, vcc, v15, v12
	v_addc_co_u32_e32 v14, vcc, 0, v14, vcc
	v_add_co_u32_e32 v12, vcc, v4, v12
	v_addc_co_u32_e32 v14, vcc, v5, v14, vcc
	v_ashrrev_i32_e32 v15, 31, v13
	v_add_co_u32_e32 v3, vcc, v3, v15
	v_addc_co_u32_e32 v4, vcc, v13, v15, vcc
	v_xor_b32_e32 v3, v3, v15
	v_xor_b32_e32 v16, v4, v15
	v_mad_u64_u32 v[4:5], s[0:1], v3, v14, 0
	v_mul_hi_u32 v13, v3, v12
	v_add_co_u32_e32 v17, vcc, v13, v4
	v_addc_co_u32_e32 v20, vcc, 0, v5, vcc
	v_mad_u64_u32 v[12:13], s[0:1], v16, v12, 0
	v_add_co_u32_e32 v12, vcc, v17, v12
	v_mad_u64_u32 v[4:5], s[0:1], v16, v14, 0
	v_addc_co_u32_e32 v12, vcc, v20, v13, vcc
	v_addc_co_u32_e32 v5, vcc, 0, v5, vcc
	v_add_co_u32_e32 v14, vcc, v12, v4
	v_addc_co_u32_e32 v17, vcc, 0, v5, vcc
	v_mad_u64_u32 v[4:5], s[0:1], s18, v14, 0
	v_mov_b32_e32 v12, v5
	v_mad_u64_u32 v[12:13], s[0:1], s18, v17, v[12:13]
	v_sub_co_u32_e32 v3, vcc, v3, v4
	v_subb_co_u32_e32 v4, vcc, v16, v12, vcc
	v_subrev_co_u32_e32 v5, vcc, s18, v3
	v_subbrev_co_u32_e32 v12, vcc, 0, v4, vcc
	v_cmp_le_u32_e32 vcc, s18, v5
	v_cndmask_b32_e64 v5, 0, -1, vcc
	v_cmp_eq_u32_e32 vcc, 0, v12
	v_cndmask_b32_e32 v5, -1, v5, vcc
	v_add_co_u32_e32 v12, vcc, 2, v14
	v_addc_co_u32_e32 v13, vcc, 0, v17, vcc
	v_add_co_u32_e32 v16, vcc, 1, v14
	v_cmp_le_u32_e64 s[0:1], s18, v3
	v_addc_co_u32_e32 v20, vcc, 0, v17, vcc
	v_cndmask_b32_e64 v3, 0, -1, s[0:1]
	v_cmp_eq_u32_e64 s[0:1], 0, v4
	v_cmp_ne_u32_e32 vcc, 0, v5
	v_cndmask_b32_e64 v3, -1, v3, s[0:1]
	v_cmp_ne_u32_e64 s[0:1], 0, v3
	v_cndmask_b32_e32 v4, v16, v12, vcc
	v_cndmask_b32_e32 v5, v20, v13, vcc
	v_cndmask_b32_e64 v4, v14, v4, s[0:1]
	v_cndmask_b32_e64 v3, v17, v5, s[0:1]
	v_xor_b32_e32 v4, v4, v15
	v_xor_b32_e32 v3, v3, v15
	v_sub_co_u32_e32 v4, vcc, v4, v15
	v_subb_co_u32_e32 v5, vcc, v3, v15, vcc
                                        ; implicit-def: $vgpr3
.LBB27_188:
	s_andn2_saveexec_b64 s[0:1], s[4:5]
	s_cbranch_execz .LBB27_190
; %bb.189:
	v_cvt_f32_u32_e32 v4, s18
	v_rcp_iflag_f32_e32 v4, v4
	v_mul_f32_e32 v4, 0x4f7ffffe, v4
	v_cvt_u32_f32_e32 v4, v4
	v_mul_lo_u32 v5, s6, v4
	v_mul_hi_u32 v5, v4, v5
	v_add_u32_e32 v4, v4, v5
	v_mul_hi_u32 v4, v3, v4
	v_mul_lo_u32 v5, v4, s18
	v_sub_u32_e32 v3, v3, v5
	v_add_u32_e32 v12, 1, v4
	v_subrev_u32_e32 v5, s18, v3
	v_cmp_le_u32_e32 vcc, s18, v3
	v_cndmask_b32_e32 v3, v3, v5, vcc
	v_cndmask_b32_e32 v4, v4, v12, vcc
	v_add_u32_e32 v5, 1, v4
	v_cmp_le_u32_e32 vcc, s18, v3
	v_cndmask_b32_e32 v4, v4, v5, vcc
	v_mov_b32_e32 v5, 0
.LBB27_190:
	s_or_b64 exec, exec, s[0:1]
	v_cmp_gt_i64_e32 vcc, s[30:31], v[10:11]
	v_mov_b32_e32 v11, 0
	v_mov_b32_e32 v10, 0
	s_and_saveexec_b64 s[0:1], vcc
	s_cbranch_execz .LBB27_204
; %bb.191:
	s_add_i32 s4, s18, -1
	v_and_b32_e32 v12, s4, v0
	v_cmp_lt_i64_e32 vcc, 0, v[4:5]
	s_mov_b32 s6, 0
	v_mov_b32_e32 v11, 0
	v_mov_b32_e32 v10, 0
	s_and_saveexec_b64 s[4:5], vcc
	s_cbranch_execz .LBB27_201
; %bb.192:
	s_mov_b32 s7, s6
	v_cmp_lt_u64_e32 vcc, 3, v[4:5]
	v_pk_mov_b32 v[10:11], s[6:7], s[6:7] op_sel:[0,1]
	v_pk_mov_b32 v[14:15], 0, 0
	s_and_saveexec_b64 s[6:7], vcc
	s_cbranch_execz .LBB27_196
; %bb.193:
	s_lshl_b32 s8, s18, 3
	s_lshl_b32 s9, s12, 3
	s_sub_i32 s13, s8, s9
	s_lshl_b32 s8, s18, 4
	v_lshlrev_b32_e32 v3, 3, v2
	s_sub_i32 s15, s8, s9
	s_mul_i32 s8, s18, 24
	v_mov_b32_e32 v10, 0
	v_and_b32_e32 v15, 0x7fffffff, v5
	v_and_b32_e32 v14, -4, v4
	v_lshl_add_u32 v3, v12, 3, v3
	s_lshl_b32 s14, s18, 5
	s_sub_i32 s16, s8, s9
	s_sub_i32 s17, 0, s9
	s_mov_b64 s[8:9], 0
	s_mov_b64 s[10:11], 0
	v_mov_b32_e32 v11, v10
.LBB27_194:                             ; =>This Inner Loop Header: Depth=1
	v_add_u32_e32 v13, s17, v3
	v_add_u32_e32 v20, s13, v3
	;; [unrolled: 1-line block ×4, first 2 shown]
	ds_read_b64 v[16:17], v13
	ds_read_b64 v[20:21], v20
	;; [unrolled: 1-line block ×4, first 2 shown]
	s_add_u32 s10, s10, 4
	s_waitcnt lgkmcnt(3)
	v_pk_add_f32 v[10:11], v[10:11], v[16:17]
	s_addc_u32 s11, s11, 0
	s_waitcnt lgkmcnt(2)
	v_pk_add_f32 v[10:11], v[10:11], v[20:21]
	v_cmp_eq_u64_e32 vcc, s[10:11], v[14:15]
	s_waitcnt lgkmcnt(1)
	v_pk_add_f32 v[10:11], v[10:11], v[22:23]
	v_add_u32_e32 v3, s14, v3
	s_or_b64 s[8:9], vcc, s[8:9]
	s_waitcnt lgkmcnt(0)
	v_pk_add_f32 v[10:11], v[10:11], v[26:27]
	s_andn2_b64 exec, exec, s[8:9]
	s_cbranch_execnz .LBB27_194
; %bb.195:
	s_or_b64 exec, exec, s[8:9]
.LBB27_196:
	s_or_b64 exec, exec, s[6:7]
	v_and_b32_e32 v16, 3, v4
	v_mov_b32_e32 v17, 0
	s_mov_b64 s[8:9], 0
	v_cmp_ne_u64_e32 vcc, 0, v[16:17]
	s_and_saveexec_b64 s[6:7], vcc
	s_cbranch_execz .LBB27_200
; %bb.197:
	v_mul_lo_u32 v3, s18, v14
	v_add3_u32 v2, v12, v3, v2
	v_subrev_u32_e32 v2, s12, v2
	v_lshlrev_b32_e32 v2, 3, v2
	s_lshl_b32 s10, s18, 3
.LBB27_198:                             ; =>This Inner Loop Header: Depth=1
	ds_read_b64 v[14:15], v2
	v_add_co_u32_e32 v16, vcc, -1, v16
	v_addc_co_u32_e32 v17, vcc, -1, v17, vcc
	v_cmp_eq_u64_e32 vcc, 0, v[16:17]
	v_add_u32_e32 v2, s10, v2
	s_or_b64 s[8:9], vcc, s[8:9]
	s_waitcnt lgkmcnt(0)
	v_pk_add_f32 v[10:11], v[10:11], v[14:15]
	s_andn2_b64 exec, exec, s[8:9]
	s_cbranch_execnz .LBB27_198
; %bb.199:
	s_or_b64 exec, exec, s[8:9]
.LBB27_200:
	s_or_b64 exec, exec, s[6:7]
.LBB27_201:
	s_or_b64 exec, exec, s[4:5]
	v_mad_u64_u32 v[2:3], s[4:5], v4, s18, v[8:9]
	v_mov_b32_e32 v4, v3
	v_mad_u64_u32 v[4:5], s[4:5], v5, s18, v[4:5]
	v_mov_b32_e32 v3, v4
	v_sub_co_u32_e32 v4, vcc, v18, v2
	v_mov_b32_e32 v13, 0
	v_subb_co_u32_e32 v5, vcc, v19, v3, vcc
	v_cmp_gt_i64_e32 vcc, v[4:5], v[12:13]
	s_and_saveexec_b64 s[4:5], vcc
	s_cbranch_execz .LBB27_203
; %bb.202:
	v_add_lshl_u32 v2, v12, v2, 3
	ds_read_b64 v[2:3], v2
	s_waitcnt lgkmcnt(0)
	v_pk_add_f32 v[10:11], v[10:11], v[2:3]
.LBB27_203:
	s_or_b64 exec, exec, s[4:5]
.LBB27_204:
	s_or_b64 exec, exec, s[0:1]
	v_cmp_gt_i64_e32 vcc, s[30:31], v[0:1]
	s_barrier
	ds_write_b64 v24, v[10:11]
	s_waitcnt lgkmcnt(0)
	s_barrier
	s_and_b64 exec, exec, vcc
	s_cbranch_execz .LBB27_216
; %bb.205:
	v_mul_lo_u32 v1, s18, v0
	s_mov_b32 s0, 0
	s_cmp_lt_u32 s18, 8
	s_cbranch_scc1 .LBB27_208
; %bb.206:
	v_mov_b32_e32 v2, 0
	s_and_b32 s0, s18, 0x7ffffff8
	v_lshlrev_b32_e32 v4, 3, v1
	s_mov_b32 s1, 0
	v_mov_b32_e32 v3, v2
.LBB27_207:                             ; =>This Inner Loop Header: Depth=1
	ds_read2_b64 v[8:11], v4 offset1:1
	ds_read2_b64 v[12:15], v4 offset0:2 offset1:3
	ds_read2_b64 v[16:19], v4 offset0:4 offset1:5
	;; [unrolled: 1-line block ×3, first 2 shown]
	s_add_i32 s1, s1, 8
	s_waitcnt lgkmcnt(3)
	v_pk_add_f32 v[2:3], v[2:3], v[8:9]
	v_pk_add_f32 v[2:3], v[2:3], v[10:11]
	s_waitcnt lgkmcnt(2)
	v_pk_add_f32 v[2:3], v[2:3], v[12:13]
	v_pk_add_f32 v[2:3], v[2:3], v[14:15]
	;; [unrolled: 3-line block ×3, first 2 shown]
	s_waitcnt lgkmcnt(0)
	v_pk_add_f32 v[2:3], v[2:3], v[20:21]
	v_add_u32_e32 v4, 64, v4
	s_cmp_eq_u32 s0, s1
	v_pk_add_f32 v[2:3], v[2:3], v[22:23]
	s_cbranch_scc0 .LBB27_207
	s_branch .LBB27_209
.LBB27_208:
	s_mov_b32 s1, s0
	v_pk_mov_b32 v[2:3], s[0:1], s[0:1] op_sel:[0,1]
.LBB27_209:
	s_bfe_u32 s1, s3, 0x30001
	s_cmp_eq_u32 s1, 0
	s_cbranch_scc1 .LBB27_212
; %bb.210:
	v_add_lshl_u32 v1, s0, v1, 3
.LBB27_211:                             ; =>This Inner Loop Header: Depth=1
	ds_read_b64 v[4:5], v1
	s_add_i32 s1, s1, -1
	v_add_u32_e32 v1, 8, v1
	s_cmp_lg_u32 s1, 0
	s_waitcnt lgkmcnt(0)
	v_pk_add_f32 v[2:3], v[2:3], v[4:5]
	s_cbranch_scc1 .LBB27_211
.LBB27_212:
	v_lshlrev_b64 v[4:5], 3, v[6:7]
	v_mov_b32_e32 v1, s29
	v_add_co_u32_e32 v4, vcc, s28, v4
	v_addc_co_u32_e32 v5, vcc, v1, v5, vcc
	global_load_dword v7, v[4:5], off
	s_lshl_b32 s0, s2, 3
	s_addk_i32 s0, 0x2000
	v_lshl_add_u32 v0, v0, 3, s0
	ds_read2_b32 v[0:1], v0 offset1:1
	s_mov_b64 s[0:1], 0
	s_waitcnt lgkmcnt(0)
	v_add_f32_e32 v0, v2, v0
.LBB27_213:                             ; =>This Inner Loop Header: Depth=1
	s_waitcnt vmcnt(0)
	v_add_f32_e32 v6, v7, v0
	global_atomic_cmpswap v2, v[4:5], v[6:7], off glc
	s_waitcnt vmcnt(0)
	v_cmp_eq_u32_e32 vcc, v2, v7
	s_or_b64 s[0:1], vcc, s[0:1]
	v_mov_b32_e32 v7, v2
	s_andn2_b64 exec, exec, s[0:1]
	s_cbranch_execnz .LBB27_213
; %bb.214:
	s_or_b64 exec, exec, s[0:1]
	global_load_dword v7, v[4:5], off offset:4
	v_add_f32_e32 v0, v3, v1
	s_mov_b64 s[0:1], 0
.LBB27_215:                             ; =>This Inner Loop Header: Depth=1
	s_waitcnt vmcnt(0)
	v_add_f32_e32 v6, v7, v0
	global_atomic_cmpswap v1, v[4:5], v[6:7], off offset:4 glc
	s_waitcnt vmcnt(0)
	v_cmp_eq_u32_e32 vcc, v1, v7
	s_or_b64 s[0:1], vcc, s[0:1]
	v_mov_b32_e32 v7, v1
	s_andn2_b64 exec, exec, s[0:1]
	s_cbranch_execnz .LBB27_215
.LBB27_216:
	s_endpgm
	.section	.rodata,"a",@progbits
	.p2align	6, 0x0
	.amdhsa_kernel _ZN9rocsparseL27csrmvn_symm_adaptive_kernelIli21rocsparse_complex_numIfES2_S2_S2_EEvbT_S3_PKS3_NS_24const_host_device_scalarIT4_EES5_PKT0_PKT1_PKT2_S8_PT3_21rocsparse_index_base_b
		.amdhsa_group_segment_fixed_size 8192
		.amdhsa_private_segment_fixed_size 0
		.amdhsa_kernarg_size 352
		.amdhsa_user_sgpr_count 6
		.amdhsa_user_sgpr_private_segment_buffer 1
		.amdhsa_user_sgpr_dispatch_ptr 0
		.amdhsa_user_sgpr_queue_ptr 0
		.amdhsa_user_sgpr_kernarg_segment_ptr 1
		.amdhsa_user_sgpr_dispatch_id 0
		.amdhsa_user_sgpr_flat_scratch_init 0
		.amdhsa_user_sgpr_kernarg_preload_length 0
		.amdhsa_user_sgpr_kernarg_preload_offset 0
		.amdhsa_user_sgpr_private_segment_size 0
		.amdhsa_uses_dynamic_stack 0
		.amdhsa_system_sgpr_private_segment_wavefront_offset 0
		.amdhsa_system_sgpr_workgroup_id_x 1
		.amdhsa_system_sgpr_workgroup_id_y 0
		.amdhsa_system_sgpr_workgroup_id_z 0
		.amdhsa_system_sgpr_workgroup_info 0
		.amdhsa_system_vgpr_workitem_id 0
		.amdhsa_next_free_vgpr 36
		.amdhsa_next_free_sgpr 54
		.amdhsa_accum_offset 36
		.amdhsa_reserve_vcc 1
		.amdhsa_reserve_flat_scratch 0
		.amdhsa_float_round_mode_32 0
		.amdhsa_float_round_mode_16_64 0
		.amdhsa_float_denorm_mode_32 3
		.amdhsa_float_denorm_mode_16_64 3
		.amdhsa_dx10_clamp 1
		.amdhsa_ieee_mode 1
		.amdhsa_fp16_overflow 0
		.amdhsa_tg_split 0
		.amdhsa_exception_fp_ieee_invalid_op 0
		.amdhsa_exception_fp_denorm_src 0
		.amdhsa_exception_fp_ieee_div_zero 0
		.amdhsa_exception_fp_ieee_overflow 0
		.amdhsa_exception_fp_ieee_underflow 0
		.amdhsa_exception_fp_ieee_inexact 0
		.amdhsa_exception_int_div_zero 0
	.end_amdhsa_kernel
	.section	.text._ZN9rocsparseL27csrmvn_symm_adaptive_kernelIli21rocsparse_complex_numIfES2_S2_S2_EEvbT_S3_PKS3_NS_24const_host_device_scalarIT4_EES5_PKT0_PKT1_PKT2_S8_PT3_21rocsparse_index_base_b,"axG",@progbits,_ZN9rocsparseL27csrmvn_symm_adaptive_kernelIli21rocsparse_complex_numIfES2_S2_S2_EEvbT_S3_PKS3_NS_24const_host_device_scalarIT4_EES5_PKT0_PKT1_PKT2_S8_PT3_21rocsparse_index_base_b,comdat
.Lfunc_end27:
	.size	_ZN9rocsparseL27csrmvn_symm_adaptive_kernelIli21rocsparse_complex_numIfES2_S2_S2_EEvbT_S3_PKS3_NS_24const_host_device_scalarIT4_EES5_PKT0_PKT1_PKT2_S8_PT3_21rocsparse_index_base_b, .Lfunc_end27-_ZN9rocsparseL27csrmvn_symm_adaptive_kernelIli21rocsparse_complex_numIfES2_S2_S2_EEvbT_S3_PKS3_NS_24const_host_device_scalarIT4_EES5_PKT0_PKT1_PKT2_S8_PT3_21rocsparse_index_base_b
                                        ; -- End function
	.section	.AMDGPU.csdata,"",@progbits
; Kernel info:
; codeLenInByte = 10456
; NumSgprs: 58
; NumVgprs: 36
; NumAgprs: 0
; TotalNumVgprs: 36
; ScratchSize: 0
; MemoryBound: 0
; FloatMode: 240
; IeeeMode: 1
; LDSByteSize: 8192 bytes/workgroup (compile time only)
; SGPRBlocks: 7
; VGPRBlocks: 4
; NumSGPRsForWavesPerEU: 58
; NumVGPRsForWavesPerEU: 36
; AccumOffset: 36
; Occupancy: 8
; WaveLimiterHint : 1
; COMPUTE_PGM_RSRC2:SCRATCH_EN: 0
; COMPUTE_PGM_RSRC2:USER_SGPR: 6
; COMPUTE_PGM_RSRC2:TRAP_HANDLER: 0
; COMPUTE_PGM_RSRC2:TGID_X_EN: 1
; COMPUTE_PGM_RSRC2:TGID_Y_EN: 0
; COMPUTE_PGM_RSRC2:TGID_Z_EN: 0
; COMPUTE_PGM_RSRC2:TIDIG_COMP_CNT: 0
; COMPUTE_PGM_RSRC3_GFX90A:ACCUM_OFFSET: 8
; COMPUTE_PGM_RSRC3_GFX90A:TG_SPLIT: 0
	.section	.text._ZL33csrmvn_symm_large_adaptive_kernelIli21rocsparse_complex_numIfES1_S1_S1_EvbT_PKS2_N9rocsparse24const_host_device_scalarIT4_EES4_PKT0_PKT1_PKT2_S8_PT3_21rocsparse_index_base_b,"axG",@progbits,_ZL33csrmvn_symm_large_adaptive_kernelIli21rocsparse_complex_numIfES1_S1_S1_EvbT_PKS2_N9rocsparse24const_host_device_scalarIT4_EES4_PKT0_PKT1_PKT2_S8_PT3_21rocsparse_index_base_b,comdat
	.globl	_ZL33csrmvn_symm_large_adaptive_kernelIli21rocsparse_complex_numIfES1_S1_S1_EvbT_PKS2_N9rocsparse24const_host_device_scalarIT4_EES4_PKT0_PKT1_PKT2_S8_PT3_21rocsparse_index_base_b ; -- Begin function _ZL33csrmvn_symm_large_adaptive_kernelIli21rocsparse_complex_numIfES1_S1_S1_EvbT_PKS2_N9rocsparse24const_host_device_scalarIT4_EES4_PKT0_PKT1_PKT2_S8_PT3_21rocsparse_index_base_b
	.p2align	8
	.type	_ZL33csrmvn_symm_large_adaptive_kernelIli21rocsparse_complex_numIfES1_S1_S1_EvbT_PKS2_N9rocsparse24const_host_device_scalarIT4_EES4_PKT0_PKT1_PKT2_S8_PT3_21rocsparse_index_base_b,@function
_ZL33csrmvn_symm_large_adaptive_kernelIli21rocsparse_complex_numIfES1_S1_S1_EvbT_PKS2_N9rocsparse24const_host_device_scalarIT4_EES4_PKT0_PKT1_PKT2_S8_PT3_21rocsparse_index_base_b: ; @_ZL33csrmvn_symm_large_adaptive_kernelIli21rocsparse_complex_numIfES1_S1_S1_EvbT_PKS2_N9rocsparse24const_host_device_scalarIT4_EES4_PKT0_PKT1_PKT2_S8_PT3_21rocsparse_index_base_b
; %bb.0:
	s_load_dwordx2 s[24:25], s[4:5], 0x50
	s_load_dwordx2 s[8:9], s[4:5], 0x18
	;; [unrolled: 1-line block ×3, first 2 shown]
	s_waitcnt lgkmcnt(0)
	s_bitcmp1_b32 s25, 0
	s_cselect_b64 s[0:1], -1, 0
	s_xor_b64 s[10:11], s[0:1], -1
	s_and_b64 vcc, exec, s[0:1]
	v_mov_b32_e32 v8, s8
	s_cbranch_vccnz .LBB28_2
; %bb.1:
	v_pk_mov_b32 v[2:3], s[8:9], s[8:9] op_sel:[0,1]
	flat_load_dword v8, v[2:3]
.LBB28_2:
	v_cndmask_b32_e64 v1, 0, 1, s[10:11]
	v_cmp_ne_u32_e64 s[0:1], 1, v1
	s_andn2_b64 vcc, exec, s[10:11]
	v_mov_b32_e32 v9, s9
	s_cbranch_vccz .LBB28_11
; %bb.3:
	s_and_b64 vcc, exec, s[0:1]
	v_mov_b32_e32 v1, s2
	s_cbranch_vccz .LBB28_12
.LBB28_4:
	s_and_b64 vcc, exec, s[0:1]
	v_mov_b32_e32 v2, s3
	s_cbranch_vccnz .LBB28_6
.LBB28_5:
	v_pk_mov_b32 v[2:3], s[2:3], s[2:3] op_sel:[0,1]
	flat_load_dword v2, v[2:3] offset:4
.LBB28_6:
	s_waitcnt vmcnt(0) lgkmcnt(0)
	v_cmp_eq_f32_e32 vcc, 0, v8
	v_cmp_eq_f32_e64 s[0:1], 0, v9
	s_and_b64 s[8:9], vcc, s[0:1]
	s_mov_b64 s[0:1], -1
	s_and_saveexec_b64 s[2:3], s[8:9]
; %bb.7:
	v_cmp_neq_f32_e32 vcc, 1.0, v1
	v_and_b32_e32 v1, 0x7fffffff, v2
	v_cmp_ne_u32_e64 s[0:1], 0, v1
	s_or_b64 s[0:1], vcc, s[0:1]
	s_orn2_b64 s[0:1], s[0:1], exec
; %bb.8:
	s_or_b64 exec, exec, s[2:3]
	s_and_saveexec_b64 s[2:3], s[0:1]
	s_cbranch_execz .LBB28_55
; %bb.9:
	s_load_dword s7, s[4:5], 0x0
	s_load_dwordx2 s[0:1], s[4:5], 0x10
	s_mov_b32 s2, 0
	s_mov_b32 s3, s2
	v_lshlrev_b32_e32 v10, 3, v0
	s_waitcnt lgkmcnt(0)
	s_bitcmp1_b32 s7, 0
	s_cselect_b64 s[26:27], -1, 0
	s_ashr_i32 s7, s6, 31
	s_lshl_b64 s[6:7], s[6:7], 3
	s_add_u32 s0, s0, s6
	v_pk_mov_b32 v[2:3], s[2:3], s[2:3] op_sel:[0,1]
	s_addc_u32 s1, s1, s7
	ds_write2st64_b64 v10, v[2:3], v[2:3] offset1:4
	ds_write2st64_b64 v10, v[2:3], v[2:3] offset0:8 offset1:12
	s_waitcnt lgkmcnt(0)
	s_barrier
	s_load_dwordx4 s[20:23], s[0:1], 0x0
	s_load_dwordx8 s[12:19], s[4:5], 0x20
	s_load_dwordx2 s[28:29], s[4:5], 0x48
	v_subrev_co_u32_e64 v11, s[0:1], s24, v0
	s_waitcnt lgkmcnt(0)
	v_pk_mov_b32 v[2:3], s[22:23], s[22:23] op_sel:[0,1]
	v_cmp_lt_i64_e32 vcc, s[20:21], v[2:3]
	s_mov_b32 s25, s2
	v_subb_co_u32_e64 v12, s[0:1], 0, 0, s[0:1]
	s_cbranch_vccnz .LBB28_13
; %bb.10:
	s_lshl_b64 s[0:1], s[20:21], 3
	s_add_u32 s0, s12, s0
	s_addc_u32 s1, s13, s1
	s_load_dwordx2 s[30:31], s[0:1], 0x0
	s_cbranch_execz .LBB28_14
	s_branch .LBB28_43
.LBB28_11:
	v_pk_mov_b32 v[2:3], s[8:9], s[8:9] op_sel:[0,1]
	flat_load_dword v9, v[2:3] offset:4
	s_and_b64 vcc, exec, s[0:1]
	v_mov_b32_e32 v1, s2
	s_cbranch_vccnz .LBB28_4
.LBB28_12:
	v_pk_mov_b32 v[2:3], s[2:3], s[2:3] op_sel:[0,1]
	flat_load_dword v1, v[2:3]
	s_and_b64 vcc, exec, s[0:1]
	v_mov_b32_e32 v2, s3
	s_cbranch_vccz .LBB28_5
	s_branch .LBB28_6
.LBB28_13:
                                        ; implicit-def: $sgpr30_sgpr31
.LBB28_14:
	s_lshl_b64 s[10:11], s[20:21], 3
	s_add_u32 s10, s12, s10
	s_addc_u32 s11, s13, s11
	s_waitcnt lgkmcnt(0)
	s_load_dwordx2 s[30:31], s[10:11], 0x0
	s_add_u32 s46, s12, 8
	s_addc_u32 s47, s13, 0
	s_movk_i32 s33, 0x100
	s_add_u32 s48, s16, 4
	v_cmp_gt_u32_e64 s[0:1], s33, v0
	v_cmp_gt_u32_e64 s[2:3], 64, v0
	;; [unrolled: 1-line block ×4, first 2 shown]
	v_cmp_eq_u32_e64 s[8:9], 0, v0
	s_addc_u32 s49, s17, 0
	v_mov_b32_e32 v13, s19
	v_mov_b32_e32 v14, 0
	s_waitcnt lgkmcnt(0)
	s_mov_b64 s[36:37], s[30:31]
	s_mov_b64 s[34:35], s[20:21]
	s_branch .LBB28_16
.LBB28_15:                              ;   in Loop: Header=BB28_16 Depth=1
	s_or_b64 exec, exec, s[10:11]
	s_add_u32 s34, s34, 1
	s_addc_u32 s35, s35, 0
	v_pk_mov_b32 v[0:1], s[22:23], s[22:23] op_sel:[0,1]
	v_cmp_ge_i64_e32 vcc, s[34:35], v[0:1]
	s_cbranch_vccnz .LBB28_43
.LBB28_16:                              ; =>This Loop Header: Depth=1
                                        ;     Child Loop BB28_18 Depth 2
                                        ;     Child Loop BB28_32 Depth 2
	;; [unrolled: 1-line block ×5, first 2 shown]
	s_lshl_b64 s[38:39], s[34:35], 3
	s_mov_b64 s[10:11], s[36:37]
	s_add_u32 s36, s46, s38
	s_addc_u32 s37, s47, s39
	s_load_dwordx2 s[36:37], s[36:37], 0x0
	v_mov_b32_e32 v1, s11
	v_add_co_u32_e32 v0, vcc, s10, v11
	v_addc_co_u32_e32 v1, vcc, v1, v12, vcc
	s_waitcnt lgkmcnt(0)
	s_sub_u32 s40, s36, s24
	s_subb_u32 s41, s37, 0
	v_cmp_gt_i64_e32 vcc, s[40:41], v[0:1]
	v_mov_b32_e32 v3, 0
	v_mov_b32_e32 v2, 0
	s_and_saveexec_b64 s[42:43], vcc
	s_cbranch_execz .LBB28_20
; %bb.17:                               ;   in Loop: Header=BB28_16 Depth=1
	v_lshlrev_b64 v[2:3], 2, v[0:1]
	v_mov_b32_e32 v5, s15
	v_add_co_u32_e32 v4, vcc, s14, v2
	v_addc_co_u32_e32 v5, vcc, v5, v3, vcc
	v_lshlrev_b64 v[2:3], 3, v[0:1]
	v_mov_b32_e32 v7, s49
	v_add_co_u32_e32 v6, vcc, s48, v2
	v_mov_b32_e32 v2, 0
	v_addc_co_u32_e32 v7, vcc, v7, v3, vcc
	s_mov_b64 s[44:45], 0
	v_mov_b32_e32 v3, v2
.LBB28_18:                              ;   Parent Loop BB28_16 Depth=1
                                        ; =>  This Inner Loop Header: Depth=2
	global_load_dword v15, v[4:5], off
	global_load_dwordx2 v[16:17], v[6:7], off offset:-4
	s_waitcnt vmcnt(1)
	v_subrev_u32_e32 v18, s24, v15
	v_ashrrev_i32_e32 v19, 31, v18
	v_lshlrev_b64 v[18:19], 3, v[18:19]
	v_add_co_u32_e32 v18, vcc, s18, v18
	v_addc_co_u32_e32 v19, vcc, v13, v19, vcc
	global_load_dwordx2 v[18:19], v[18:19], off
	v_add_co_u32_e32 v0, vcc, s33, v0
	v_addc_co_u32_e32 v1, vcc, 0, v1, vcc
	v_add_co_u32_e32 v4, vcc, 0x400, v4
	v_addc_co_u32_e32 v5, vcc, 0, v5, vcc
	s_waitcnt vmcnt(1)
	v_cndmask_b32_e64 v17, v17, -v17, s[26:27]
	v_add_co_u32_e32 v6, vcc, 0x800, v6
	v_cmp_le_i64_e64 s[10:11], s[40:41], v[0:1]
	v_mov_b32_e32 v21, v16
	v_xor_b32_e32 v20, 0x80000000, v17
	v_addc_co_u32_e32 v7, vcc, 0, v7, vcc
	s_or_b64 s[44:45], s[10:11], s[44:45]
	s_waitcnt vmcnt(0)
	v_pk_fma_f32 v[2:3], v[16:17], v[18:19], v[2:3] op_sel_hi:[1,0,1]
	v_pk_fma_f32 v[2:3], v[20:21], v[18:19], v[2:3] op_sel:[0,1,0]
	s_andn2_b64 exec, exec, s[44:45]
	s_cbranch_execnz .LBB28_18
; %bb.19:                               ;   in Loop: Header=BB28_16 Depth=1
	s_or_b64 exec, exec, s[44:45]
.LBB28_20:                              ;   in Loop: Header=BB28_16 Depth=1
	s_or_b64 exec, exec, s[42:43]
	ds_write_b64 v10, v[2:3]
	s_waitcnt lgkmcnt(0)
	s_barrier
	s_and_saveexec_b64 s[10:11], s[0:1]
	s_cbranch_execz .LBB28_22
; %bb.21:                               ;   in Loop: Header=BB28_16 Depth=1
	ds_read2st64_b64 v[0:3], v10 offset1:4
	ds_read2st64_b64 v[4:7], v10 offset0:8 offset1:12
	s_waitcnt lgkmcnt(0)
	v_pk_add_f32 v[2:3], v[4:5], v[2:3]
	v_pk_add_f32 v[2:3], v[2:3], v[6:7]
	v_pk_add_f32 v[0:1], v[2:3], v[0:1]
	ds_write_b64 v10, v[0:1]
.LBB28_22:                              ;   in Loop: Header=BB28_16 Depth=1
	s_or_b64 exec, exec, s[10:11]
	s_waitcnt lgkmcnt(0)
	s_barrier
	s_and_saveexec_b64 s[10:11], s[2:3]
	s_cbranch_execz .LBB28_24
; %bb.23:                               ;   in Loop: Header=BB28_16 Depth=1
	ds_read2st64_b64 v[0:3], v10 offset1:1
	ds_read2st64_b64 v[4:7], v10 offset0:2 offset1:3
	s_waitcnt lgkmcnt(0)
	v_pk_add_f32 v[2:3], v[4:5], v[2:3]
	v_pk_add_f32 v[2:3], v[2:3], v[6:7]
	;; [unrolled: 1-line block ×3, first 2 shown]
	ds_write_b64 v10, v[0:1]
.LBB28_24:                              ;   in Loop: Header=BB28_16 Depth=1
	s_or_b64 exec, exec, s[10:11]
	s_waitcnt lgkmcnt(0)
	s_barrier
	s_and_saveexec_b64 s[10:11], s[4:5]
	s_cbranch_execz .LBB28_26
; %bb.25:                               ;   in Loop: Header=BB28_16 Depth=1
	ds_read2_b64 v[0:3], v10 offset1:16
	ds_read2_b64 v[4:7], v10 offset0:32 offset1:48
	s_waitcnt lgkmcnt(0)
	v_pk_add_f32 v[2:3], v[4:5], v[2:3]
	v_pk_add_f32 v[2:3], v[2:3], v[6:7]
	;; [unrolled: 1-line block ×3, first 2 shown]
	ds_write_b64 v10, v[0:1]
.LBB28_26:                              ;   in Loop: Header=BB28_16 Depth=1
	s_or_b64 exec, exec, s[10:11]
	s_waitcnt lgkmcnt(0)
	s_barrier
	s_and_saveexec_b64 s[10:11], s[6:7]
	s_cbranch_execz .LBB28_28
; %bb.27:                               ;   in Loop: Header=BB28_16 Depth=1
	ds_read2_b64 v[0:3], v10 offset1:4
	ds_read2_b64 v[4:7], v10 offset0:8 offset1:12
	s_waitcnt lgkmcnt(0)
	v_pk_add_f32 v[2:3], v[4:5], v[2:3]
	v_pk_add_f32 v[2:3], v[2:3], v[6:7]
	;; [unrolled: 1-line block ×3, first 2 shown]
	ds_write_b64 v10, v[0:1]
.LBB28_28:                              ;   in Loop: Header=BB28_16 Depth=1
	s_or_b64 exec, exec, s[10:11]
	s_waitcnt lgkmcnt(0)
	s_barrier
	s_and_saveexec_b64 s[10:11], s[8:9]
	s_cbranch_execz .LBB28_30
; %bb.29:                               ;   in Loop: Header=BB28_16 Depth=1
	ds_read_b128 v[0:3], v14 offset:16
	ds_read_b64 v[4:5], v14 offset:8
	ds_read_b64 v[6:7], v10
	s_waitcnt lgkmcnt(1)
	v_pk_add_f32 v[0:1], v[0:1], v[4:5]
	v_pk_add_f32 v[0:1], v[0:1], v[2:3]
	s_waitcnt lgkmcnt(0)
	v_pk_add_f32 v[0:1], v[0:1], v[6:7]
	ds_write_b64 v10, v[0:1]
.LBB28_30:                              ;   in Loop: Header=BB28_16 Depth=1
	s_or_b64 exec, exec, s[10:11]
	s_waitcnt lgkmcnt(0)
	s_barrier
	s_and_saveexec_b64 s[10:11], s[8:9]
	s_cbranch_execz .LBB28_15
; %bb.31:                               ;   in Loop: Header=BB28_16 Depth=1
	ds_read_b64 v[0:1], v14
	s_mov_b64 s[40:41], exec
	v_bfrev_b32_e32 v4, 1
	s_waitcnt lgkmcnt(0)
	v_mul_f32_e64 v2, v1, -v9
	v_fmac_f32_e32 v2, v8, v0
.LBB28_32:                              ;   Parent Loop BB28_16 Depth=1
                                        ; =>  This Inner Loop Header: Depth=2
	s_ff1_i32_b64 s42, s[40:41]
	v_readlane_b32 s44, v2, s42
	s_lshl_b64 s[42:43], 1, s42
	s_andn2_b64 s[40:41], s[40:41], s[42:43]
	s_cmp_lg_u64 s[40:41], 0
	v_add_f32_e32 v4, s44, v4
	s_cbranch_scc1 .LBB28_32
; %bb.33:                               ;   in Loop: Header=BB28_16 Depth=1
	v_mbcnt_lo_u32_b32 v2, exec_lo, 0
	s_add_u32 s38, s28, s38
	v_mbcnt_hi_u32_b32 v2, exec_hi, v2
	s_addc_u32 s39, s29, s39
	v_cmp_eq_u32_e32 vcc, 0, v2
	s_and_saveexec_b64 s[40:41], vcc
	s_xor_b64 s[40:41], exec, s[40:41]
	s_cbranch_execz .LBB28_37
; %bb.34:                               ;   in Loop: Header=BB28_16 Depth=1
	global_load_dword v3, v14, s[38:39]
	s_mov_b64 s[42:43], 0
.LBB28_35:                              ;   Parent Loop BB28_16 Depth=1
                                        ; =>  This Inner Loop Header: Depth=2
	s_waitcnt vmcnt(0)
	v_add_f32_e32 v2, v3, v4
	global_atomic_cmpswap v2, v14, v[2:3], s[38:39] glc
	s_waitcnt vmcnt(0)
	v_cmp_eq_u32_e32 vcc, v2, v3
	s_or_b64 s[42:43], vcc, s[42:43]
	v_mov_b32_e32 v3, v2
	s_andn2_b64 exec, exec, s[42:43]
	s_cbranch_execnz .LBB28_35
; %bb.36:                               ;   in Loop: Header=BB28_16 Depth=1
	s_or_b64 exec, exec, s[42:43]
.LBB28_37:                              ;   in Loop: Header=BB28_16 Depth=1
	s_or_b64 exec, exec, s[40:41]
	v_mul_f32_e32 v1, v1, v8
	s_mov_b64 s[40:41], exec
	v_fmac_f32_e32 v1, v9, v0
	v_bfrev_b32_e32 v2, 1
.LBB28_38:                              ;   Parent Loop BB28_16 Depth=1
                                        ; =>  This Inner Loop Header: Depth=2
	s_ff1_i32_b64 s42, s[40:41]
	v_readlane_b32 s44, v1, s42
	s_lshl_b64 s[42:43], 1, s42
	s_andn2_b64 s[40:41], s[40:41], s[42:43]
	s_cmp_lg_u64 s[40:41], 0
	v_add_f32_e32 v2, s44, v2
	s_cbranch_scc1 .LBB28_38
; %bb.39:                               ;   in Loop: Header=BB28_16 Depth=1
	v_mbcnt_lo_u32_b32 v0, exec_lo, 0
	v_mbcnt_hi_u32_b32 v0, exec_hi, v0
	v_cmp_eq_u32_e32 vcc, 0, v0
	s_and_saveexec_b64 s[40:41], vcc
	s_xor_b64 s[40:41], exec, s[40:41]
	s_cbranch_execz .LBB28_15
; %bb.40:                               ;   in Loop: Header=BB28_16 Depth=1
	global_load_dword v1, v14, s[38:39] offset:4
	s_mov_b64 s[40:41], 0
.LBB28_41:                              ;   Parent Loop BB28_16 Depth=1
                                        ; =>  This Inner Loop Header: Depth=2
	s_waitcnt vmcnt(0)
	v_add_f32_e32 v0, v1, v2
	global_atomic_cmpswap v0, v14, v[0:1], s[38:39] offset:4 glc
	s_waitcnt vmcnt(0)
	v_cmp_eq_u32_e32 vcc, v0, v1
	s_or_b64 s[40:41], vcc, s[40:41]
	v_mov_b32_e32 v1, v0
	s_andn2_b64 exec, exec, s[40:41]
	s_cbranch_execnz .LBB28_41
; %bb.42:                               ;   in Loop: Header=BB28_16 Depth=1
	s_or_b64 exec, exec, s[40:41]
	s_branch .LBB28_15
.LBB28_43:
	s_lshl_b64 s[0:1], s[22:23], 3
	s_add_u32 s0, s12, s0
	s_addc_u32 s1, s13, s1
	s_load_dwordx2 s[0:1], s[0:1], 0x0
	s_waitcnt lgkmcnt(0)
	v_mov_b32_e32 v1, s31
	v_add_co_u32_e32 v0, vcc, s30, v11
	v_addc_co_u32_e32 v1, vcc, v1, v12, vcc
	s_sub_u32 s4, s0, s24
	s_subb_u32 s5, s1, 0
	v_cmp_gt_i64_e32 vcc, s[4:5], v[0:1]
	s_and_b64 exec, exec, vcc
	s_cbranch_execz .LBB28_55
; %bb.44:
	s_add_u32 s6, s22, -1
	s_addc_u32 s7, s23, -1
	s_add_u32 s0, s22, -2
	s_addc_u32 s1, s23, -1
	v_pk_mov_b32 v[2:3], s[20:21], s[20:21] op_sel:[0,1]
	s_cmp_lg_u64 s[0:1], s[20:21]
	v_cmp_gt_i64_e32 vcc, s[6:7], v[2:3]
	s_cselect_b64 s[0:1], -1, 0
	s_and_b64 s[0:1], vcc, s[0:1]
	v_cndmask_b32_e64 v2, 0, 1, s[0:1]
	s_mov_b64 s[8:9], 0
	v_cmp_ne_u32_e64 s[0:1], 1, v2
	v_mov_b32_e32 v10, s13
	v_mov_b32_e32 v11, s25
	;; [unrolled: 1-line block ×3, first 2 shown]
	s_branch .LBB28_46
.LBB28_45:                              ;   in Loop: Header=BB28_46 Depth=1
	s_or_b64 exec, exec, s[2:3]
	v_add_co_u32_e32 v0, vcc, 0x100, v0
	v_addc_co_u32_e32 v1, vcc, 0, v1, vcc
	v_cmp_le_i64_e32 vcc, s[4:5], v[0:1]
	s_or_b64 s[8:9], vcc, s[8:9]
	s_andn2_b64 exec, exec, s[8:9]
	s_cbranch_execz .LBB28_55
.LBB28_46:                              ; =>This Loop Header: Depth=1
                                        ;     Child Loop BB28_48 Depth 2
                                        ;     Child Loop BB28_52 Depth 2
	;; [unrolled: 1-line block ×3, first 2 shown]
	s_and_b64 vcc, exec, s[0:1]
	v_pk_mov_b32 v[2:3], s[20:21], s[20:21] op_sel:[0,1]
	v_pk_mov_b32 v[4:5], s[6:7], s[6:7] op_sel:[0,1]
	s_cbranch_vccnz .LBB28_50
; %bb.47:                               ;   in Loop: Header=BB28_46 Depth=1
	s_mov_b64 s[10:11], 0
	v_pk_mov_b32 v[2:3], s[20:21], s[20:21] op_sel:[0,1]
	v_pk_mov_b32 v[4:5], s[6:7], s[6:7] op_sel:[0,1]
.LBB28_48:                              ;   Parent Loop BB28_46 Depth=1
                                        ; =>  This Inner Loop Header: Depth=2
	v_add_co_u32_e32 v6, vcc, v4, v2
	v_addc_co_u32_e32 v7, vcc, v5, v3, vcc
	v_lshrrev_b32_e32 v14, 31, v7
	v_add_co_u32_e32 v6, vcc, v6, v14
	v_addc_co_u32_e32 v7, vcc, 0, v7, vcc
	v_ashrrev_i64 v[6:7], 1, v[6:7]
	v_lshlrev_b64 v[14:15], 3, v[6:7]
	v_mov_b32_e32 v13, s13
	v_add_co_u32_e32 v14, vcc, s12, v14
	v_addc_co_u32_e32 v15, vcc, v13, v15, vcc
	global_load_dwordx2 v[14:15], v[14:15], off
	v_mov_b32_e32 v13, s25
	s_waitcnt vmcnt(0)
	v_subrev_co_u32_e32 v14, vcc, s24, v14
	v_subb_co_u32_e32 v15, vcc, v15, v13, vcc
	v_cmp_gt_i64_e32 vcc, v[14:15], v[0:1]
	v_cndmask_b32_e32 v4, v4, v6, vcc
	v_cndmask_b32_e32 v5, v5, v7, vcc
	;; [unrolled: 1-line block ×3, first 2 shown]
	v_add_co_u32_e64 v6, s[2:3], -1, v4
	v_cndmask_b32_e32 v3, v7, v3, vcc
	v_addc_co_u32_e64 v7, s[2:3], -1, v5, s[2:3]
	v_cmp_ge_i64_e32 vcc, v[2:3], v[4:5]
	v_cmp_eq_u64_e64 s[2:3], v[2:3], v[6:7]
	s_or_b64 s[2:3], vcc, s[2:3]
	s_and_b64 s[2:3], exec, s[2:3]
	s_or_b64 s[10:11], s[2:3], s[10:11]
	s_andn2_b64 exec, exec, s[10:11]
	s_cbranch_execnz .LBB28_48
; %bb.49:                               ;   in Loop: Header=BB28_46 Depth=1
	s_or_b64 exec, exec, s[10:11]
.LBB28_50:                              ;   in Loop: Header=BB28_46 Depth=1
	v_lshlrev_b64 v[6:7], 3, v[4:5]
	v_add_co_u32_e32 v6, vcc, s12, v6
	v_addc_co_u32_e32 v7, vcc, v10, v7, vcc
	v_lshlrev_b64 v[14:15], 2, v[0:1]
	global_load_dwordx2 v[6:7], v[6:7], off
	v_add_co_u32_e32 v14, vcc, s14, v14
	v_addc_co_u32_e32 v15, vcc, v12, v15, vcc
	global_load_dword v13, v[14:15], off
	s_waitcnt vmcnt(1)
	v_subrev_co_u32_e32 v14, vcc, s24, v6
	v_subb_co_u32_e32 v15, vcc, v7, v11, vcc
	v_cmp_gt_i64_e32 vcc, v[14:15], v[0:1]
	s_waitcnt vmcnt(0)
	v_subrev_u32_e32 v6, s24, v13
	v_cndmask_b32_e32 v3, v5, v3, vcc
	v_cndmask_b32_e32 v2, v4, v2, vcc
	v_ashrrev_i32_e32 v7, 31, v6
	v_cmp_ne_u64_e32 vcc, v[2:3], v[6:7]
	s_and_saveexec_b64 s[2:3], vcc
	s_cbranch_execz .LBB28_45
; %bb.51:                               ;   in Loop: Header=BB28_46 Depth=1
	v_lshlrev_b64 v[4:5], 3, v[0:1]
	v_mov_b32_e32 v14, s17
	v_add_co_u32_e32 v4, vcc, s16, v4
	v_addc_co_u32_e32 v5, vcc, v14, v5, vcc
	global_load_dwordx2 v[16:17], v[4:5], off
	v_lshlrev_b64 v[2:3], 3, v[2:3]
	v_mov_b32_e32 v4, s19
	v_add_co_u32_e32 v2, vcc, s18, v2
	v_lshlrev_b64 v[6:7], 3, v[6:7]
	v_addc_co_u32_e32 v3, vcc, v4, v3, vcc
	v_mov_b32_e32 v13, s29
	global_load_dwordx2 v[4:5], v[2:3], off
	v_add_co_u32_e32 v2, vcc, s28, v6
	v_addc_co_u32_e32 v3, vcc, v13, v7, vcc
	global_load_dword v7, v[2:3], off
	s_mov_b64 s[10:11], 0
	s_waitcnt vmcnt(2)
	v_cndmask_b32_e64 v6, v17, -v17, s[26:27]
	v_mul_f32_e32 v14, v6, v8
	v_mul_f32_e64 v13, v6, -v9
	v_fmac_f32_e32 v14, v9, v16
	v_fmac_f32_e32 v13, v8, v16
	s_waitcnt vmcnt(1)
	v_mul_f32_e64 v15, v5, -v14
	v_fmac_f32_e32 v15, v13, v4
.LBB28_52:                              ;   Parent Loop BB28_46 Depth=1
                                        ; =>  This Inner Loop Header: Depth=2
	s_waitcnt vmcnt(0)
	v_add_f32_e32 v6, v7, v15
	global_atomic_cmpswap v6, v[2:3], v[6:7], off glc
	s_waitcnt vmcnt(0)
	v_cmp_eq_u32_e32 vcc, v6, v7
	s_or_b64 s[10:11], vcc, s[10:11]
	v_mov_b32_e32 v7, v6
	s_andn2_b64 exec, exec, s[10:11]
	s_cbranch_execnz .LBB28_52
; %bb.53:                               ;   in Loop: Header=BB28_46 Depth=1
	s_or_b64 exec, exec, s[10:11]
	global_load_dword v7, v[2:3], off offset:4
	v_mul_f32_e32 v5, v5, v13
	v_fmac_f32_e32 v5, v14, v4
	s_mov_b64 s[10:11], 0
.LBB28_54:                              ;   Parent Loop BB28_46 Depth=1
                                        ; =>  This Inner Loop Header: Depth=2
	s_waitcnt vmcnt(0)
	v_add_f32_e32 v6, v7, v5
	global_atomic_cmpswap v4, v[2:3], v[6:7], off offset:4 glc
	s_waitcnt vmcnt(0)
	v_cmp_eq_u32_e32 vcc, v4, v7
	s_or_b64 s[10:11], vcc, s[10:11]
	v_mov_b32_e32 v7, v4
	s_andn2_b64 exec, exec, s[10:11]
	s_cbranch_execnz .LBB28_54
	s_branch .LBB28_45
.LBB28_55:
	s_endpgm
	.section	.rodata,"a",@progbits
	.p2align	6, 0x0
	.amdhsa_kernel _ZL33csrmvn_symm_large_adaptive_kernelIli21rocsparse_complex_numIfES1_S1_S1_EvbT_PKS2_N9rocsparse24const_host_device_scalarIT4_EES4_PKT0_PKT1_PKT2_S8_PT3_21rocsparse_index_base_b
		.amdhsa_group_segment_fixed_size 8192
		.amdhsa_private_segment_fixed_size 0
		.amdhsa_kernarg_size 88
		.amdhsa_user_sgpr_count 6
		.amdhsa_user_sgpr_private_segment_buffer 1
		.amdhsa_user_sgpr_dispatch_ptr 0
		.amdhsa_user_sgpr_queue_ptr 0
		.amdhsa_user_sgpr_kernarg_segment_ptr 1
		.amdhsa_user_sgpr_dispatch_id 0
		.amdhsa_user_sgpr_flat_scratch_init 0
		.amdhsa_user_sgpr_kernarg_preload_length 0
		.amdhsa_user_sgpr_kernarg_preload_offset 0
		.amdhsa_user_sgpr_private_segment_size 0
		.amdhsa_uses_dynamic_stack 0
		.amdhsa_system_sgpr_private_segment_wavefront_offset 0
		.amdhsa_system_sgpr_workgroup_id_x 1
		.amdhsa_system_sgpr_workgroup_id_y 0
		.amdhsa_system_sgpr_workgroup_id_z 0
		.amdhsa_system_sgpr_workgroup_info 0
		.amdhsa_system_vgpr_workitem_id 0
		.amdhsa_next_free_vgpr 22
		.amdhsa_next_free_sgpr 50
		.amdhsa_accum_offset 24
		.amdhsa_reserve_vcc 1
		.amdhsa_reserve_flat_scratch 0
		.amdhsa_float_round_mode_32 0
		.amdhsa_float_round_mode_16_64 0
		.amdhsa_float_denorm_mode_32 3
		.amdhsa_float_denorm_mode_16_64 3
		.amdhsa_dx10_clamp 1
		.amdhsa_ieee_mode 1
		.amdhsa_fp16_overflow 0
		.amdhsa_tg_split 0
		.amdhsa_exception_fp_ieee_invalid_op 0
		.amdhsa_exception_fp_denorm_src 0
		.amdhsa_exception_fp_ieee_div_zero 0
		.amdhsa_exception_fp_ieee_overflow 0
		.amdhsa_exception_fp_ieee_underflow 0
		.amdhsa_exception_fp_ieee_inexact 0
		.amdhsa_exception_int_div_zero 0
	.end_amdhsa_kernel
	.section	.text._ZL33csrmvn_symm_large_adaptive_kernelIli21rocsparse_complex_numIfES1_S1_S1_EvbT_PKS2_N9rocsparse24const_host_device_scalarIT4_EES4_PKT0_PKT1_PKT2_S8_PT3_21rocsparse_index_base_b,"axG",@progbits,_ZL33csrmvn_symm_large_adaptive_kernelIli21rocsparse_complex_numIfES1_S1_S1_EvbT_PKS2_N9rocsparse24const_host_device_scalarIT4_EES4_PKT0_PKT1_PKT2_S8_PT3_21rocsparse_index_base_b,comdat
.Lfunc_end28:
	.size	_ZL33csrmvn_symm_large_adaptive_kernelIli21rocsparse_complex_numIfES1_S1_S1_EvbT_PKS2_N9rocsparse24const_host_device_scalarIT4_EES4_PKT0_PKT1_PKT2_S8_PT3_21rocsparse_index_base_b, .Lfunc_end28-_ZL33csrmvn_symm_large_adaptive_kernelIli21rocsparse_complex_numIfES1_S1_S1_EvbT_PKS2_N9rocsparse24const_host_device_scalarIT4_EES4_PKT0_PKT1_PKT2_S8_PT3_21rocsparse_index_base_b
                                        ; -- End function
	.section	.AMDGPU.csdata,"",@progbits
; Kernel info:
; codeLenInByte = 2252
; NumSgprs: 54
; NumVgprs: 22
; NumAgprs: 0
; TotalNumVgprs: 22
; ScratchSize: 0
; MemoryBound: 0
; FloatMode: 240
; IeeeMode: 1
; LDSByteSize: 8192 bytes/workgroup (compile time only)
; SGPRBlocks: 6
; VGPRBlocks: 2
; NumSGPRsForWavesPerEU: 54
; NumVGPRsForWavesPerEU: 22
; AccumOffset: 24
; Occupancy: 8
; WaveLimiterHint : 1
; COMPUTE_PGM_RSRC2:SCRATCH_EN: 0
; COMPUTE_PGM_RSRC2:USER_SGPR: 6
; COMPUTE_PGM_RSRC2:TRAP_HANDLER: 0
; COMPUTE_PGM_RSRC2:TGID_X_EN: 1
; COMPUTE_PGM_RSRC2:TGID_Y_EN: 0
; COMPUTE_PGM_RSRC2:TGID_Z_EN: 0
; COMPUTE_PGM_RSRC2:TIDIG_COMP_CNT: 0
; COMPUTE_PGM_RSRC3_GFX90A:ACCUM_OFFSET: 5
; COMPUTE_PGM_RSRC3_GFX90A:TG_SPLIT: 0
	.section	.text._ZN9rocsparseL22csrmvn_adaptive_kernelIll21rocsparse_complex_numIfES2_S2_S2_EEvbT_PKS3_PjPKT0_NS_24const_host_device_scalarIT4_EES5_S9_PKT1_PKT2_SC_PT3_21rocsparse_index_base_b,"axG",@progbits,_ZN9rocsparseL22csrmvn_adaptive_kernelIll21rocsparse_complex_numIfES2_S2_S2_EEvbT_PKS3_PjPKT0_NS_24const_host_device_scalarIT4_EES5_S9_PKT1_PKT2_SC_PT3_21rocsparse_index_base_b,comdat
	.globl	_ZN9rocsparseL22csrmvn_adaptive_kernelIll21rocsparse_complex_numIfES2_S2_S2_EEvbT_PKS3_PjPKT0_NS_24const_host_device_scalarIT4_EES5_S9_PKT1_PKT2_SC_PT3_21rocsparse_index_base_b ; -- Begin function _ZN9rocsparseL22csrmvn_adaptive_kernelIll21rocsparse_complex_numIfES2_S2_S2_EEvbT_PKS3_PjPKT0_NS_24const_host_device_scalarIT4_EES5_S9_PKT1_PKT2_SC_PT3_21rocsparse_index_base_b
	.p2align	8
	.type	_ZN9rocsparseL22csrmvn_adaptive_kernelIll21rocsparse_complex_numIfES2_S2_S2_EEvbT_PKS3_PjPKT0_NS_24const_host_device_scalarIT4_EES5_S9_PKT1_PKT2_SC_PT3_21rocsparse_index_base_b,@function
_ZN9rocsparseL22csrmvn_adaptive_kernelIll21rocsparse_complex_numIfES2_S2_S2_EEvbT_PKS3_PjPKT0_NS_24const_host_device_scalarIT4_EES5_S9_PKT1_PKT2_SC_PT3_21rocsparse_index_base_b: ; @_ZN9rocsparseL22csrmvn_adaptive_kernelIll21rocsparse_complex_numIfES2_S2_S2_EEvbT_PKS3_PjPKT0_NS_24const_host_device_scalarIT4_EES5_S9_PKT1_PKT2_SC_PT3_21rocsparse_index_base_b
; %bb.0:
	s_load_dwordx2 s[44:45], s[4:5], 0x60
	s_load_dwordx2 s[8:9], s[4:5], 0x28
	;; [unrolled: 1-line block ×3, first 2 shown]
	s_waitcnt lgkmcnt(0)
	s_bitcmp1_b32 s45, 0
	s_cselect_b64 s[0:1], -1, 0
	s_xor_b64 s[10:11], s[0:1], -1
	s_and_b64 vcc, exec, s[0:1]
	v_mov_b32_e32 v2, s8
	s_cbranch_vccnz .LBB29_2
; %bb.1:
	v_pk_mov_b32 v[2:3], s[8:9], s[8:9] op_sel:[0,1]
	flat_load_dword v2, v[2:3]
.LBB29_2:
	v_cndmask_b32_e64 v1, 0, 1, s[10:11]
	v_cmp_ne_u32_e64 s[0:1], 1, v1
	s_andn2_b64 vcc, exec, s[10:11]
	v_mov_b32_e32 v3, s9
	s_cbranch_vccz .LBB29_38
; %bb.3:
	s_and_b64 vcc, exec, s[0:1]
	v_mov_b32_e32 v6, s2
	s_cbranch_vccz .LBB29_39
.LBB29_4:
	s_and_b64 vcc, exec, s[0:1]
	v_mov_b32_e32 v7, s3
	s_cbranch_vccnz .LBB29_6
.LBB29_5:
	v_pk_mov_b32 v[4:5], s[2:3], s[2:3] op_sel:[0,1]
	flat_load_dword v7, v[4:5] offset:4
.LBB29_6:
	s_waitcnt vmcnt(0) lgkmcnt(0)
	v_and_b32_e32 v1, 0x7fffffff, v2
	v_cmp_eq_u32_e32 vcc, 0, v1
	v_cmp_eq_f32_e64 s[0:1], 0, v3
	s_and_b64 s[8:9], vcc, s[0:1]
	s_mov_b64 s[0:1], -1
	s_and_saveexec_b64 s[2:3], s[8:9]
; %bb.7:
	v_and_b32_e32 v1, 0x7fffffff, v7
	v_cmp_neq_f32_e32 vcc, 1.0, v6
	v_cmp_ne_u32_e64 s[0:1], 0, v1
	s_or_b64 s[0:1], vcc, s[0:1]
	s_orn2_b64 s[0:1], s[0:1], exec
; %bb.8:
	s_or_b64 exec, exec, s[2:3]
	s_and_saveexec_b64 s[2:3], s[0:1]
	s_cbranch_execz .LBB29_125
; %bb.9:
	s_load_dwordx2 s[2:3], s[4:5], 0x20
	s_load_dword s7, s[4:5], 0x0
	s_load_dwordx2 s[0:1], s[4:5], 0x10
	s_waitcnt lgkmcnt(0)
	s_bitcmp1_b32 s7, 0
	s_cselect_b64 s[46:47], -1, 0
	s_ashr_i32 s7, s6, 31
	s_lshl_b64 s[8:9], s[6:7], 3
	s_add_u32 s0, s0, s8
	s_addc_u32 s1, s1, s9
	s_load_dwordx4 s[36:39], s[0:1], 0x0
	s_load_dwordx2 s[22:23], s[4:5], 0x58
	s_load_dwordx8 s[24:31], s[4:5], 0x30
	s_waitcnt lgkmcnt(0)
	s_sub_u32 s0, s38, s36
	s_subb_u32 s1, s39, s37
	s_add_u32 s2, s2, s8
	s_addc_u32 s3, s3, s9
	s_lshl_b64 s[48:49], s[36:37], 3
	s_add_u32 s42, s24, s48
	s_addc_u32 s43, s25, s49
	s_load_dwordx2 s[34:35], s[2:3], 0x0
	s_load_dwordx2 s[40:41], s[42:43], 0x0
	v_cmp_lt_i64_e64 s[8:9], s[0:1], 2
	s_mov_b64 s[2:3], -1
	s_and_b64 vcc, exec, s[8:9]
	s_cbranch_vccz .LBB29_81
; %bb.10:
	s_cmp_lg_u64 s[0:1], 1
	s_cselect_b64 s[0:1], -1, 0
	s_waitcnt lgkmcnt(0)
	s_cmp_lg_u64 s[34:35], 0
	s_cselect_b64 s[2:3], -1, 0
	s_or_b64 s[2:3], s[0:1], s[2:3]
	s_mov_b64 s[0:1], -1
	s_and_b64 vcc, exec, s[2:3]
	s_cbranch_vccnz .LBB29_41
; %bb.11:
	v_pk_mov_b32 v[4:5], s[36:37], s[36:37] op_sel:[0,1]
	v_cmp_le_i64_e32 vcc, s[38:39], v[4:5]
	s_cbranch_vccnz .LBB29_40
; %bb.12:
	v_subrev_co_u32_e32 v1, vcc, s44, v0
	v_and_b32_e32 v5, 0x7fffffff, v6
	v_subb_co_u32_e64 v20, s[0:1], 0, 0, vcc
	v_cmp_ne_u32_e32 vcc, 0, v5
	v_cmp_neq_f32_e64 s[20:21], 0, v7
	s_or_b64 s[50:51], vcc, s[20:21]
	s_add_u32 s33, s24, 8
	s_addc_u32 s45, s25, 0
	s_mov_b32 s52, 0
	s_movk_i32 s0, 0x80
	s_add_u32 s64, s28, 4
	v_xor_b32_e32 v4, 0x80000000, v3
	v_lshlrev_b32_e32 v21, 3, v0
	v_cmp_gt_u32_e64 s[0:1], s0, v0
	v_cmp_gt_u32_e64 s[2:3], 64, v0
	;; [unrolled: 1-line block ×7, first 2 shown]
	v_cmp_eq_u32_e64 s[18:19], 0, v0
	v_xor_b32_e32 v8, 0x80000000, v7
	v_mov_b32_e32 v9, v6
	v_mov_b32_e32 v5, v2
	s_addc_u32 s65, s29, 0
	v_mov_b32_e32 v22, s52
	v_mov_b32_e32 v23, s31
	s_movk_i32 s66, 0x100
	v_mov_b32_e32 v24, 0
	v_pk_mov_b32 v[10:11], s[38:39], s[38:39] op_sel:[0,1]
	s_mov_b64 s[54:55], s[40:41]
	s_mov_b64 s[52:53], s[36:37]
	s_branch .LBB29_15
.LBB29_13:                              ;   in Loop: Header=BB29_15 Depth=1
	s_or_b64 exec, exec, s[58:59]
	s_add_u32 s56, s22, s56
	s_addc_u32 s57, s23, s57
	s_waitcnt lgkmcnt(0)
	global_store_dwordx2 v24, v[12:13], s[56:57]
.LBB29_14:                              ;   in Loop: Header=BB29_15 Depth=1
	s_or_b64 exec, exec, s[20:21]
	s_add_u32 s52, s52, 1
	s_addc_u32 s53, s53, 0
	v_cmp_ge_i64_e32 vcc, s[52:53], v[10:11]
	s_cbranch_vccnz .LBB29_40
.LBB29_15:                              ; =>This Loop Header: Depth=1
                                        ;     Child Loop BB29_17 Depth 2
	s_lshl_b64 s[56:57], s[52:53], 3
	s_mov_b64 s[20:21], s[54:55]
	s_add_u32 s54, s33, s56
	s_addc_u32 s55, s45, s57
	s_load_dwordx2 s[54:55], s[54:55], 0x0
	v_mov_b32_e32 v13, s21
	v_add_co_u32_e32 v12, vcc, s20, v1
	v_addc_co_u32_e32 v13, vcc, v13, v20, vcc
	s_waitcnt lgkmcnt(0)
	s_sub_u32 s58, s54, s44
	s_subb_u32 s59, s55, 0
	v_cmp_gt_i64_e32 vcc, s[58:59], v[12:13]
	v_mov_b32_e32 v15, 0
	v_mov_b32_e32 v14, 0
	s_and_saveexec_b64 s[60:61], vcc
	s_cbranch_execz .LBB29_19
; %bb.16:                               ;   in Loop: Header=BB29_15 Depth=1
	v_lshlrev_b64 v[14:15], 3, v[12:13]
	v_mov_b32_e32 v17, s65
	v_add_co_u32_e32 v16, vcc, s64, v14
	v_addc_co_u32_e32 v17, vcc, v17, v15, vcc
	v_mov_b32_e32 v19, s27
	v_add_co_u32_e32 v18, vcc, s26, v14
	v_mov_b32_e32 v14, 0
	v_addc_co_u32_e32 v19, vcc, v19, v15, vcc
	s_mov_b64 s[62:63], 0
	v_mov_b32_e32 v15, v14
.LBB29_17:                              ;   Parent Loop BB29_15 Depth=1
                                        ; =>  This Inner Loop Header: Depth=2
	global_load_dwordx2 v[26:27], v[18:19], off
	global_load_dwordx2 v[28:29], v[16:17], off offset:-4
	s_waitcnt vmcnt(1)
	v_subrev_co_u32_e32 v26, vcc, s44, v26
	v_subb_co_u32_e32 v27, vcc, v27, v22, vcc
	v_lshlrev_b64 v[26:27], 3, v[26:27]
	v_add_co_u32_e32 v26, vcc, s30, v26
	v_addc_co_u32_e32 v27, vcc, v23, v27, vcc
	global_load_dwordx2 v[26:27], v[26:27], off
	v_add_co_u32_e32 v12, vcc, s66, v12
	v_addc_co_u32_e32 v13, vcc, 0, v13, vcc
	s_waitcnt vmcnt(1)
	v_cndmask_b32_e64 v30, v29, -v29, s[46:47]
	v_add_co_u32_e32 v16, vcc, 0x800, v16
	v_pk_mul_f32 v[30:31], v[30:31], v[4:5] op_sel_hi:[0,1]
	v_addc_co_u32_e32 v17, vcc, 0, v17, vcc
	v_pk_fma_f32 v[28:29], v[2:3], v[28:29], v[30:31] op_sel_hi:[1,0,1]
	v_add_co_u32_e32 v18, vcc, 0x800, v18
	v_cmp_le_i64_e64 s[20:21], s[58:59], v[12:13]
	v_addc_co_u32_e32 v19, vcc, 0, v19, vcc
	s_or_b64 s[62:63], s[20:21], s[62:63]
	s_waitcnt vmcnt(0)
	v_pk_fma_f32 v[14:15], v[28:29], v[26:27], v[14:15] op_sel_hi:[1,0,1]
	v_pk_fma_f32 v[14:15], v[28:29], v[26:27], v[14:15] op_sel:[1,1,0] op_sel_hi:[0,1,1] neg_lo:[1,0,0]
	s_andn2_b64 exec, exec, s[62:63]
	s_cbranch_execnz .LBB29_17
; %bb.18:                               ;   in Loop: Header=BB29_15 Depth=1
	s_or_b64 exec, exec, s[62:63]
.LBB29_19:                              ;   in Loop: Header=BB29_15 Depth=1
	s_or_b64 exec, exec, s[60:61]
	ds_write_b64 v21, v[14:15]
	s_waitcnt lgkmcnt(0)
	s_barrier
	s_and_saveexec_b64 s[20:21], s[0:1]
	s_cbranch_execz .LBB29_21
; %bb.20:                               ;   in Loop: Header=BB29_15 Depth=1
	ds_read2st64_b64 v[12:15], v21 offset1:2
	s_waitcnt lgkmcnt(0)
	v_pk_add_f32 v[12:13], v[14:15], v[12:13]
	ds_write_b64 v21, v[12:13]
.LBB29_21:                              ;   in Loop: Header=BB29_15 Depth=1
	s_or_b64 exec, exec, s[20:21]
	s_waitcnt lgkmcnt(0)
	s_barrier
	s_and_saveexec_b64 s[20:21], s[2:3]
	s_cbranch_execz .LBB29_23
; %bb.22:                               ;   in Loop: Header=BB29_15 Depth=1
	ds_read2st64_b64 v[12:15], v21 offset1:1
	s_waitcnt lgkmcnt(0)
	v_pk_add_f32 v[12:13], v[14:15], v[12:13]
	ds_write_b64 v21, v[12:13]
.LBB29_23:                              ;   in Loop: Header=BB29_15 Depth=1
	s_or_b64 exec, exec, s[20:21]
	s_waitcnt lgkmcnt(0)
	s_barrier
	s_and_saveexec_b64 s[20:21], s[8:9]
	s_cbranch_execz .LBB29_25
; %bb.24:                               ;   in Loop: Header=BB29_15 Depth=1
	ds_read2_b64 v[12:15], v21 offset1:32
	s_waitcnt lgkmcnt(0)
	v_pk_add_f32 v[12:13], v[14:15], v[12:13]
	ds_write_b64 v21, v[12:13]
.LBB29_25:                              ;   in Loop: Header=BB29_15 Depth=1
	s_or_b64 exec, exec, s[20:21]
	s_waitcnt lgkmcnt(0)
	s_barrier
	s_and_saveexec_b64 s[20:21], s[10:11]
	s_cbranch_execz .LBB29_27
; %bb.26:                               ;   in Loop: Header=BB29_15 Depth=1
	ds_read2_b64 v[12:15], v21 offset1:16
	s_waitcnt lgkmcnt(0)
	v_pk_add_f32 v[12:13], v[14:15], v[12:13]
	ds_write_b64 v21, v[12:13]
.LBB29_27:                              ;   in Loop: Header=BB29_15 Depth=1
	;; [unrolled: 11-line block ×6, first 2 shown]
	s_or_b64 exec, exec, s[20:21]
	s_waitcnt lgkmcnt(0)
	s_barrier
	s_and_saveexec_b64 s[20:21], s[18:19]
	s_cbranch_execz .LBB29_14
; %bb.36:                               ;   in Loop: Header=BB29_15 Depth=1
	ds_read_b64 v[12:13], v24
	s_and_saveexec_b64 s[58:59], s[50:51]
	s_cbranch_execz .LBB29_13
; %bb.37:                               ;   in Loop: Header=BB29_15 Depth=1
	s_add_u32 s60, s22, s56
	s_addc_u32 s61, s23, s57
	global_load_dwordx2 v[14:15], v24, s[60:61]
	s_waitcnt vmcnt(0) lgkmcnt(0)
	v_pk_fma_f32 v[12:13], v[6:7], v[14:15], v[12:13] op_sel_hi:[1,0,1]
	v_pk_fma_f32 v[12:13], v[8:9], v[14:15], v[12:13] op_sel:[0,1,0]
	s_branch .LBB29_13
.LBB29_38:
	v_pk_mov_b32 v[4:5], s[8:9], s[8:9] op_sel:[0,1]
	flat_load_dword v3, v[4:5] offset:4
	s_and_b64 vcc, exec, s[0:1]
	v_mov_b32_e32 v6, s2
	s_cbranch_vccnz .LBB29_4
.LBB29_39:
	v_pk_mov_b32 v[4:5], s[2:3], s[2:3] op_sel:[0,1]
	flat_load_dword v6, v[4:5]
	s_and_b64 vcc, exec, s[0:1]
	v_mov_b32_e32 v7, s3
	s_cbranch_vccz .LBB29_5
	s_branch .LBB29_6
.LBB29_40:
	s_mov_b64 s[0:1], 0
.LBB29_41:
	s_andn2_b64 vcc, exec, s[0:1]
	s_cbranch_vccnz .LBB29_80
; %bb.42:
	s_load_dwordx2 s[8:9], s[4:5], 0x18
	s_sub_u32 s10, s6, s34
	s_subb_u32 s11, s7, s35
	s_lshl_b64 s[0:1], s[6:7], 2
	s_mov_b32 s21, 0
	s_waitcnt lgkmcnt(0)
	s_add_u32 s6, s8, s0
	s_addc_u32 s7, s9, s1
	s_load_dword s20, s[6:7], 0x0
	s_cmp_eq_u64 s[34:35], 0
	s_cselect_b64 s[2:3], -1, 0
	s_cmp_lg_u64 s[34:35], 0
	v_cmp_eq_u32_e64 s[0:1], 0, v0
	s_cselect_b64 s[12:13], -1, 0
	s_and_b64 s[14:15], s[0:1], s[2:3]
	s_mov_b32 s2, s21
	s_mov_b32 s3, s21
	v_pk_mov_b32 v[4:5], s[2:3], s[2:3] op_sel:[0,1]
	s_and_saveexec_b64 s[2:3], s[14:15]
	s_cbranch_execz .LBB29_46
; %bb.43:
	s_add_u32 s16, s22, s48
	s_addc_u32 s17, s23, s49
	v_mov_b32_e32 v1, 0
	global_load_dwordx2 v[4:5], v1, s[16:17]
	s_mov_b64 s[14:15], exec
	v_mbcnt_lo_u32_b32 v12, s14, 0
	v_add_f32_e32 v11, -1.0, v6
	v_xor_b32_e32 v10, 0x80000000, v7
	v_mbcnt_hi_u32_b32 v12, s15, v12
	v_mov_b32_e32 v9, v7
	v_mov_b32_e32 v8, v11
	v_cmp_eq_u32_e32 vcc, 0, v12
	s_waitcnt vmcnt(0) expcnt(0) lgkmcnt(0)
	v_pk_mul_f32 v[10:11], v[4:5], v[10:11] op_sel:[1,0]
	s_and_saveexec_b64 s[16:17], vcc
	s_cbranch_execz .LBB29_45
; %bb.44:
	s_lshl_b64 s[18:19], s[10:11], 2
	s_add_u32 s18, s8, s18
	s_addc_u32 s19, s9, s19
	s_bcnt1_i32_b64 s14, s[14:15]
	s_and_b32 s14, s14, 1
	v_mov_b32_e32 v12, s14
	global_atomic_xor v1, v12, s[18:19]
.LBB29_45:
	s_or_b64 exec, exec, s[16:17]
	v_pk_fma_f32 v[4:5], v[8:9], v[4:5], v[10:11] op_sel_hi:[1,0,1]
.LBB29_46:
	s_or_b64 exec, exec, s[2:3]
	s_mul_i32 s2, s35, 0xc00
	s_mul_hi_u32 s3, s34, 0xc00
	s_add_i32 s14, s3, s2
	s_load_dwordx2 s[2:3], s[42:43], 0x8
	s_sub_u32 s16, s40, s44
	s_mul_i32 s15, s34, 0xc00
	s_subb_u32 s17, s41, 0
	s_add_u32 s16, s16, s15
	s_addc_u32 s17, s17, s14
	s_waitcnt lgkmcnt(0)
	s_sub_u32 s2, s2, s44
	v_mov_b32_e32 v1, s17
	v_add_co_u32_e32 v8, vcc, s16, v0
	s_subb_u32 s3, s3, 0
	v_addc_co_u32_e32 v9, vcc, 0, v1, vcc
	v_cmp_gt_i64_e32 vcc, s[2:3], v[8:9]
	s_and_saveexec_b64 s[14:15], vcc
	s_cbranch_execz .LBB29_50
; %bb.47:
	s_add_u32 s16, s16, 0xc00
	s_addc_u32 s17, s17, 0
	v_pk_mov_b32 v[10:11], s[2:3], s[2:3] op_sel:[0,1]
	v_cmp_lt_i64_e32 vcc, s[16:17], v[10:11]
	v_lshlrev_b64 v[14:15], 3, v[8:9]
	s_and_b64 s[18:19], vcc, exec
	v_mov_b32_e32 v1, s29
	v_add_co_u32_e32 v12, vcc, s28, v14
	v_addc_co_u32_e32 v1, vcc, v15, v1, vcc
	v_add_co_u32_e32 v12, vcc, 4, v12
	v_addc_co_u32_e32 v13, vcc, 0, v1, vcc
	v_mov_b32_e32 v1, s27
	v_add_co_u32_e32 v14, vcc, s26, v14
	s_cselect_b32 s17, s17, s3
	s_cselect_b32 s16, s16, s2
	v_xor_b32_e32 v10, 0x80000000, v3
	v_mov_b32_e32 v11, v2
	v_addc_co_u32_e32 v15, vcc, v1, v15, vcc
	s_mov_b64 s[18:19], 0
	v_mov_b32_e32 v1, s21
	v_mov_b32_e32 v16, s31
	s_movk_i32 s21, 0x100
.LBB29_48:                              ; =>This Inner Loop Header: Depth=1
	global_load_dwordx2 v[18:19], v[14:15], off
	global_load_dwordx2 v[20:21], v[12:13], off offset:-4
	s_waitcnt vmcnt(1)
	v_subrev_co_u32_e32 v18, vcc, s44, v18
	v_subb_co_u32_e32 v19, vcc, v19, v1, vcc
	v_lshlrev_b64 v[18:19], 3, v[18:19]
	v_add_co_u32_e32 v18, vcc, s30, v18
	v_addc_co_u32_e32 v19, vcc, v16, v19, vcc
	global_load_dwordx2 v[18:19], v[18:19], off
	v_add_co_u32_e32 v8, vcc, s21, v8
	v_addc_co_u32_e32 v9, vcc, 0, v9, vcc
	s_waitcnt vmcnt(1)
	v_cndmask_b32_e64 v22, v21, -v21, s[46:47]
	v_add_co_u32_e32 v12, vcc, 0x800, v12
	v_pk_mul_f32 v[22:23], v[22:23], v[10:11] op_sel_hi:[0,1]
	v_addc_co_u32_e32 v13, vcc, 0, v13, vcc
	v_pk_fma_f32 v[20:21], v[2:3], v[20:21], v[22:23] op_sel_hi:[1,0,1]
	v_add_co_u32_e32 v14, vcc, 0x800, v14
	v_cmp_le_i64_e64 s[2:3], s[16:17], v[8:9]
	v_addc_co_u32_e32 v15, vcc, 0, v15, vcc
	s_or_b64 s[18:19], s[2:3], s[18:19]
	s_waitcnt vmcnt(0)
	v_pk_fma_f32 v[4:5], v[20:21], v[18:19], v[4:5] op_sel_hi:[1,0,1]
	v_pk_fma_f32 v[4:5], v[20:21], v[18:19], v[4:5] op_sel:[1,1,0] op_sel_hi:[0,1,1] neg_lo:[1,0,0]
	s_andn2_b64 exec, exec, s[18:19]
	s_cbranch_execnz .LBB29_48
; %bb.49:
	s_or_b64 exec, exec, s[18:19]
.LBB29_50:
	s_or_b64 exec, exec, s[14:15]
	s_movk_i32 s2, 0x80
	v_lshlrev_b32_e32 v1, 3, v0
	v_cmp_gt_u32_e32 vcc, s2, v0
	ds_write_b64 v1, v[4:5]
	s_waitcnt lgkmcnt(0)
	s_barrier
	s_and_saveexec_b64 s[2:3], vcc
	s_cbranch_execz .LBB29_52
; %bb.51:
	ds_read2st64_b64 v[8:11], v1 offset1:2
	s_waitcnt lgkmcnt(0)
	v_pk_add_f32 v[4:5], v[10:11], v[8:9]
	ds_write_b64 v1, v[4:5]
.LBB29_52:
	s_or_b64 exec, exec, s[2:3]
	v_cmp_gt_u32_e32 vcc, 64, v0
	s_waitcnt lgkmcnt(0)
	s_barrier
	s_and_saveexec_b64 s[2:3], vcc
	s_cbranch_execz .LBB29_54
; %bb.53:
	ds_read2st64_b64 v[8:11], v1 offset1:1
	s_waitcnt lgkmcnt(0)
	v_pk_add_f32 v[4:5], v[10:11], v[8:9]
	ds_write_b64 v1, v[4:5]
.LBB29_54:
	s_or_b64 exec, exec, s[2:3]
	v_cmp_gt_u32_e32 vcc, 32, v0
	s_waitcnt lgkmcnt(0)
	s_barrier
	s_and_saveexec_b64 s[2:3], vcc
	s_cbranch_execz .LBB29_56
; %bb.55:
	ds_read2_b64 v[8:11], v1 offset1:32
	s_waitcnt lgkmcnt(0)
	v_pk_add_f32 v[4:5], v[10:11], v[8:9]
	ds_write_b64 v1, v[4:5]
.LBB29_56:
	s_or_b64 exec, exec, s[2:3]
	v_cmp_gt_u32_e32 vcc, 16, v0
	s_waitcnt lgkmcnt(0)
	s_barrier
	s_and_saveexec_b64 s[2:3], vcc
	s_cbranch_execz .LBB29_58
; %bb.57:
	ds_read2_b64 v[8:11], v1 offset1:16
	s_waitcnt lgkmcnt(0)
	v_pk_add_f32 v[4:5], v[10:11], v[8:9]
	ds_write_b64 v1, v[4:5]
.LBB29_58:
	;; [unrolled: 12-line block ×5, first 2 shown]
	s_or_b64 exec, exec, s[2:3]
	s_waitcnt lgkmcnt(0)
	s_barrier
	s_and_saveexec_b64 s[2:3], s[0:1]
	s_cbranch_execz .LBB29_66
; %bb.65:
	v_mov_b32_e32 v1, 0
	ds_read2_b64 v[8:11], v1 offset1:1
	s_waitcnt lgkmcnt(0)
	v_pk_add_f32 v[4:5], v[10:11], v[8:9]
	ds_write_b64 v1, v[4:5]
.LBB29_66:
	s_or_b64 exec, exec, s[2:3]
	s_waitcnt lgkmcnt(0)
	s_barrier
	s_and_saveexec_b64 s[2:3], s[0:1]
	s_cbranch_execz .LBB29_79
; %bb.67:
	s_andn2_b64 vcc, exec, s[12:13]
	s_cbranch_vccnz .LBB29_73
; %bb.68:
	s_lshl_b64 s[0:1], s[10:11], 2
	s_add_u32 s0, s8, s0
	s_addc_u32 s1, s9, s1
	v_mov_b32_e32 v1, 0
	s_branch .LBB29_70
.LBB29_69:                              ;   in Loop: Header=BB29_70 Depth=1
	s_or_b64 exec, exec, s[8:9]
	s_waitcnt vmcnt(0)
	v_readfirstlane_b32 s8, v4
	s_cmp_eq_u32 s8, s20
	s_cbranch_scc0 .LBB29_72
.LBB29_70:                              ; =>This Inner Loop Header: Depth=1
	v_mbcnt_lo_u32_b32 v4, exec_lo, 0
	v_mbcnt_hi_u32_b32 v4, exec_hi, v4
	v_cmp_eq_u32_e32 vcc, 0, v4
                                        ; implicit-def: $vgpr4
	s_and_saveexec_b64 s[8:9], vcc
	s_cbranch_execz .LBB29_69
; %bb.71:                               ;   in Loop: Header=BB29_70 Depth=1
	global_load_dword v4, v1, s[0:1] glc
	s_branch .LBB29_69
.LBB29_72:
	v_mov_b32_e32 v1, 0
	global_load_dword v4, v1, s[6:7]
	s_waitcnt vmcnt(0)
	v_xor_b32_e32 v4, 1, v4
	global_store_dword v1, v4, s[6:7]
.LBB29_73:
	v_mov_b32_e32 v1, 0
	ds_read_b64 v[4:5], v1
	s_mov_b64 s[8:9], exec
	v_mbcnt_lo_u32_b32 v8, s8, 0
	s_add_u32 s0, s22, s48
	v_mbcnt_hi_u32_b32 v8, s9, v8
	s_addc_u32 s1, s23, s49
	v_cmp_eq_u32_e32 vcc, 0, v8
	s_and_saveexec_b64 s[6:7], vcc
	s_cbranch_execz .LBB29_76
; %bb.74:
	global_load_dword v9, v1, s[0:1]
	s_bcnt1_i32_b64 s8, s[8:9]
	v_cvt_f32_ubyte0_e32 v8, s8
	s_waitcnt lgkmcnt(0)
	v_mul_f32_e32 v4, v4, v8
	s_mov_b64 s[8:9], 0
.LBB29_75:                              ; =>This Inner Loop Header: Depth=1
	s_waitcnt vmcnt(0)
	v_add_f32_e32 v8, v9, v4
	global_atomic_cmpswap v8, v1, v[8:9], s[0:1] glc
	s_waitcnt vmcnt(0)
	v_cmp_eq_u32_e32 vcc, v8, v9
	s_or_b64 s[8:9], vcc, s[8:9]
	v_mov_b32_e32 v9, v8
	s_andn2_b64 exec, exec, s[8:9]
	s_cbranch_execnz .LBB29_75
.LBB29_76:
	s_or_b64 exec, exec, s[6:7]
	s_mov_b64 s[6:7], exec
	v_mbcnt_lo_u32_b32 v1, s6, 0
	v_mbcnt_hi_u32_b32 v1, s7, v1
	v_cmp_eq_u32_e32 vcc, 0, v1
	s_and_b64 s[8:9], exec, vcc
	s_mov_b64 exec, s[8:9]
	s_cbranch_execz .LBB29_79
; %bb.77:
	v_mov_b32_e32 v1, 0
	global_load_dword v9, v1, s[0:1] offset:4
	s_bcnt1_i32_b64 s6, s[6:7]
	s_waitcnt lgkmcnt(0)
	v_cvt_f32_ubyte0_e32 v4, s6
	v_mul_f32_e32 v4, v5, v4
	s_mov_b64 s[6:7], 0
.LBB29_78:                              ; =>This Inner Loop Header: Depth=1
	s_waitcnt vmcnt(0)
	v_add_f32_e32 v8, v9, v4
	global_atomic_cmpswap v5, v1, v[8:9], s[0:1] offset:4 glc
	s_waitcnt vmcnt(0)
	v_cmp_eq_u32_e32 vcc, v5, v9
	s_or_b64 s[6:7], vcc, s[6:7]
	v_mov_b32_e32 v9, v5
	s_andn2_b64 exec, exec, s[6:7]
	s_cbranch_execnz .LBB29_78
.LBB29_79:
	s_or_b64 exec, exec, s[2:3]
.LBB29_80:
	s_mov_b64 s[2:3], 0
.LBB29_81:
	s_andn2_b64 vcc, exec, s[2:3]
	s_cbranch_vccnz .LBB29_125
; %bb.82:
	s_load_dwordx2 s[0:1], s[4:5], 0x8
	v_subrev_co_u32_e32 v1, vcc, s44, v0
	s_waitcnt lgkmcnt(0)
	v_subb_co_u32_e64 v5, s[2:3], 0, 0, vcc
	v_mov_b32_e32 v8, s41
	v_add_co_u32_e32 v4, vcc, s40, v1
	v_addc_co_u32_e32 v5, vcc, v8, v5, vcc
	v_add_co_u32_e32 v8, vcc, 0x300, v4
	v_addc_co_u32_e32 v9, vcc, 0, v5, vcc
	s_mov_b32 s10, 0
	v_cmp_le_i64_e32 vcc, s[0:1], v[8:9]
	s_and_saveexec_b64 s[0:1], vcc
	s_xor_b64 s[2:3], exec, s[0:1]
	s_cbranch_execz .LBB29_87
; %bb.83:
	s_lshl_b64 s[0:1], s[38:39], 3
	s_add_u32 s0, s24, s0
	s_addc_u32 s1, s25, s1
	s_load_dwordx2 s[0:1], s[0:1], 0x0
	s_waitcnt lgkmcnt(0)
	s_sub_u32 s4, s0, s44
	s_subb_u32 s5, s1, 0
	v_cmp_gt_i64_e32 vcc, s[4:5], v[4:5]
	s_and_saveexec_b64 s[6:7], vcc
	s_cbranch_execz .LBB29_86
; %bb.84:
	v_lshlrev_b64 v[12:13], 3, v[4:5]
	v_mov_b32_e32 v11, s27
	v_add_co_u32_e32 v10, vcc, s26, v12
	v_addc_co_u32_e32 v11, vcc, v11, v13, vcc
	v_mov_b32_e32 v14, s29
	v_add_co_u32_e32 v12, vcc, s28, v12
	v_addc_co_u32_e32 v13, vcc, v13, v14, vcc
	v_add_co_u32_e32 v12, vcc, 4, v12
	v_xor_b32_e32 v8, 0x80000000, v3
	v_mov_b32_e32 v9, v2
	v_lshlrev_b32_e32 v1, 3, v0
	v_addc_co_u32_e32 v13, vcc, 0, v13, vcc
	s_mov_b64 s[8:9], 0
	v_mov_b32_e32 v14, s10
	v_mov_b32_e32 v15, s31
	s_movk_i32 s11, 0x100
.LBB29_85:                              ; =>This Inner Loop Header: Depth=1
	global_load_dwordx2 v[16:17], v[10:11], off
	global_load_dwordx2 v[18:19], v[12:13], off offset:-4
	s_waitcnt vmcnt(1)
	v_subrev_co_u32_e32 v16, vcc, s44, v16
	v_subb_co_u32_e32 v17, vcc, v17, v14, vcc
	v_lshlrev_b64 v[16:17], 3, v[16:17]
	v_add_co_u32_e32 v16, vcc, s30, v16
	v_addc_co_u32_e32 v17, vcc, v15, v17, vcc
	global_load_dwordx2 v[16:17], v[16:17], off
	v_add_co_u32_e32 v4, vcc, s11, v4
	s_waitcnt vmcnt(1)
	v_cndmask_b32_e64 v20, v19, -v19, s[46:47]
	v_addc_co_u32_e32 v5, vcc, 0, v5, vcc
	v_pk_mul_f32 v[20:21], v[20:21], v[8:9] op_sel_hi:[0,1]
	v_add_co_u32_e32 v10, vcc, 0x800, v10
	v_pk_fma_f32 v[18:19], v[2:3], v[18:19], v[20:21] op_sel_hi:[1,0,1]
	v_addc_co_u32_e32 v11, vcc, 0, v11, vcc
	v_add_co_u32_e32 v12, vcc, 0x800, v12
	v_cmp_le_i64_e64 s[0:1], s[4:5], v[4:5]
	v_addc_co_u32_e32 v13, vcc, 0, v13, vcc
	s_or_b64 s[8:9], s[0:1], s[8:9]
	s_waitcnt vmcnt(0)
	v_pk_mul_f32 v[20:21], v[16:17], v[18:19] op_sel:[1,1] op_sel_hi:[1,0] neg_lo:[0,1]
	v_pk_fma_f32 v[16:17], v[18:19], v[16:17], v[20:21] op_sel_hi:[1,0,1]
	ds_write_b64 v1, v[16:17]
	v_add_u32_e32 v1, 0x800, v1
	s_andn2_b64 exec, exec, s[8:9]
	s_cbranch_execnz .LBB29_85
.LBB29_86:
	s_or_b64 exec, exec, s[6:7]
                                        ; implicit-def: $vgpr3
                                        ; implicit-def: $vgpr4_vgpr5
.LBB29_87:
	s_or_saveexec_b64 s[0:1], s[2:3]
	v_lshlrev_b32_e32 v18, 3, v0
	s_xor_b64 exec, exec, s[0:1]
	s_cbranch_execz .LBB29_89
; %bb.88:
	v_lshlrev_b64 v[4:5], 3, v[4:5]
	v_mov_b32_e32 v1, s27
	v_add_co_u32_e32 v8, vcc, s26, v4
	v_addc_co_u32_e32 v9, vcc, v1, v5, vcc
	global_load_dwordx2 v[10:11], v[8:9], off
	global_load_dwordx2 v[12:13], v[8:9], off offset:2048
	s_movk_i32 s2, 0x1000
	v_add_co_u32_e32 v8, vcc, s2, v8
	v_addc_co_u32_e32 v9, vcc, 0, v9, vcc
	global_load_dwordx2 v[14:15], v[8:9], off
	global_load_dwordx2 v[16:17], v[8:9], off offset:2048
	v_mov_b32_e32 v1, s29
	v_add_co_u32_e32 v4, vcc, s28, v4
	v_addc_co_u32_e32 v5, vcc, v1, v5, vcc
	global_load_dwordx2 v[8:9], v[4:5], off
	global_load_dwordx2 v[20:21], v[4:5], off offset:2048
	v_add_co_u32_e32 v4, vcc, s2, v4
	v_addc_co_u32_e32 v5, vcc, 0, v5, vcc
	v_mov_b32_e32 v19, s10
	global_load_dwordx2 v[22:23], v[4:5], off
	global_load_dwordx2 v[24:25], v[4:5], off offset:2048
	v_mov_b32_e32 v28, s31
	s_waitcnt vmcnt(7)
	v_subrev_co_u32_e32 v4, vcc, s44, v10
	v_subb_co_u32_e32 v5, vcc, v11, v19, vcc
	s_waitcnt vmcnt(6)
	v_subrev_co_u32_e32 v10, vcc, s44, v12
	v_subb_co_u32_e32 v11, vcc, v13, v19, vcc
	;; [unrolled: 3-line block ×3, first 2 shown]
	s_waitcnt vmcnt(4)
	v_subrev_co_u32_e32 v14, vcc, s44, v16
	v_lshlrev_b64 v[4:5], 3, v[4:5]
	v_subb_co_u32_e32 v15, vcc, v17, v19, vcc
	v_add_co_u32_e32 v4, vcc, s30, v4
	v_lshlrev_b64 v[10:11], 3, v[10:11]
	v_addc_co_u32_e32 v5, vcc, v28, v5, vcc
	v_add_co_u32_e32 v10, vcc, s30, v10
	v_addc_co_u32_e32 v11, vcc, v28, v11, vcc
	v_lshlrev_b64 v[12:13], 3, v[12:13]
	global_load_dwordx2 v[16:17], v[4:5], off
	global_load_dwordx2 v[26:27], v[10:11], off
	v_add_co_u32_e32 v4, vcc, s30, v12
	v_lshlrev_b64 v[14:15], 3, v[14:15]
	v_addc_co_u32_e32 v5, vcc, v28, v13, vcc
	v_add_co_u32_e32 v10, vcc, s30, v14
	v_addc_co_u32_e32 v11, vcc, v28, v15, vcc
	global_load_dwordx2 v[12:13], v[4:5], off
	global_load_dwordx2 v[14:15], v[10:11], off
	v_xor_b32_e32 v4, 0x80000000, v3
	v_mov_b32_e32 v5, v2
	s_waitcnt vmcnt(7)
	v_cndmask_b32_e64 v10, v9, -v9, s[46:47]
	s_waitcnt vmcnt(6)
	v_cndmask_b32_e64 v28, v21, -v21, s[46:47]
	v_pk_mul_f32 v[10:11], v[10:11], v[4:5] op_sel_hi:[0,1]
	v_pk_mul_f32 v[28:29], v[28:29], v[4:5] op_sel_hi:[0,1]
	s_waitcnt vmcnt(5)
	v_cndmask_b32_e64 v30, v23, -v23, s[46:47]
	s_waitcnt vmcnt(4)
	v_cndmask_b32_e64 v32, v25, -v25, s[46:47]
	v_pk_fma_f32 v[8:9], v[2:3], v[8:9], v[10:11] op_sel_hi:[1,0,1]
	v_pk_fma_f32 v[10:11], v[2:3], v[20:21], v[28:29] op_sel_hi:[1,0,1]
	v_pk_mul_f32 v[20:21], v[30:31], v[4:5] op_sel_hi:[0,1]
	v_pk_mul_f32 v[4:5], v[32:33], v[4:5] op_sel_hi:[0,1]
	v_pk_fma_f32 v[20:21], v[2:3], v[22:23], v[20:21] op_sel_hi:[1,0,1]
	v_pk_fma_f32 v[2:3], v[2:3], v[24:25], v[4:5] op_sel_hi:[1,0,1]
	s_waitcnt vmcnt(3)
	v_pk_mul_f32 v[4:5], v[16:17], v[8:9] op_sel:[1,1] op_sel_hi:[1,0] neg_lo:[0,1]
	s_waitcnt vmcnt(2)
	v_pk_mul_f32 v[22:23], v[26:27], v[10:11] op_sel:[1,1] op_sel_hi:[1,0] neg_lo:[0,1]
	v_pk_fma_f32 v[4:5], v[8:9], v[16:17], v[4:5] op_sel_hi:[1,0,1]
	v_pk_fma_f32 v[8:9], v[10:11], v[26:27], v[22:23] op_sel_hi:[1,0,1]
	ds_write2st64_b64 v18, v[4:5], v[8:9] offset1:4
	s_waitcnt vmcnt(1)
	v_pk_mul_f32 v[10:11], v[12:13], v[20:21] op_sel:[1,1] op_sel_hi:[1,0] neg_lo:[0,1]
	s_waitcnt vmcnt(0)
	v_pk_mul_f32 v[16:17], v[14:15], v[2:3] op_sel:[1,1] op_sel_hi:[1,0] neg_lo:[0,1]
	v_pk_fma_f32 v[4:5], v[20:21], v[12:13], v[10:11] op_sel_hi:[1,0,1]
	v_pk_fma_f32 v[2:3], v[2:3], v[14:15], v[16:17] op_sel_hi:[1,0,1]
	ds_write2st64_b64 v18, v[4:5], v[2:3] offset0:8 offset1:12
.LBB29_89:
	s_or_b64 exec, exec, s[0:1]
	v_cmp_lt_i64_e64 s[2:3], s[34:35], 2
	s_mov_b64 s[0:1], -1
	s_and_b64 vcc, exec, s[2:3]
	s_waitcnt lgkmcnt(0)
	s_barrier
	s_cbranch_vccz .LBB29_100
; %bb.90:
	v_mov_b32_e32 v1, s37
	v_add_co_u32_e32 v8, vcc, s36, v0
	v_addc_co_u32_e32 v9, vcc, 0, v1, vcc
	v_cmp_gt_i64_e32 vcc, s[38:39], v[8:9]
	s_and_saveexec_b64 s[2:3], vcc
	s_cbranch_execz .LBB29_99
; %bb.91:
	v_and_b32_e32 v1, 0x7fffffff, v6
	v_cmp_ne_u32_e32 vcc, 0, v1
	v_cmp_neq_f32_e64 s[0:1], 0, v7
	s_lshl_b32 s5, s40, 3
	s_mov_b32 s4, 0
	s_or_b64 s[0:1], vcc, s[0:1]
	v_xor_b32_e32 v10, 0x80000000, v7
	v_mov_b32_e32 v11, v6
	s_sub_i32 s12, 0, s5
	s_mov_b64 s[6:7], 0
	v_mov_b32_e32 v1, s25
	v_mov_b32_e32 v19, s23
	s_branch .LBB29_93
.LBB29_92:                              ;   in Loop: Header=BB29_93 Depth=1
	s_or_b64 exec, exec, s[8:9]
	v_add_co_u32_e32 v2, vcc, s22, v12
	v_addc_co_u32_e32 v3, vcc, v19, v13, vcc
	v_add_co_u32_e32 v8, vcc, 0x100, v8
	v_addc_co_u32_e32 v9, vcc, 0, v9, vcc
	v_cmp_le_i64_e32 vcc, s[38:39], v[8:9]
	s_or_b64 s[6:7], vcc, s[6:7]
	global_store_dwordx2 v[2:3], v[14:15], off
	s_andn2_b64 exec, exec, s[6:7]
	s_cbranch_execz .LBB29_99
.LBB29_93:                              ; =>This Loop Header: Depth=1
                                        ;     Child Loop BB29_95 Depth 2
	v_lshlrev_b64 v[12:13], 3, v[8:9]
	v_add_co_u32_e32 v2, vcc, s24, v12
	v_addc_co_u32_e32 v3, vcc, v1, v13, vcc
	global_load_dwordx4 v[2:5], v[2:3], off
	s_mov_b32 s5, s4
	v_pk_mov_b32 v[14:15], s[4:5], s[4:5] op_sel:[0,1]
	s_waitcnt vmcnt(0)
	v_cmp_lt_i64_e32 vcc, v[2:3], v[4:5]
	s_and_saveexec_b64 s[8:9], vcc
	s_cbranch_execz .LBB29_97
; %bb.94:                               ;   in Loop: Header=BB29_93 Depth=1
	v_mov_b32_e32 v14, s41
	v_subrev_co_u32_e32 v4, vcc, s40, v4
	v_subb_co_u32_e32 v5, vcc, v5, v14, vcc
	v_subrev_co_u32_e32 v16, vcc, s40, v2
	v_subb_co_u32_e32 v17, vcc, v3, v14, vcc
	v_mov_b32_e32 v14, 0
	v_lshl_add_u32 v2, v2, 3, s12
	s_mov_b64 s[10:11], 0
	v_mov_b32_e32 v15, v14
.LBB29_95:                              ;   Parent Loop BB29_93 Depth=1
                                        ; =>  This Inner Loop Header: Depth=2
	ds_read_b64 v[20:21], v2
	v_add_co_u32_e32 v16, vcc, 1, v16
	v_addc_co_u32_e32 v17, vcc, 0, v17, vcc
	v_cmp_ge_i64_e32 vcc, v[16:17], v[4:5]
	v_add_u32_e32 v2, 8, v2
	s_or_b64 s[10:11], vcc, s[10:11]
	s_waitcnt lgkmcnt(0)
	v_pk_add_f32 v[14:15], v[14:15], v[20:21]
	s_andn2_b64 exec, exec, s[10:11]
	s_cbranch_execnz .LBB29_95
; %bb.96:                               ;   in Loop: Header=BB29_93 Depth=1
	s_or_b64 exec, exec, s[10:11]
.LBB29_97:                              ;   in Loop: Header=BB29_93 Depth=1
	s_or_b64 exec, exec, s[8:9]
	s_and_saveexec_b64 s[8:9], s[0:1]
	s_cbranch_execz .LBB29_92
; %bb.98:                               ;   in Loop: Header=BB29_93 Depth=1
	v_mov_b32_e32 v3, s23
	v_add_co_u32_e32 v2, vcc, s22, v12
	v_addc_co_u32_e32 v3, vcc, v3, v13, vcc
	global_load_dwordx2 v[2:3], v[2:3], off
	s_waitcnt vmcnt(0)
	v_pk_fma_f32 v[4:5], v[6:7], v[2:3], v[14:15] op_sel_hi:[1,0,1]
	v_pk_fma_f32 v[14:15], v[10:11], v[2:3], v[4:5] op_sel:[0,1,0]
	s_branch .LBB29_92
.LBB29_99:
	s_or_b64 exec, exec, s[2:3]
	s_mov_b64 s[0:1], 0
.LBB29_100:
	s_andn2_b64 vcc, exec, s[0:1]
	s_cbranch_vccnz .LBB29_125
; %bb.101:
	s_flbit_i32_b32 s0, s34
	s_min_u32 s0, s0, 32
	s_sub_i32 s0, 31, s0
	v_lshrrev_b32_e32 v8, s0, v0
	v_mov_b32_e32 v1, s37
	v_add_co_u32_e32 v2, vcc, s36, v8
	s_mov_b32 s4, 0
	v_addc_co_u32_e32 v3, vcc, 0, v1, vcc
	s_add_i32 s0, s34, -1
	s_mov_b32 s5, s4
	v_and_b32_e64 v1, s0, 0
	v_and_b32_e32 v0, s0, v0
	v_cmp_le_i64_e64 s[0:1], s[38:39], v[2:3]
	v_cmp_gt_i64_e32 vcc, s[38:39], v[2:3]
	v_pk_mov_b32 v[4:5], s[4:5], s[4:5] op_sel:[0,1]
	s_and_saveexec_b64 s[2:3], vcc
	s_cbranch_execz .LBB29_107
; %bb.102:
	v_lshlrev_b32_e32 v4, 3, v8
	global_load_dwordx4 v[10:13], v4, s[42:43]
	v_mov_b32_e32 v4, s41
	v_subrev_co_u32_e32 v5, vcc, s40, v0
	v_subb_co_u32_e32 v14, vcc, v1, v4, vcc
	s_waitcnt vmcnt(0)
	v_subrev_co_u32_e32 v8, vcc, s40, v12
	v_subb_co_u32_e32 v9, vcc, v13, v4, vcc
	v_add_co_u32_e32 v10, vcc, v10, v5
	v_addc_co_u32_e32 v11, vcc, v11, v14, vcc
	v_cmp_lt_i64_e32 vcc, v[10:11], v[8:9]
	v_pk_mov_b32 v[4:5], s[4:5], s[4:5] op_sel:[0,1]
	s_and_saveexec_b64 s[4:5], vcc
	s_cbranch_execz .LBB29_106
; %bb.103:
	v_mov_b32_e32 v4, 0
	v_lshlrev_b32_e32 v12, 3, v10
	s_lshl_b32 s8, s34, 3
	s_mov_b64 s[6:7], 0
	v_mov_b32_e32 v13, s35
	v_mov_b32_e32 v5, v4
.LBB29_104:                             ; =>This Inner Loop Header: Depth=1
	ds_read_b64 v[14:15], v12
	v_add_co_u32_e32 v10, vcc, s34, v10
	v_addc_co_u32_e32 v11, vcc, v11, v13, vcc
	v_cmp_ge_i64_e32 vcc, v[10:11], v[8:9]
	v_add_u32_e32 v12, s8, v12
	s_or_b64 s[6:7], vcc, s[6:7]
	s_waitcnt lgkmcnt(0)
	v_pk_add_f32 v[4:5], v[4:5], v[14:15]
	s_andn2_b64 exec, exec, s[6:7]
	s_cbranch_execnz .LBB29_104
; %bb.105:
	s_or_b64 exec, exec, s[6:7]
.LBB29_106:
	s_or_b64 exec, exec, s[4:5]
.LBB29_107:
	s_or_b64 exec, exec, s[2:3]
	v_mov_b32_e32 v8, 0x81
	v_mov_b32_e32 v9, 0
	v_cmp_lt_i64_e32 vcc, s[34:35], v[8:9]
	s_and_b64 vcc, exec, vcc
	s_barrier
	ds_write_b64 v18, v[4:5]
	s_waitcnt lgkmcnt(0)
	s_barrier
	s_cbranch_vccnz .LBB29_109
; %bb.108:
	ds_read_b64 v[8:9], v18 offset:1024
	s_waitcnt lgkmcnt(0)
	s_barrier
	v_pk_add_f32 v[4:5], v[4:5], v[8:9]
	ds_write_b64 v18, v[4:5]
.LBB29_109:
	v_mov_b32_e32 v8, 0x41
	v_mov_b32_e32 v9, 0
	v_cmp_lt_i64_e32 vcc, s[34:35], v[8:9]
	s_waitcnt lgkmcnt(0)
	s_barrier
	s_cbranch_vccnz .LBB29_111
; %bb.110:
	ds_read_b64 v[8:9], v18 offset:512
	s_waitcnt lgkmcnt(0)
	s_barrier
	v_pk_add_f32 v[4:5], v[4:5], v[8:9]
	ds_write_b64 v18, v[4:5]
.LBB29_111:
	v_cmp_lt_i64_e64 s[2:3], s[34:35], 33
	s_and_b64 vcc, exec, s[2:3]
	s_waitcnt lgkmcnt(0)
	s_barrier
	s_cbranch_vccnz .LBB29_113
; %bb.112:
	ds_read_b64 v[8:9], v18 offset:256
	s_waitcnt lgkmcnt(0)
	s_barrier
	v_pk_add_f32 v[4:5], v[4:5], v[8:9]
	ds_write_b64 v18, v[4:5]
.LBB29_113:
	v_cmp_lt_i64_e64 s[2:3], s[34:35], 17
	s_and_b64 vcc, exec, s[2:3]
	;; [unrolled: 12-line block ×4, first 2 shown]
	s_waitcnt lgkmcnt(0)
	s_barrier
	s_cbranch_vccnz .LBB29_119
; %bb.118:
	ds_read_b64 v[8:9], v18 offset:32
	s_waitcnt lgkmcnt(0)
	s_barrier
	v_pk_add_f32 v[4:5], v[4:5], v[8:9]
	ds_write_b64 v18, v[4:5]
.LBB29_119:
	s_cmp_eq_u64 s[34:35], 2
	s_waitcnt lgkmcnt(0)
	s_barrier
	s_cbranch_scc1 .LBB29_121
; %bb.120:
	ds_read_b64 v[8:9], v18 offset:16
	s_waitcnt lgkmcnt(0)
	s_barrier
	v_pk_add_f32 v[4:5], v[4:5], v[8:9]
	ds_write_b64 v18, v[4:5]
.LBB29_121:
	s_waitcnt lgkmcnt(0)
	s_barrier
	ds_read_b64 v[8:9], v18 offset:8
	v_cmp_eq_u64_e32 vcc, 0, v[0:1]
	s_xor_b64 s[0:1], s[0:1], -1
	s_and_b64 s[0:1], vcc, s[0:1]
	s_waitcnt lgkmcnt(0)
	v_pk_add_f32 v[4:5], v[4:5], v[8:9]
	s_barrier
	ds_write_b64 v18, v[4:5]
	s_and_b64 exec, exec, s[0:1]
	s_cbranch_execz .LBB29_125
; %bb.122:
	v_and_b32_e32 v0, 0x7fffffff, v6
	v_cmp_ne_u32_e32 vcc, 0, v0
	v_cmp_neq_f32_e64 s[0:1], 0, v7
	s_or_b64 s[2:3], vcc, s[0:1]
	v_lshlrev_b64 v[0:1], 3, v[2:3]
	s_and_saveexec_b64 s[0:1], s[2:3]
	s_cbranch_execz .LBB29_124
; %bb.123:
	v_mov_b32_e32 v3, s23
	v_add_co_u32_e32 v2, vcc, s22, v0
	v_addc_co_u32_e32 v3, vcc, v3, v1, vcc
	global_load_dwordx2 v[2:3], v[2:3], off
	v_xor_b32_e32 v8, 0x80000000, v7
	v_mov_b32_e32 v9, v6
	s_waitcnt vmcnt(0)
	v_pk_fma_f32 v[4:5], v[6:7], v[2:3], v[4:5] op_sel_hi:[1,0,1]
	v_pk_fma_f32 v[4:5], v[8:9], v[2:3], v[4:5] op_sel:[0,1,0]
.LBB29_124:
	s_or_b64 exec, exec, s[0:1]
	v_mov_b32_e32 v2, s23
	v_add_co_u32_e32 v0, vcc, s22, v0
	v_addc_co_u32_e32 v1, vcc, v2, v1, vcc
	global_store_dwordx2 v[0:1], v[4:5], off
.LBB29_125:
	s_endpgm
	.section	.rodata,"a",@progbits
	.p2align	6, 0x0
	.amdhsa_kernel _ZN9rocsparseL22csrmvn_adaptive_kernelIll21rocsparse_complex_numIfES2_S2_S2_EEvbT_PKS3_PjPKT0_NS_24const_host_device_scalarIT4_EES5_S9_PKT1_PKT2_SC_PT3_21rocsparse_index_base_b
		.amdhsa_group_segment_fixed_size 8192
		.amdhsa_private_segment_fixed_size 0
		.amdhsa_kernarg_size 104
		.amdhsa_user_sgpr_count 6
		.amdhsa_user_sgpr_private_segment_buffer 1
		.amdhsa_user_sgpr_dispatch_ptr 0
		.amdhsa_user_sgpr_queue_ptr 0
		.amdhsa_user_sgpr_kernarg_segment_ptr 1
		.amdhsa_user_sgpr_dispatch_id 0
		.amdhsa_user_sgpr_flat_scratch_init 0
		.amdhsa_user_sgpr_kernarg_preload_length 0
		.amdhsa_user_sgpr_kernarg_preload_offset 0
		.amdhsa_user_sgpr_private_segment_size 0
		.amdhsa_uses_dynamic_stack 0
		.amdhsa_system_sgpr_private_segment_wavefront_offset 0
		.amdhsa_system_sgpr_workgroup_id_x 1
		.amdhsa_system_sgpr_workgroup_id_y 0
		.amdhsa_system_sgpr_workgroup_id_z 0
		.amdhsa_system_sgpr_workgroup_info 0
		.amdhsa_system_vgpr_workitem_id 0
		.amdhsa_next_free_vgpr 34
		.amdhsa_next_free_sgpr 67
		.amdhsa_accum_offset 36
		.amdhsa_reserve_vcc 1
		.amdhsa_reserve_flat_scratch 0
		.amdhsa_float_round_mode_32 0
		.amdhsa_float_round_mode_16_64 0
		.amdhsa_float_denorm_mode_32 3
		.amdhsa_float_denorm_mode_16_64 3
		.amdhsa_dx10_clamp 1
		.amdhsa_ieee_mode 1
		.amdhsa_fp16_overflow 0
		.amdhsa_tg_split 0
		.amdhsa_exception_fp_ieee_invalid_op 0
		.amdhsa_exception_fp_denorm_src 0
		.amdhsa_exception_fp_ieee_div_zero 0
		.amdhsa_exception_fp_ieee_overflow 0
		.amdhsa_exception_fp_ieee_underflow 0
		.amdhsa_exception_fp_ieee_inexact 0
		.amdhsa_exception_int_div_zero 0
	.end_amdhsa_kernel
	.section	.text._ZN9rocsparseL22csrmvn_adaptive_kernelIll21rocsparse_complex_numIfES2_S2_S2_EEvbT_PKS3_PjPKT0_NS_24const_host_device_scalarIT4_EES5_S9_PKT1_PKT2_SC_PT3_21rocsparse_index_base_b,"axG",@progbits,_ZN9rocsparseL22csrmvn_adaptive_kernelIll21rocsparse_complex_numIfES2_S2_S2_EEvbT_PKS3_PjPKT0_NS_24const_host_device_scalarIT4_EES5_S9_PKT1_PKT2_SC_PT3_21rocsparse_index_base_b,comdat
.Lfunc_end29:
	.size	_ZN9rocsparseL22csrmvn_adaptive_kernelIll21rocsparse_complex_numIfES2_S2_S2_EEvbT_PKS3_PjPKT0_NS_24const_host_device_scalarIT4_EES5_S9_PKT1_PKT2_SC_PT3_21rocsparse_index_base_b, .Lfunc_end29-_ZN9rocsparseL22csrmvn_adaptive_kernelIll21rocsparse_complex_numIfES2_S2_S2_EEvbT_PKS3_PjPKT0_NS_24const_host_device_scalarIT4_EES5_S9_PKT1_PKT2_SC_PT3_21rocsparse_index_base_b
                                        ; -- End function
	.section	.AMDGPU.csdata,"",@progbits
; Kernel info:
; codeLenInByte = 4900
; NumSgprs: 71
; NumVgprs: 34
; NumAgprs: 0
; TotalNumVgprs: 34
; ScratchSize: 0
; MemoryBound: 0
; FloatMode: 240
; IeeeMode: 1
; LDSByteSize: 8192 bytes/workgroup (compile time only)
; SGPRBlocks: 8
; VGPRBlocks: 4
; NumSGPRsForWavesPerEU: 71
; NumVGPRsForWavesPerEU: 34
; AccumOffset: 36
; Occupancy: 8
; WaveLimiterHint : 1
; COMPUTE_PGM_RSRC2:SCRATCH_EN: 0
; COMPUTE_PGM_RSRC2:USER_SGPR: 6
; COMPUTE_PGM_RSRC2:TRAP_HANDLER: 0
; COMPUTE_PGM_RSRC2:TGID_X_EN: 1
; COMPUTE_PGM_RSRC2:TGID_Y_EN: 0
; COMPUTE_PGM_RSRC2:TGID_Z_EN: 0
; COMPUTE_PGM_RSRC2:TIDIG_COMP_CNT: 0
; COMPUTE_PGM_RSRC3_GFX90A:ACCUM_OFFSET: 8
; COMPUTE_PGM_RSRC3_GFX90A:TG_SPLIT: 0
	.section	.text._ZN9rocsparseL22partial_scale_y_kernelIl21rocsparse_complex_numIfES2_EEvT_S3_S3_NS_24const_host_device_scalarIT1_EEPT0_b,"axG",@progbits,_ZN9rocsparseL22partial_scale_y_kernelIl21rocsparse_complex_numIfES2_EEvT_S3_S3_NS_24const_host_device_scalarIT1_EEPT0_b,comdat
	.globl	_ZN9rocsparseL22partial_scale_y_kernelIl21rocsparse_complex_numIfES2_EEvT_S3_S3_NS_24const_host_device_scalarIT1_EEPT0_b ; -- Begin function _ZN9rocsparseL22partial_scale_y_kernelIl21rocsparse_complex_numIfES2_EEvT_S3_S3_NS_24const_host_device_scalarIT1_EEPT0_b
	.p2align	8
	.type	_ZN9rocsparseL22partial_scale_y_kernelIl21rocsparse_complex_numIfES2_EEvT_S3_S3_NS_24const_host_device_scalarIT1_EEPT0_b,@function
_ZN9rocsparseL22partial_scale_y_kernelIl21rocsparse_complex_numIfES2_EEvT_S3_S3_NS_24const_host_device_scalarIT1_EEPT0_b: ; @_ZN9rocsparseL22partial_scale_y_kernelIl21rocsparse_complex_numIfES2_EEvT_S3_S3_NS_24const_host_device_scalarIT1_EEPT0_b
; %bb.0:
	s_load_dword s2, s[4:5], 0x28
	s_load_dwordx2 s[0:1], s[4:5], 0x18
	s_load_dwordx8 s[8:15], s[4:5], 0x0
	s_waitcnt lgkmcnt(0)
	s_bitcmp1_b32 s2, 0
	s_cselect_b64 s[16:17], -1, 0
	s_xor_b64 s[2:3], s[16:17], -1
	s_and_b64 vcc, exec, s[16:17]
	v_mov_b32_e32 v2, s0
	s_cbranch_vccnz .LBB30_2
; %bb.1:
	v_pk_mov_b32 v[2:3], s[14:15], s[14:15] op_sel:[0,1]
	flat_load_dword v2, v[2:3]
.LBB30_2:
	s_andn2_b64 vcc, exec, s[2:3]
	v_mov_b32_e32 v4, s1
	s_cbranch_vccnz .LBB30_4
; %bb.3:
	v_pk_mov_b32 v[4:5], s[14:15], s[14:15] op_sel:[0,1]
	flat_load_dword v4, v[4:5] offset:4
.LBB30_4:
	s_waitcnt vmcnt(0) lgkmcnt(0)
	v_cmp_neq_f32_e32 vcc, 1.0, v2
	v_cmp_neq_f32_e64 s[0:1], 0, v4
	s_or_b64 s[0:1], vcc, s[0:1]
	s_and_saveexec_b64 s[2:3], s[0:1]
	s_cbranch_execz .LBB30_17
; %bb.5:
	s_add_u32 s0, s10, s8
	s_addc_u32 s1, s11, s9
	s_sub_u32 s0, s0, s12
	v_lshl_or_b32 v0, s6, 8, v0
	v_mov_b32_e32 v1, 0
	s_subb_u32 s1, s1, s13
	v_cmp_gt_i64_e32 vcc, s[0:1], v[0:1]
	s_and_b64 exec, exec, vcc
	s_cbranch_execz .LBB30_17
; %bb.6:
	s_load_dwordx2 s[4:5], s[4:5], 0x20
	v_cmp_neq_f32_e64 s[0:1], 0, v2
	v_cmp_neq_f32_e64 s[2:3], 0, v4
	v_cmp_le_i64_e32 vcc, s[10:11], v[0:1]
	s_or_b64 s[0:1], s[0:1], s[2:3]
	s_and_saveexec_b64 s[2:3], vcc
	s_xor_b64 s[2:3], exec, s[2:3]
	s_cbranch_execz .LBB30_12
; %bb.7:
	v_mov_b32_e32 v1, s11
	v_subrev_co_u32_e32 v0, vcc, s10, v0
	s_lshl_b64 s[6:7], s[12:13], 3
	v_subb_co_u32_e32 v1, vcc, 0, v1, vcc
	s_waitcnt lgkmcnt(0)
	s_add_u32 s6, s6, s4
	v_lshlrev_b64 v[0:1], 3, v[0:1]
	s_addc_u32 s7, s7, s5
	v_mov_b32_e32 v3, s7
	v_add_co_u32_e32 v0, vcc, s6, v0
	v_addc_co_u32_e32 v1, vcc, v3, v1, vcc
	s_and_saveexec_b64 s[6:7], s[0:1]
	s_xor_b64 s[6:7], exec, s[6:7]
	s_cbranch_execz .LBB30_9
; %bb.8:
	global_load_dwordx2 v[6:7], v[0:1], off
	s_waitcnt vmcnt(0)
	v_pk_mul_f32 v[4:5], v[4:5], v[6:7] op_sel:[0,1] op_sel_hi:[0,0] neg_lo:[0,1]
	v_pk_fma_f32 v[2:3], v[6:7], v[2:3], v[4:5] op_sel_hi:[1,0,1]
	global_store_dwordx2 v[0:1], v[2:3], off
                                        ; implicit-def: $vgpr0_vgpr1
.LBB30_9:
	s_andn2_saveexec_b64 s[6:7], s[6:7]
	s_cbranch_execz .LBB30_11
; %bb.10:
	v_mov_b32_e32 v2, 0
	v_mov_b32_e32 v3, v2
	global_store_dwordx2 v[0:1], v[2:3], off
.LBB30_11:
	s_or_b64 exec, exec, s[6:7]
                                        ; implicit-def: $vgpr0_vgpr1
                                        ; implicit-def: $vgpr4
                                        ; implicit-def: $vgpr2
.LBB30_12:
	s_andn2_saveexec_b64 s[2:3], s[2:3]
	s_cbranch_execz .LBB30_17
; %bb.13:
	v_lshlrev_b64 v[0:1], 3, v[0:1]
	s_waitcnt lgkmcnt(0)
	v_mov_b32_e32 v3, s5
	v_add_co_u32_e32 v0, vcc, s4, v0
	v_addc_co_u32_e32 v1, vcc, v3, v1, vcc
	s_and_saveexec_b64 s[2:3], s[0:1]
	s_xor_b64 s[0:1], exec, s[2:3]
	s_cbranch_execz .LBB30_15
; %bb.14:
	global_load_dwordx2 v[6:7], v[0:1], off
	s_waitcnt vmcnt(0)
	v_pk_mul_f32 v[4:5], v[4:5], v[6:7] op_sel:[0,1] op_sel_hi:[0,0] neg_lo:[0,1]
	v_pk_fma_f32 v[2:3], v[6:7], v[2:3], v[4:5] op_sel_hi:[1,0,1]
	global_store_dwordx2 v[0:1], v[2:3], off
                                        ; implicit-def: $vgpr0_vgpr1
.LBB30_15:
	s_andn2_saveexec_b64 s[0:1], s[0:1]
	s_cbranch_execz .LBB30_17
; %bb.16:
	v_mov_b32_e32 v2, 0
	v_mov_b32_e32 v3, v2
	global_store_dwordx2 v[0:1], v[2:3], off
.LBB30_17:
	s_endpgm
	.section	.rodata,"a",@progbits
	.p2align	6, 0x0
	.amdhsa_kernel _ZN9rocsparseL22partial_scale_y_kernelIl21rocsparse_complex_numIfES2_EEvT_S3_S3_NS_24const_host_device_scalarIT1_EEPT0_b
		.amdhsa_group_segment_fixed_size 0
		.amdhsa_private_segment_fixed_size 0
		.amdhsa_kernarg_size 44
		.amdhsa_user_sgpr_count 6
		.amdhsa_user_sgpr_private_segment_buffer 1
		.amdhsa_user_sgpr_dispatch_ptr 0
		.amdhsa_user_sgpr_queue_ptr 0
		.amdhsa_user_sgpr_kernarg_segment_ptr 1
		.amdhsa_user_sgpr_dispatch_id 0
		.amdhsa_user_sgpr_flat_scratch_init 0
		.amdhsa_user_sgpr_kernarg_preload_length 0
		.amdhsa_user_sgpr_kernarg_preload_offset 0
		.amdhsa_user_sgpr_private_segment_size 0
		.amdhsa_uses_dynamic_stack 0
		.amdhsa_system_sgpr_private_segment_wavefront_offset 0
		.amdhsa_system_sgpr_workgroup_id_x 1
		.amdhsa_system_sgpr_workgroup_id_y 0
		.amdhsa_system_sgpr_workgroup_id_z 0
		.amdhsa_system_sgpr_workgroup_info 0
		.amdhsa_system_vgpr_workitem_id 0
		.amdhsa_next_free_vgpr 8
		.amdhsa_next_free_sgpr 18
		.amdhsa_accum_offset 8
		.amdhsa_reserve_vcc 1
		.amdhsa_reserve_flat_scratch 0
		.amdhsa_float_round_mode_32 0
		.amdhsa_float_round_mode_16_64 0
		.amdhsa_float_denorm_mode_32 3
		.amdhsa_float_denorm_mode_16_64 3
		.amdhsa_dx10_clamp 1
		.amdhsa_ieee_mode 1
		.amdhsa_fp16_overflow 0
		.amdhsa_tg_split 0
		.amdhsa_exception_fp_ieee_invalid_op 0
		.amdhsa_exception_fp_denorm_src 0
		.amdhsa_exception_fp_ieee_div_zero 0
		.amdhsa_exception_fp_ieee_overflow 0
		.amdhsa_exception_fp_ieee_underflow 0
		.amdhsa_exception_fp_ieee_inexact 0
		.amdhsa_exception_int_div_zero 0
	.end_amdhsa_kernel
	.section	.text._ZN9rocsparseL22partial_scale_y_kernelIl21rocsparse_complex_numIfES2_EEvT_S3_S3_NS_24const_host_device_scalarIT1_EEPT0_b,"axG",@progbits,_ZN9rocsparseL22partial_scale_y_kernelIl21rocsparse_complex_numIfES2_EEvT_S3_S3_NS_24const_host_device_scalarIT1_EEPT0_b,comdat
.Lfunc_end30:
	.size	_ZN9rocsparseL22partial_scale_y_kernelIl21rocsparse_complex_numIfES2_EEvT_S3_S3_NS_24const_host_device_scalarIT1_EEPT0_b, .Lfunc_end30-_ZN9rocsparseL22partial_scale_y_kernelIl21rocsparse_complex_numIfES2_EEvT_S3_S3_NS_24const_host_device_scalarIT1_EEPT0_b
                                        ; -- End function
	.section	.AMDGPU.csdata,"",@progbits
; Kernel info:
; codeLenInByte = 440
; NumSgprs: 22
; NumVgprs: 8
; NumAgprs: 0
; TotalNumVgprs: 8
; ScratchSize: 0
; MemoryBound: 0
; FloatMode: 240
; IeeeMode: 1
; LDSByteSize: 0 bytes/workgroup (compile time only)
; SGPRBlocks: 2
; VGPRBlocks: 0
; NumSGPRsForWavesPerEU: 22
; NumVGPRsForWavesPerEU: 8
; AccumOffset: 8
; Occupancy: 8
; WaveLimiterHint : 0
; COMPUTE_PGM_RSRC2:SCRATCH_EN: 0
; COMPUTE_PGM_RSRC2:USER_SGPR: 6
; COMPUTE_PGM_RSRC2:TRAP_HANDLER: 0
; COMPUTE_PGM_RSRC2:TGID_X_EN: 1
; COMPUTE_PGM_RSRC2:TGID_Y_EN: 0
; COMPUTE_PGM_RSRC2:TGID_Z_EN: 0
; COMPUTE_PGM_RSRC2:TIDIG_COMP_CNT: 0
; COMPUTE_PGM_RSRC3_GFX90A:ACCUM_OFFSET: 1
; COMPUTE_PGM_RSRC3_GFX90A:TG_SPLIT: 0
	.section	.text._ZN9rocsparseL27csrmvn_symm_adaptive_kernelIll21rocsparse_complex_numIfES2_S2_S2_EEvbT_S3_PKS3_NS_24const_host_device_scalarIT4_EES5_PKT0_PKT1_PKT2_S8_PT3_21rocsparse_index_base_b,"axG",@progbits,_ZN9rocsparseL27csrmvn_symm_adaptive_kernelIll21rocsparse_complex_numIfES2_S2_S2_EEvbT_S3_PKS3_NS_24const_host_device_scalarIT4_EES5_PKT0_PKT1_PKT2_S8_PT3_21rocsparse_index_base_b,comdat
	.globl	_ZN9rocsparseL27csrmvn_symm_adaptive_kernelIll21rocsparse_complex_numIfES2_S2_S2_EEvbT_S3_PKS3_NS_24const_host_device_scalarIT4_EES5_PKT0_PKT1_PKT2_S8_PT3_21rocsparse_index_base_b ; -- Begin function _ZN9rocsparseL27csrmvn_symm_adaptive_kernelIll21rocsparse_complex_numIfES2_S2_S2_EEvbT_S3_PKS3_NS_24const_host_device_scalarIT4_EES5_PKT0_PKT1_PKT2_S8_PT3_21rocsparse_index_base_b
	.p2align	8
	.type	_ZN9rocsparseL27csrmvn_symm_adaptive_kernelIll21rocsparse_complex_numIfES2_S2_S2_EEvbT_S3_PKS3_NS_24const_host_device_scalarIT4_EES5_PKT0_PKT1_PKT2_S8_PT3_21rocsparse_index_base_b,@function
_ZN9rocsparseL27csrmvn_symm_adaptive_kernelIll21rocsparse_complex_numIfES2_S2_S2_EEvbT_S3_PKS3_NS_24const_host_device_scalarIT4_EES5_PKT0_PKT1_PKT2_S8_PT3_21rocsparse_index_base_b: ; @_ZN9rocsparseL27csrmvn_symm_adaptive_kernelIll21rocsparse_complex_numIfES2_S2_S2_EEvbT_S3_PKS3_NS_24const_host_device_scalarIT4_EES5_PKT0_PKT1_PKT2_S8_PT3_21rocsparse_index_base_b
; %bb.0:
	s_load_dwordx2 s[34:35], s[4:5], 0x58
	s_load_dwordx2 s[8:9], s[4:5], 0x20
	s_load_dwordx2 s[2:3], s[4:5], 0x48
	s_waitcnt lgkmcnt(0)
	s_bitcmp1_b32 s35, 0
	s_cselect_b64 s[0:1], -1, 0
	s_xor_b64 s[10:11], s[0:1], -1
	s_and_b64 vcc, exec, s[0:1]
	v_mov_b32_e32 v2, s8
	s_cbranch_vccnz .LBB31_2
; %bb.1:
	v_pk_mov_b32 v[2:3], s[8:9], s[8:9] op_sel:[0,1]
	flat_load_dword v2, v[2:3]
.LBB31_2:
	v_cndmask_b32_e64 v1, 0, 1, s[10:11]
	v_cmp_ne_u32_e64 s[0:1], 1, v1
	s_andn2_b64 vcc, exec, s[10:11]
	v_mov_b32_e32 v3, s9
	s_cbranch_vccz .LBB31_12
; %bb.3:
	s_and_b64 vcc, exec, s[0:1]
	v_mov_b32_e32 v1, s2
	s_cbranch_vccz .LBB31_13
.LBB31_4:
	s_and_b64 vcc, exec, s[0:1]
	v_mov_b32_e32 v4, s3
	s_cbranch_vccnz .LBB31_6
.LBB31_5:
	v_pk_mov_b32 v[4:5], s[2:3], s[2:3] op_sel:[0,1]
	flat_load_dword v4, v[4:5] offset:4
.LBB31_6:
	s_waitcnt vmcnt(0) lgkmcnt(0)
	v_cmp_eq_f32_e32 vcc, 0, v2
	v_cmp_eq_f32_e64 s[0:1], 0, v3
	s_and_b64 s[8:9], vcc, s[0:1]
	s_mov_b64 s[0:1], -1
	s_and_saveexec_b64 s[2:3], s[8:9]
; %bb.7:
	v_cmp_neq_f32_e32 vcc, 1.0, v1
	v_and_b32_e32 v1, 0x7fffffff, v4
	v_cmp_ne_u32_e64 s[0:1], 0, v1
	s_or_b64 s[0:1], vcc, s[0:1]
	s_orn2_b64 s[0:1], s[0:1], exec
; %bb.8:
	s_or_b64 exec, exec, s[2:3]
	s_and_saveexec_b64 s[2:3], s[0:1]
	s_cbranch_execz .LBB31_216
; %bb.9:
	s_load_dword s0, s[4:5], 0x0
	s_load_dwordx2 s[2:3], s[4:5], 0x18
	s_mov_b32 s33, 0
	s_mov_b32 s8, s33
	s_mov_b32 s9, s33
	s_waitcnt lgkmcnt(0)
	s_bitcmp1_b32 s0, 0
	s_cselect_b64 s[0:1], -1, 0
	s_ashr_i32 s7, s6, 31
	s_lshl_b64 s[6:7], s[6:7], 3
	s_add_u32 s2, s2, s6
	v_lshlrev_b32_e32 v24, 3, v0
	v_pk_mov_b32 v[4:5], s[8:9], s[8:9] op_sel:[0,1]
	s_addc_u32 s3, s3, s7
	ds_write2st64_b64 v24, v[4:5], v[4:5] offset1:4
	ds_write2st64_b64 v24, v[4:5], v[4:5] offset0:8 offset1:12
	s_waitcnt lgkmcnt(0)
	s_barrier
	s_load_dwordx4 s[24:27], s[2:3], 0x0
	s_load_dwordx8 s[16:23], s[4:5], 0x28
	s_load_dwordx2 s[28:29], s[4:5], 0x50
	s_mov_b64 s[2:3], -1
	s_waitcnt lgkmcnt(0)
	s_sub_u32 s30, s26, s24
	s_subb_u32 s31, s27, s25
	v_cmp_gt_i64_e64 s[6:7], s[30:31], 2
	s_and_b64 vcc, exec, s[6:7]
	s_cbranch_vccnz .LBB31_57
; %bb.10:
	v_pk_mov_b32 v[4:5], s[24:25], s[24:25] op_sel:[0,1]
	v_cmp_gt_i64_e32 vcc, s[26:27], v[4:5]
	v_subrev_co_u32_e64 v1, s[2:3], s34, v0
	v_subb_co_u32_e64 v12, s[2:3], 0, 0, s[2:3]
	s_cbranch_vccnz .LBB31_14
; %bb.11:
	s_lshl_b64 s[2:3], s[24:25], 3
	s_add_u32 s2, s16, s2
	s_addc_u32 s3, s17, s3
	s_load_dwordx2 s[36:37], s[2:3], 0x0
	s_cbranch_execz .LBB31_15
	s_branch .LBB31_44
.LBB31_12:
	v_pk_mov_b32 v[4:5], s[8:9], s[8:9] op_sel:[0,1]
	flat_load_dword v3, v[4:5] offset:4
	s_and_b64 vcc, exec, s[0:1]
	v_mov_b32_e32 v1, s2
	s_cbranch_vccnz .LBB31_4
.LBB31_13:
	v_pk_mov_b32 v[4:5], s[2:3], s[2:3] op_sel:[0,1]
	flat_load_dword v1, v[4:5]
	s_and_b64 vcc, exec, s[0:1]
	v_mov_b32_e32 v4, s3
	s_cbranch_vccz .LBB31_5
	s_branch .LBB31_6
.LBB31_14:
                                        ; implicit-def: $sgpr36_sgpr37
.LBB31_15:
	s_lshl_b64 s[14:15], s[24:25], 3
	s_add_u32 s14, s16, s14
	s_addc_u32 s15, s17, s15
	s_waitcnt lgkmcnt(0)
	s_load_dwordx2 s[36:37], s[14:15], 0x0
	s_add_u32 s50, s16, 8
	s_addc_u32 s51, s17, 0
	s_movk_i32 s35, 0x100
	s_add_u32 s52, s20, 4
	v_cmp_gt_u32_e64 s[2:3], s35, v0
	v_cmp_gt_u32_e64 s[6:7], 64, v0
	;; [unrolled: 1-line block ×4, first 2 shown]
	v_cmp_eq_u32_e64 s[12:13], 0, v0
	s_addc_u32 s53, s21, 0
	v_mov_b32_e32 v13, s33
	v_mov_b32_e32 v14, s23
	;; [unrolled: 1-line block ×3, first 2 shown]
	s_waitcnt lgkmcnt(0)
	s_mov_b64 s[40:41], s[36:37]
	s_mov_b64 s[38:39], s[24:25]
	s_branch .LBB31_17
.LBB31_16:                              ;   in Loop: Header=BB31_17 Depth=1
	s_or_b64 exec, exec, s[14:15]
	s_add_u32 s38, s38, 1
	s_addc_u32 s39, s39, 0
	v_pk_mov_b32 v[4:5], s[26:27], s[26:27] op_sel:[0,1]
	v_cmp_ge_i64_e32 vcc, s[38:39], v[4:5]
	s_cbranch_vccnz .LBB31_44
.LBB31_17:                              ; =>This Loop Header: Depth=1
                                        ;     Child Loop BB31_19 Depth 2
                                        ;     Child Loop BB31_33 Depth 2
	;; [unrolled: 1-line block ×5, first 2 shown]
	s_lshl_b64 s[42:43], s[38:39], 3
	s_mov_b64 s[14:15], s[40:41]
	s_add_u32 s40, s50, s42
	s_addc_u32 s41, s51, s43
	s_load_dwordx2 s[40:41], s[40:41], 0x0
	v_mov_b32_e32 v5, s15
	v_add_co_u32_e32 v4, vcc, s14, v1
	v_addc_co_u32_e32 v5, vcc, v5, v12, vcc
	s_waitcnt lgkmcnt(0)
	s_sub_u32 s44, s40, s34
	s_subb_u32 s45, s41, 0
	v_cmp_gt_i64_e32 vcc, s[44:45], v[4:5]
	v_mov_b32_e32 v7, 0
	v_mov_b32_e32 v6, 0
	s_and_saveexec_b64 s[46:47], vcc
	s_cbranch_execz .LBB31_21
; %bb.18:                               ;   in Loop: Header=BB31_17 Depth=1
	v_lshlrev_b64 v[6:7], 3, v[4:5]
	v_mov_b32_e32 v9, s19
	v_add_co_u32_e32 v8, vcc, s18, v6
	v_addc_co_u32_e32 v9, vcc, v9, v7, vcc
	v_mov_b32_e32 v11, s53
	v_add_co_u32_e32 v10, vcc, s52, v6
	v_mov_b32_e32 v6, 0
	v_addc_co_u32_e32 v11, vcc, v11, v7, vcc
	s_mov_b64 s[48:49], 0
	v_mov_b32_e32 v7, v6
.LBB31_19:                              ;   Parent Loop BB31_17 Depth=1
                                        ; =>  This Inner Loop Header: Depth=2
	global_load_dwordx2 v[16:17], v[8:9], off
	global_load_dwordx2 v[18:19], v[10:11], off offset:-4
	s_waitcnt vmcnt(1)
	v_subrev_co_u32_e32 v16, vcc, s34, v16
	v_subb_co_u32_e32 v17, vcc, v17, v13, vcc
	v_lshlrev_b64 v[16:17], 3, v[16:17]
	v_add_co_u32_e32 v16, vcc, s22, v16
	v_addc_co_u32_e32 v17, vcc, v14, v17, vcc
	global_load_dwordx2 v[16:17], v[16:17], off
	v_add_co_u32_e32 v4, vcc, s35, v4
	v_addc_co_u32_e32 v5, vcc, 0, v5, vcc
	v_add_co_u32_e32 v8, vcc, 0x800, v8
	v_addc_co_u32_e32 v9, vcc, 0, v9, vcc
	s_waitcnt vmcnt(1)
	v_cndmask_b32_e64 v19, v19, -v19, s[0:1]
	v_add_co_u32_e32 v10, vcc, 0x800, v10
	v_cmp_le_i64_e64 s[14:15], s[44:45], v[4:5]
	v_mov_b32_e32 v21, v18
	v_xor_b32_e32 v20, 0x80000000, v19
	v_addc_co_u32_e32 v11, vcc, 0, v11, vcc
	s_or_b64 s[48:49], s[14:15], s[48:49]
	s_waitcnt vmcnt(0)
	v_pk_fma_f32 v[6:7], v[18:19], v[16:17], v[6:7] op_sel_hi:[1,0,1]
	v_pk_fma_f32 v[6:7], v[20:21], v[16:17], v[6:7] op_sel:[0,1,0]
	s_andn2_b64 exec, exec, s[48:49]
	s_cbranch_execnz .LBB31_19
; %bb.20:                               ;   in Loop: Header=BB31_17 Depth=1
	s_or_b64 exec, exec, s[48:49]
.LBB31_21:                              ;   in Loop: Header=BB31_17 Depth=1
	s_or_b64 exec, exec, s[46:47]
	ds_write_b64 v24, v[6:7]
	s_waitcnt lgkmcnt(0)
	s_barrier
	s_and_saveexec_b64 s[14:15], s[2:3]
	s_cbranch_execz .LBB31_23
; %bb.22:                               ;   in Loop: Header=BB31_17 Depth=1
	ds_read2st64_b64 v[4:7], v24 offset1:4
	ds_read2st64_b64 v[8:11], v24 offset0:8 offset1:12
	s_waitcnt lgkmcnt(0)
	v_pk_add_f32 v[6:7], v[8:9], v[6:7]
	v_pk_add_f32 v[6:7], v[6:7], v[10:11]
	;; [unrolled: 1-line block ×3, first 2 shown]
	ds_write_b64 v24, v[4:5]
.LBB31_23:                              ;   in Loop: Header=BB31_17 Depth=1
	s_or_b64 exec, exec, s[14:15]
	s_waitcnt lgkmcnt(0)
	s_barrier
	s_and_saveexec_b64 s[14:15], s[6:7]
	s_cbranch_execz .LBB31_25
; %bb.24:                               ;   in Loop: Header=BB31_17 Depth=1
	ds_read2st64_b64 v[4:7], v24 offset1:1
	ds_read2st64_b64 v[8:11], v24 offset0:2 offset1:3
	s_waitcnt lgkmcnt(0)
	v_pk_add_f32 v[6:7], v[8:9], v[6:7]
	v_pk_add_f32 v[6:7], v[6:7], v[10:11]
	;; [unrolled: 1-line block ×3, first 2 shown]
	ds_write_b64 v24, v[4:5]
.LBB31_25:                              ;   in Loop: Header=BB31_17 Depth=1
	s_or_b64 exec, exec, s[14:15]
	s_waitcnt lgkmcnt(0)
	s_barrier
	s_and_saveexec_b64 s[14:15], s[8:9]
	s_cbranch_execz .LBB31_27
; %bb.26:                               ;   in Loop: Header=BB31_17 Depth=1
	ds_read2_b64 v[4:7], v24 offset1:16
	ds_read2_b64 v[8:11], v24 offset0:32 offset1:48
	s_waitcnt lgkmcnt(0)
	v_pk_add_f32 v[6:7], v[8:9], v[6:7]
	v_pk_add_f32 v[6:7], v[6:7], v[10:11]
	;; [unrolled: 1-line block ×3, first 2 shown]
	ds_write_b64 v24, v[4:5]
.LBB31_27:                              ;   in Loop: Header=BB31_17 Depth=1
	s_or_b64 exec, exec, s[14:15]
	s_waitcnt lgkmcnt(0)
	s_barrier
	s_and_saveexec_b64 s[14:15], s[10:11]
	s_cbranch_execz .LBB31_29
; %bb.28:                               ;   in Loop: Header=BB31_17 Depth=1
	ds_read2_b64 v[4:7], v24 offset1:4
	ds_read2_b64 v[8:11], v24 offset0:8 offset1:12
	s_waitcnt lgkmcnt(0)
	v_pk_add_f32 v[6:7], v[8:9], v[6:7]
	v_pk_add_f32 v[6:7], v[6:7], v[10:11]
	;; [unrolled: 1-line block ×3, first 2 shown]
	ds_write_b64 v24, v[4:5]
.LBB31_29:                              ;   in Loop: Header=BB31_17 Depth=1
	s_or_b64 exec, exec, s[14:15]
	s_waitcnt lgkmcnt(0)
	s_barrier
	s_and_saveexec_b64 s[14:15], s[12:13]
	s_cbranch_execz .LBB31_31
; %bb.30:                               ;   in Loop: Header=BB31_17 Depth=1
	ds_read_b128 v[4:7], v15 offset:16
	ds_read_b64 v[8:9], v15 offset:8
	ds_read_b64 v[10:11], v24
	s_waitcnt lgkmcnt(1)
	v_pk_add_f32 v[4:5], v[4:5], v[8:9]
	v_pk_add_f32 v[4:5], v[4:5], v[6:7]
	s_waitcnt lgkmcnt(0)
	v_pk_add_f32 v[4:5], v[4:5], v[10:11]
	ds_write_b64 v24, v[4:5]
.LBB31_31:                              ;   in Loop: Header=BB31_17 Depth=1
	s_or_b64 exec, exec, s[14:15]
	s_waitcnt lgkmcnt(0)
	s_barrier
	s_and_saveexec_b64 s[14:15], s[12:13]
	s_cbranch_execz .LBB31_16
; %bb.32:                               ;   in Loop: Header=BB31_17 Depth=1
	ds_read_b64 v[4:5], v15
	s_mov_b64 s[44:45], exec
	v_bfrev_b32_e32 v8, 1
	s_waitcnt lgkmcnt(0)
	v_mul_f32_e64 v6, v5, -v3
	v_fmac_f32_e32 v6, v2, v4
.LBB31_33:                              ;   Parent Loop BB31_17 Depth=1
                                        ; =>  This Inner Loop Header: Depth=2
	s_ff1_i32_b64 s46, s[44:45]
	v_readlane_b32 s48, v6, s46
	s_lshl_b64 s[46:47], 1, s46
	s_andn2_b64 s[44:45], s[44:45], s[46:47]
	s_cmp_lg_u64 s[44:45], 0
	v_add_f32_e32 v8, s48, v8
	s_cbranch_scc1 .LBB31_33
; %bb.34:                               ;   in Loop: Header=BB31_17 Depth=1
	v_mbcnt_lo_u32_b32 v6, exec_lo, 0
	s_add_u32 s42, s28, s42
	v_mbcnt_hi_u32_b32 v6, exec_hi, v6
	s_addc_u32 s43, s29, s43
	v_cmp_eq_u32_e32 vcc, 0, v6
	s_and_saveexec_b64 s[44:45], vcc
	s_xor_b64 s[44:45], exec, s[44:45]
	s_cbranch_execz .LBB31_38
; %bb.35:                               ;   in Loop: Header=BB31_17 Depth=1
	global_load_dword v7, v15, s[42:43]
	s_mov_b64 s[46:47], 0
.LBB31_36:                              ;   Parent Loop BB31_17 Depth=1
                                        ; =>  This Inner Loop Header: Depth=2
	s_waitcnt vmcnt(0)
	v_add_f32_e32 v6, v7, v8
	global_atomic_cmpswap v6, v15, v[6:7], s[42:43] glc
	s_waitcnt vmcnt(0)
	v_cmp_eq_u32_e32 vcc, v6, v7
	s_or_b64 s[46:47], vcc, s[46:47]
	v_mov_b32_e32 v7, v6
	s_andn2_b64 exec, exec, s[46:47]
	s_cbranch_execnz .LBB31_36
; %bb.37:                               ;   in Loop: Header=BB31_17 Depth=1
	s_or_b64 exec, exec, s[46:47]
.LBB31_38:                              ;   in Loop: Header=BB31_17 Depth=1
	s_or_b64 exec, exec, s[44:45]
	v_mul_f32_e32 v5, v5, v2
	s_mov_b64 s[44:45], exec
	v_fmac_f32_e32 v5, v3, v4
	v_bfrev_b32_e32 v6, 1
.LBB31_39:                              ;   Parent Loop BB31_17 Depth=1
                                        ; =>  This Inner Loop Header: Depth=2
	s_ff1_i32_b64 s46, s[44:45]
	v_readlane_b32 s48, v5, s46
	s_lshl_b64 s[46:47], 1, s46
	s_andn2_b64 s[44:45], s[44:45], s[46:47]
	s_cmp_lg_u64 s[44:45], 0
	v_add_f32_e32 v6, s48, v6
	s_cbranch_scc1 .LBB31_39
; %bb.40:                               ;   in Loop: Header=BB31_17 Depth=1
	v_mbcnt_lo_u32_b32 v4, exec_lo, 0
	v_mbcnt_hi_u32_b32 v4, exec_hi, v4
	v_cmp_eq_u32_e32 vcc, 0, v4
	s_and_saveexec_b64 s[44:45], vcc
	s_xor_b64 s[44:45], exec, s[44:45]
	s_cbranch_execz .LBB31_16
; %bb.41:                               ;   in Loop: Header=BB31_17 Depth=1
	global_load_dword v5, v15, s[42:43] offset:4
	s_mov_b64 s[44:45], 0
.LBB31_42:                              ;   Parent Loop BB31_17 Depth=1
                                        ; =>  This Inner Loop Header: Depth=2
	s_waitcnt vmcnt(0)
	v_add_f32_e32 v4, v5, v6
	global_atomic_cmpswap v4, v15, v[4:5], s[42:43] offset:4 glc
	s_waitcnt vmcnt(0)
	v_cmp_eq_u32_e32 vcc, v4, v5
	s_or_b64 s[44:45], vcc, s[44:45]
	v_mov_b32_e32 v5, v4
	s_andn2_b64 exec, exec, s[44:45]
	s_cbranch_execnz .LBB31_42
; %bb.43:                               ;   in Loop: Header=BB31_17 Depth=1
	s_or_b64 exec, exec, s[44:45]
	s_branch .LBB31_16
.LBB31_44:
	s_lshl_b64 s[2:3], s[26:27], 3
	s_add_u32 s2, s16, s2
	s_addc_u32 s3, s17, s3
	s_load_dwordx2 s[2:3], s[2:3], 0x0
	s_waitcnt lgkmcnt(0)
	v_mov_b32_e32 v5, s37
	v_add_co_u32_e32 v4, vcc, s36, v1
	v_addc_co_u32_e32 v5, vcc, v5, v12, vcc
	s_sub_u32 s8, s2, s34
	s_subb_u32 s9, s3, 0
	v_cmp_gt_i64_e32 vcc, s[8:9], v[4:5]
	s_and_saveexec_b64 s[10:11], vcc
	s_cbranch_execz .LBB31_56
; %bb.45:
	s_add_u32 s12, s26, -1
	s_addc_u32 s13, s27, -1
	s_add_u32 s2, s26, -2
	s_addc_u32 s3, s27, -1
	v_pk_mov_b32 v[6:7], s[24:25], s[24:25] op_sel:[0,1]
	s_cmp_lg_u64 s[2:3], s[24:25]
	v_cmp_gt_i64_e32 vcc, s[12:13], v[6:7]
	s_cselect_b64 s[2:3], -1, 0
	s_and_b64 s[2:3], vcc, s[2:3]
	v_cndmask_b32_e64 v1, 0, 1, s[2:3]
	s_mov_b64 s[14:15], 0
	v_cmp_ne_u32_e64 s[2:3], 1, v1
	v_mov_b32_e32 v1, s17
	v_mov_b32_e32 v12, s33
	;; [unrolled: 1-line block ×3, first 2 shown]
	s_branch .LBB31_47
.LBB31_46:                              ;   in Loop: Header=BB31_47 Depth=1
	s_or_b64 exec, exec, s[6:7]
	v_add_co_u32_e32 v4, vcc, 0x100, v4
	v_addc_co_u32_e32 v5, vcc, 0, v5, vcc
	v_cmp_le_i64_e32 vcc, s[8:9], v[4:5]
	s_or_b64 s[14:15], vcc, s[14:15]
	s_andn2_b64 exec, exec, s[14:15]
	s_cbranch_execz .LBB31_56
.LBB31_47:                              ; =>This Loop Header: Depth=1
                                        ;     Child Loop BB31_49 Depth 2
                                        ;     Child Loop BB31_53 Depth 2
	;; [unrolled: 1-line block ×3, first 2 shown]
	s_and_b64 vcc, exec, s[2:3]
	v_pk_mov_b32 v[6:7], s[24:25], s[24:25] op_sel:[0,1]
	v_pk_mov_b32 v[8:9], s[12:13], s[12:13] op_sel:[0,1]
	s_cbranch_vccnz .LBB31_51
; %bb.48:                               ;   in Loop: Header=BB31_47 Depth=1
	s_mov_b64 s[36:37], 0
	v_pk_mov_b32 v[6:7], s[24:25], s[24:25] op_sel:[0,1]
	v_pk_mov_b32 v[8:9], s[12:13], s[12:13] op_sel:[0,1]
.LBB31_49:                              ;   Parent Loop BB31_47 Depth=1
                                        ; =>  This Inner Loop Header: Depth=2
	v_add_co_u32_e32 v10, vcc, v8, v6
	v_addc_co_u32_e32 v11, vcc, v9, v7, vcc
	v_lshrrev_b32_e32 v14, 31, v11
	v_add_co_u32_e32 v10, vcc, v10, v14
	v_addc_co_u32_e32 v11, vcc, 0, v11, vcc
	v_ashrrev_i64 v[10:11], 1, v[10:11]
	v_lshlrev_b64 v[14:15], 3, v[10:11]
	v_mov_b32_e32 v16, s17
	v_add_co_u32_e32 v14, vcc, s16, v14
	v_addc_co_u32_e32 v15, vcc, v16, v15, vcc
	global_load_dwordx2 v[14:15], v[14:15], off
	v_mov_b32_e32 v16, s33
	s_waitcnt vmcnt(0)
	v_subrev_co_u32_e32 v14, vcc, s34, v14
	v_subb_co_u32_e32 v15, vcc, v15, v16, vcc
	v_cmp_gt_i64_e32 vcc, v[14:15], v[4:5]
	v_cndmask_b32_e32 v8, v8, v10, vcc
	v_cndmask_b32_e32 v9, v9, v11, vcc
	;; [unrolled: 1-line block ×3, first 2 shown]
	v_add_co_u32_e64 v10, s[6:7], -1, v8
	v_cndmask_b32_e32 v7, v11, v7, vcc
	v_addc_co_u32_e64 v11, s[6:7], -1, v9, s[6:7]
	v_cmp_ge_i64_e32 vcc, v[6:7], v[8:9]
	v_cmp_eq_u64_e64 s[6:7], v[6:7], v[10:11]
	s_or_b64 s[6:7], vcc, s[6:7]
	s_and_b64 s[6:7], exec, s[6:7]
	s_or_b64 s[36:37], s[6:7], s[36:37]
	s_andn2_b64 exec, exec, s[36:37]
	s_cbranch_execnz .LBB31_49
; %bb.50:                               ;   in Loop: Header=BB31_47 Depth=1
	s_or_b64 exec, exec, s[36:37]
.LBB31_51:                              ;   in Loop: Header=BB31_47 Depth=1
	v_lshlrev_b64 v[10:11], 3, v[8:9]
	v_add_co_u32_e32 v10, vcc, s16, v10
	v_addc_co_u32_e32 v11, vcc, v1, v11, vcc
	global_load_dwordx2 v[14:15], v[10:11], off
	v_lshlrev_b64 v[10:11], 3, v[4:5]
	v_add_co_u32_e32 v16, vcc, s18, v10
	v_addc_co_u32_e32 v17, vcc, v13, v11, vcc
	global_load_dwordx2 v[16:17], v[16:17], off
	s_waitcnt vmcnt(1)
	v_subrev_co_u32_e32 v14, vcc, s34, v14
	v_subb_co_u32_e32 v15, vcc, v15, v12, vcc
	v_cmp_gt_i64_e32 vcc, v[14:15], v[4:5]
	v_cndmask_b32_e32 v7, v9, v7, vcc
	v_cndmask_b32_e32 v6, v8, v6, vcc
	s_waitcnt vmcnt(0)
	v_subrev_co_u32_e32 v8, vcc, s34, v16
	v_subb_co_u32_e32 v9, vcc, v17, v12, vcc
	v_cmp_ne_u64_e32 vcc, v[8:9], v[6:7]
	s_and_saveexec_b64 s[6:7], vcc
	s_cbranch_execz .LBB31_46
; %bb.52:                               ;   in Loop: Header=BB31_47 Depth=1
	v_lshlrev_b64 v[14:15], 3, v[8:9]
	v_mov_b32_e32 v9, s21
	v_add_co_u32_e32 v8, vcc, s20, v10
	v_addc_co_u32_e32 v9, vcc, v9, v11, vcc
	global_load_dwordx2 v[16:17], v[8:9], off
	v_lshlrev_b64 v[6:7], 3, v[6:7]
	v_mov_b32_e32 v8, s23
	v_add_co_u32_e32 v6, vcc, s22, v6
	v_addc_co_u32_e32 v7, vcc, v8, v7, vcc
	v_mov_b32_e32 v18, s29
	global_load_dwordx2 v[8:9], v[6:7], off
	v_add_co_u32_e32 v6, vcc, s28, v14
	v_addc_co_u32_e32 v7, vcc, v18, v15, vcc
	global_load_dword v11, v[6:7], off
	s_mov_b64 s[36:37], 0
	s_waitcnt vmcnt(2)
	v_cndmask_b32_e64 v10, v17, -v17, s[0:1]
	v_mul_f32_e32 v15, v10, v2
	v_mul_f32_e64 v14, v10, -v3
	v_fmac_f32_e32 v15, v3, v16
	v_fmac_f32_e32 v14, v2, v16
	s_waitcnt vmcnt(1)
	v_mul_f32_e64 v16, v9, -v15
	v_fmac_f32_e32 v16, v14, v8
.LBB31_53:                              ;   Parent Loop BB31_47 Depth=1
                                        ; =>  This Inner Loop Header: Depth=2
	s_waitcnt vmcnt(0)
	v_add_f32_e32 v10, v11, v16
	global_atomic_cmpswap v10, v[6:7], v[10:11], off glc
	s_waitcnt vmcnt(0)
	v_cmp_eq_u32_e32 vcc, v10, v11
	s_or_b64 s[36:37], vcc, s[36:37]
	v_mov_b32_e32 v11, v10
	s_andn2_b64 exec, exec, s[36:37]
	s_cbranch_execnz .LBB31_53
; %bb.54:                               ;   in Loop: Header=BB31_47 Depth=1
	s_or_b64 exec, exec, s[36:37]
	global_load_dword v11, v[6:7], off offset:4
	v_mul_f32_e32 v9, v9, v14
	v_fmac_f32_e32 v9, v15, v8
	s_mov_b64 s[36:37], 0
.LBB31_55:                              ;   Parent Loop BB31_47 Depth=1
                                        ; =>  This Inner Loop Header: Depth=2
	s_waitcnt vmcnt(0)
	v_add_f32_e32 v10, v11, v9
	global_atomic_cmpswap v8, v[6:7], v[10:11], off offset:4 glc
	s_waitcnt vmcnt(0)
	v_cmp_eq_u32_e32 vcc, v8, v11
	s_or_b64 s[36:37], vcc, s[36:37]
	v_mov_b32_e32 v11, v8
	s_andn2_b64 exec, exec, s[36:37]
	s_cbranch_execnz .LBB31_55
	s_branch .LBB31_46
.LBB31_56:
	s_or_b64 exec, exec, s[10:11]
	s_mov_b64 s[2:3], 0
.LBB31_57:
	s_and_b64 vcc, exec, s[2:3]
	s_cbranch_vccz .LBB31_216
; %bb.58:
	s_load_dword s2, s[4:5], 0x6c
	s_mov_b32 s33, 0
	v_pk_mov_b32 v[4:5], s[30:31], s[30:31] op_sel:[0,1]
	s_mov_b32 s37, s33
	s_mov_b64 s[38:39], 0
	s_waitcnt lgkmcnt(0)
	s_and_b32 s36, s2, 0xffff
	v_cmp_lt_u64_e32 vcc, s[36:37], v[4:5]
	s_cbranch_vccnz .LBB31_60
; %bb.59:
	v_cvt_f32_u32_e32 v1, s30
	s_sub_i32 s2, 0, s30
	v_rcp_iflag_f32_e32 v1, v1
	v_mul_f32_e32 v1, 0x4f7ffffe, v1
	v_cvt_u32_f32_e32 v1, v1
	v_readfirstlane_b32 s3, v1
	s_mul_i32 s2, s2, s3
	s_mul_hi_u32 s2, s3, s2
	s_add_i32 s3, s3, s2
	s_mul_hi_u32 s2, s36, s3
	s_mul_i32 s6, s2, s30
	s_sub_i32 s6, s36, s6
	s_add_i32 s3, s2, 1
	s_sub_i32 s7, s6, s30
	s_cmp_ge_u32 s6, s30
	s_cselect_b32 s2, s3, s2
	s_cselect_b32 s6, s7, s6
	s_add_i32 s3, s2, 1
	s_cmp_ge_u32 s6, s30
	s_cselect_b32 s38, s3, s2
.LBB31_60:
	s_lshl_b64 s[2:3], s[24:25], 3
	s_add_u32 s14, s16, s2
	s_addc_u32 s15, s17, s3
	s_load_dwordx2 s[12:13], s[14:15], 0x0
	s_load_dwordx4 s[8:11], s[4:5], 0x8
	v_subrev_co_u32_e32 v4, vcc, s34, v0
	v_subb_co_u32_e64 v5, s[2:3], 0, 0, vcc
	s_waitcnt lgkmcnt(0)
	v_mov_b32_e32 v7, s13
	v_add_co_u32_e32 v6, vcc, s12, v4
	v_addc_co_u32_e32 v7, vcc, v7, v5, vcc
	v_add_co_u32_e32 v8, vcc, 0x300, v6
	v_addc_co_u32_e32 v9, vcc, 0, v7, vcc
	v_mov_b32_e32 v1, 0
	v_cmp_le_i64_e64 s[2:3], s[8:9], v[8:9]
	s_and_saveexec_b64 s[4:5], s[2:3]
	s_xor_b64 s[8:9], exec, s[4:5]
	s_cbranch_execnz .LBB31_63
; %bb.61:
	s_or_saveexec_b64 s[4:5], s[8:9]
	v_lshlrev_b64 v[10:11], 3, v[6:7]
	s_xor_b64 exec, exec, s[4:5]
	s_cbranch_execnz .LBB31_76
.LBB31_62:
	s_or_b64 exec, exec, s[4:5]
	v_cmp_gt_i64_e32 vcc, s[10:11], v[0:1]
	s_and_saveexec_b64 s[8:9], vcc
	s_cbranch_execnz .LBB31_77
	s_branch .LBB31_86
.LBB31_63:
	s_lshl_b64 s[4:5], s[26:27], 3
	s_add_u32 s4, s16, s4
	s_addc_u32 s5, s17, s5
	s_load_dwordx2 s[4:5], s[4:5], 0x0
	s_waitcnt lgkmcnt(0)
	s_sub_u32 s40, s4, s12
	s_subb_u32 s41, s5, s13
	v_cmp_gt_i64_e32 vcc, s[40:41], v[0:1]
	s_and_saveexec_b64 s[42:43], vcc
	s_cbranch_execz .LBB31_75
; %bb.64:
	s_not_b64 s[6:7], s[12:13]
	s_add_u32 s4, s4, s6
	s_addc_u32 s5, s5, s7
	v_mov_b32_e32 v5, s5
	v_sub_co_u32_e32 v4, vcc, s4, v0
	v_subbrev_co_u32_e32 v5, vcc, 0, v5, vcc
	s_mov_b64 s[4:5], 0x1aff
	v_cmp_lt_u64_e32 vcc, s[4:5], v[4:5]
	s_mov_b64 s[4:5], 0
                                        ; implicit-def: $vgpr12_vgpr13
                                        ; implicit-def: $vgpr25
	s_and_saveexec_b64 s[6:7], vcc
	s_xor_b64 s[44:45], exec, s[6:7]
	s_cbranch_execnz .LBB31_67
; %bb.65:
	s_andn2_saveexec_b64 s[6:7], s[44:45]
	s_cbranch_execnz .LBB31_72
.LBB31_66:
	s_or_b64 exec, exec, s[6:7]
	s_and_b64 exec, exec, s[4:5]
	s_cbranch_execnz .LBB31_73
	s_branch .LBB31_75
.LBB31_67:
	v_lshlrev_b32_e32 v25, 3, v0
	v_alignbit_b32 v10, v5, v4, 8
	s_mov_b32 s4, 0x1fffff
	s_mov_b32 s6, -1
	v_cmp_lt_u32_e32 vcc, s4, v10
	v_lshl_or_b32 v10, v10, 11, v25
	s_movk_i32 s7, 0xff
	v_cmp_lt_u32_e64 s[4:5], v10, v25
	v_or_b32_e32 v11, 4, v25
	v_or_b32_e32 v10, 4, v10
	v_cmp_lt_u64_e64 s[6:7], s[6:7], v[4:5]
	s_or_b64 s[46:47], s[4:5], vcc
	v_cmp_lt_u32_e64 s[4:5], v10, v11
	s_or_b64 s[6:7], vcc, s[6:7]
	s_or_b64 s[4:5], s[6:7], s[4:5]
	s_or_b64 s[4:5], s[46:47], s[4:5]
	s_mov_b64 s[6:7], -1
	s_xor_b64 s[46:47], s[4:5], -1
	v_pk_mov_b32 v[12:13], 0, 0
	s_and_saveexec_b64 s[4:5], s[46:47]
	s_cbranch_execz .LBB31_71
; %bb.68:
	v_lshrrev_b64 v[4:5], 8, v[4:5]
	v_add_co_u32_e32 v4, vcc, 1, v4
	v_addc_co_u32_e32 v5, vcc, 0, v5, vcc
	v_lshlrev_b64 v[20:21], 3, v[6:7]
	v_mov_b32_e32 v22, s21
	v_add_co_u32_e32 v20, vcc, s20, v20
	v_addc_co_u32_e32 v21, vcc, v21, v22, vcc
	s_movk_i32 s6, 0x804
	v_and_b32_e32 v10, -2, v4
	v_mov_b32_e32 v11, v5
	v_xor_b32_e32 v12, 0x80000000, v3
	v_add_co_u32_e32 v20, vcc, s6, v20
	v_mov_b32_e32 v13, v12
	v_mov_b32_e32 v14, v2
	;; [unrolled: 1-line block ×7, first 2 shown]
	v_addc_co_u32_e32 v21, vcc, 0, v21, vcc
	s_mov_b64 s[46:47], 0x100
	s_mov_b64 s[6:7], 0
	v_pk_mov_b32 v[22:23], v[10:11], v[10:11] op_sel:[0,1]
	s_mov_b64 s[48:49], 0
.LBB31_69:                              ; =>This Inner Loop Header: Depth=1
	global_load_dwordx2 v[26:27], v[20:21], off offset:-2052
	global_load_dwordx2 v[28:29], v[20:21], off offset:-4
	v_add_co_u32_e32 v22, vcc, -2, v22
	v_add_lshl_u32 v34, v18, s48, 3
	s_add_u32 s48, s48, 0x200
	v_addc_co_u32_e32 v23, vcc, -1, v23, vcc
	v_add_co_u32_e32 v20, vcc, 0x1000, v20
	s_addc_u32 s49, s49, 0
	v_add_lshl_u32 v35, v19, s46, 3
	v_addc_co_u32_e32 v21, vcc, 0, v21, vcc
	s_add_u32 s46, s46, 0x200
	v_cmp_eq_u64_e32 vcc, 0, v[22:23]
	s_addc_u32 s47, s47, 0
	s_or_b64 s[6:7], vcc, s[6:7]
	s_waitcnt vmcnt(1)
	v_mov_b32_e32 v30, v26
	s_waitcnt vmcnt(0)
	v_mov_b32_e32 v31, v28
	v_mov_b32_e32 v28, v27
	v_pk_add_f32 v[32:33], v[28:29], 0 neg_lo:[1,1] neg_hi:[1,1]
	v_cndmask_b32_e64 v29, v29, v33, s[0:1]
	v_cndmask_b32_e64 v28, v27, v32, s[0:1]
	v_pk_mul_f32 v[26:27], v[28:29], v[12:13]
	v_pk_mul_f32 v[28:29], v[28:29], v[14:15]
	v_pk_fma_f32 v[26:27], v[14:15], v[30:31], v[26:27]
	v_pk_fma_f32 v[28:29], v[16:17], v[30:31], v[28:29]
	v_mov_b32_e32 v30, v26
	v_mov_b32_e32 v31, v28
	;; [unrolled: 1-line block ×3, first 2 shown]
	ds_write_b64 v34, v[30:31]
	ds_write_b64 v35, v[28:29]
	s_andn2_b64 exec, exec, s[6:7]
	s_cbranch_execnz .LBB31_69
; %bb.70:
	s_or_b64 exec, exec, s[6:7]
	v_cmp_ne_u64_e32 vcc, v[4:5], v[10:11]
	v_lshlrev_b64 v[12:13], 8, v[10:11]
	s_orn2_b64 s[6:7], vcc, exec
.LBB31_71:
	s_or_b64 exec, exec, s[4:5]
	s_and_b64 s[4:5], s[6:7], exec
	s_andn2_saveexec_b64 s[6:7], s[44:45]
	s_cbranch_execz .LBB31_66
.LBB31_72:
	v_pk_mov_b32 v[12:13], 0, 0
	s_or_b64 s[4:5], s[4:5], exec
	v_mov_b32_e32 v25, v24
	s_or_b64 exec, exec, s[6:7]
	s_and_b64 exec, exec, s[4:5]
	s_cbranch_execz .LBB31_75
.LBB31_73:
	v_lshlrev_b64 v[10:11], 3, v[12:13]
	v_lshlrev_b64 v[14:15], 3, v[6:7]
	v_add_co_u32_e32 v10, vcc, v10, v14
	v_addc_co_u32_e32 v11, vcc, v11, v15, vcc
	v_mov_b32_e32 v14, s21
	v_add_co_u32_e32 v10, vcc, s20, v10
	v_addc_co_u32_e32 v11, vcc, v11, v14, vcc
	v_add_co_u32_e32 v10, vcc, 4, v10
	v_addc_co_u32_e32 v11, vcc, 0, v11, vcc
	v_add_co_u32_e32 v14, vcc, v12, v0
	v_xor_b32_e32 v4, 0x80000000, v3
	v_mov_b32_e32 v5, v2
	v_addc_co_u32_e32 v15, vcc, 0, v13, vcc
	v_lshl_add_u32 v12, v12, 3, v25
	s_mov_b64 s[4:5], 0
.LBB31_74:                              ; =>This Inner Loop Header: Depth=1
	global_load_dwordx2 v[16:17], v[10:11], off offset:-4
	v_add_co_u32_e32 v10, vcc, 0x800, v10
	v_addc_co_u32_e32 v11, vcc, 0, v11, vcc
	v_add_co_u32_e32 v14, vcc, 0x100, v14
	v_addc_co_u32_e32 v15, vcc, 0, v15, vcc
	v_cmp_le_i64_e32 vcc, s[40:41], v[14:15]
	s_or_b64 s[4:5], vcc, s[4:5]
	s_waitcnt vmcnt(0)
	v_cndmask_b32_e64 v18, v17, -v17, s[0:1]
	v_pk_mul_f32 v[18:19], v[18:19], v[4:5] op_sel_hi:[0,1]
	v_pk_fma_f32 v[16:17], v[2:3], v[16:17], v[18:19] op_sel_hi:[1,0,1]
	ds_write_b64 v12, v[16:17]
	v_add_u32_e32 v12, 0x800, v12
	s_andn2_b64 exec, exec, s[4:5]
	s_cbranch_execnz .LBB31_74
.LBB31_75:
	s_or_b64 exec, exec, s[42:43]
                                        ; implicit-def: $vgpr3
	s_or_saveexec_b64 s[4:5], s[8:9]
	v_lshlrev_b64 v[10:11], 3, v[6:7]
	s_xor_b64 exec, exec, s[4:5]
	s_cbranch_execz .LBB31_62
.LBB31_76:
	v_mov_b32_e32 v5, s21
	v_add_co_u32_e32 v4, vcc, s20, v10
	v_addc_co_u32_e32 v5, vcc, v5, v11, vcc
	s_movk_i32 s6, 0x1000
	global_load_dwordx2 v[12:13], v[4:5], off
	global_load_dwordx2 v[14:15], v[4:5], off offset:2048
	v_add_co_u32_e32 v4, vcc, s6, v4
	v_addc_co_u32_e32 v5, vcc, 0, v5, vcc
	global_load_dwordx2 v[16:17], v[4:5], off
	global_load_dwordx2 v[18:19], v[4:5], off offset:2048
	v_xor_b32_e32 v4, 0x80000000, v3
	v_mov_b32_e32 v5, v2
	s_waitcnt vmcnt(3)
	v_cndmask_b32_e64 v20, v13, -v13, s[0:1]
	s_waitcnt vmcnt(2)
	v_cndmask_b32_e64 v22, v15, -v15, s[0:1]
	v_pk_mul_f32 v[20:21], v[20:21], v[4:5] op_sel_hi:[0,1]
	v_pk_mul_f32 v[22:23], v[22:23], v[4:5] op_sel_hi:[0,1]
	v_pk_fma_f32 v[12:13], v[2:3], v[12:13], v[20:21] op_sel_hi:[1,0,1]
	s_waitcnt vmcnt(1)
	v_cndmask_b32_e64 v26, v17, -v17, s[0:1]
	s_waitcnt vmcnt(0)
	v_cndmask_b32_e64 v28, v19, -v19, s[0:1]
	v_pk_fma_f32 v[14:15], v[2:3], v[14:15], v[22:23] op_sel_hi:[1,0,1]
	v_pk_mul_f32 v[20:21], v[26:27], v[4:5] op_sel_hi:[0,1]
	v_pk_mul_f32 v[4:5], v[28:29], v[4:5] op_sel_hi:[0,1]
	ds_write2st64_b64 v24, v[12:13], v[14:15] offset1:4
	v_pk_fma_f32 v[12:13], v[2:3], v[16:17], v[20:21] op_sel_hi:[1,0,1]
	v_pk_fma_f32 v[2:3], v[2:3], v[18:19], v[4:5] op_sel_hi:[1,0,1]
	ds_write2st64_b64 v24, v[12:13], v[2:3] offset0:8 offset1:12
	s_or_b64 exec, exec, s[4:5]
	v_cmp_gt_i64_e32 vcc, s[10:11], v[0:1]
	s_and_saveexec_b64 s[8:9], vcc
	s_cbranch_execz .LBB31_86
.LBB31_77:
	v_not_b32_e32 v3, v0
	v_not_b32_e32 v2, 0
	v_mov_b32_e32 v5, s11
	v_add_co_u32_e32 v4, vcc, s10, v3
	v_addc_co_u32_e32 v5, vcc, v2, v5, vcc
	s_mov_b64 s[0:1], 0x3100
	s_mov_b64 s[4:5], 0x30ff
	v_cmp_gt_u64_e64 s[0:1], s[0:1], v[4:5]
	v_cmp_lt_u64_e32 vcc, s[4:5], v[4:5]
	v_pk_mov_b32 v[2:3], v[0:1], v[0:1] op_sel:[0,1]
	s_and_saveexec_b64 s[20:21], vcc
	s_cbranch_execz .LBB31_83
; %bb.78:
	v_mov_b32_e32 v18, 0x2000
	v_lshl_add_u32 v2, v0, 3, v18
	v_alignbit_b32 v3, v5, v4, 8
	s_mov_b32 s4, 0x1fffff
	s_mov_b32 s6, -1
	v_cmp_lt_u32_e32 vcc, s4, v3
	v_lshl_add_u32 v3, v3, 11, v2
	s_movk_i32 s7, 0xff
	v_cmp_lt_u32_e64 s[4:5], v3, v2
	v_add_u32_e32 v2, 4, v2
	v_add_u32_e32 v3, 4, v3
	v_cmp_lt_u64_e64 s[6:7], s[6:7], v[4:5]
	s_or_b64 s[40:41], s[4:5], vcc
	v_cmp_lt_u32_e64 s[4:5], v3, v2
	s_or_b64 s[6:7], vcc, s[6:7]
	s_or_b64 s[4:5], s[6:7], s[4:5]
	s_or_b64 s[6:7], s[40:41], s[4:5]
	s_mov_b64 s[4:5], -1
	s_xor_b64 s[40:41], s[6:7], -1
	v_pk_mov_b32 v[2:3], v[0:1], v[0:1] op_sel:[0,1]
	s_and_saveexec_b64 s[6:7], s[40:41]
	s_cbranch_execz .LBB31_82
; %bb.79:
	v_lshrrev_b64 v[2:3], 8, v[4:5]
	v_add_co_u32_e32 v12, vcc, 1, v2
	v_addc_co_u32_e32 v13, vcc, 0, v3, vcc
	v_or_b32_e32 v2, 0x100, v0
	v_mov_b32_e32 v3, v1
	v_and_b32_e32 v14, -4, v12
	v_mov_b32_e32 v15, v13
	v_pk_mov_b32 v[4:5], v[2:3], v[2:3] op_sel:[0,1]
	s_mov_b64 s[40:41], 0
	v_mov_b32_e32 v19, 0
	s_movk_i32 s35, 0x400
	v_pk_mov_b32 v[16:17], v[14:15], v[14:15] op_sel:[0,1]
	v_pk_mov_b32 v[2:3], v[0:1], v[0:1] op_sel:[0,1]
.LBB31_80:                              ; =>This Inner Loop Header: Depth=1
	v_lshl_add_u32 v21, v4, 3, v18
	v_add_co_u32_e32 v4, vcc, s35, v4
	v_add_co_u32_e64 v16, s[4:5], -4, v16
	v_addc_co_u32_e32 v5, vcc, 0, v5, vcc
	v_addc_co_u32_e64 v17, s[4:5], -1, v17, s[4:5]
	v_lshl_add_u32 v20, v2, 3, v18
	v_add_co_u32_e32 v2, vcc, 0x400, v2
	v_cmp_eq_u64_e64 s[4:5], 0, v[16:17]
	s_or_b64 s[40:41], s[4:5], s[40:41]
	v_addc_co_u32_e32 v3, vcc, 0, v3, vcc
	v_add_u32_e32 v22, 0x1000, v20
	v_add_u32_e32 v23, 0x1000, v21
	ds_write2_b32 v20, v19, v19 offset1:1
	ds_write2_b32 v21, v19, v19 offset1:1
	ds_write2_b32 v22, v19, v19 offset1:1
	ds_write2_b32 v23, v19, v19 offset1:1
	s_andn2_b64 exec, exec, s[40:41]
	s_cbranch_execnz .LBB31_80
; %bb.81:
	s_or_b64 exec, exec, s[40:41]
	v_lshlrev_b64 v[2:3], 8, v[14:15]
	v_cmp_ne_u64_e32 vcc, v[12:13], v[14:15]
	v_or_b32_e32 v3, 0, v3
	v_or_b32_e32 v2, v2, v0
	s_orn2_b64 s[4:5], vcc, exec
.LBB31_82:
	s_or_b64 exec, exec, s[6:7]
	s_andn2_b64 s[0:1], s[0:1], exec
	s_and_b64 s[4:5], s[4:5], exec
	s_or_b64 s[0:1], s[0:1], s[4:5]
.LBB31_83:
	s_or_b64 exec, exec, s[20:21]
	s_and_b64 exec, exec, s[0:1]
	s_cbranch_execz .LBB31_86
; %bb.84:
	v_mov_b32_e32 v4, 0x2000
	v_lshl_add_u32 v4, v2, 3, v4
	s_mov_b64 s[0:1], 0
	v_mov_b32_e32 v5, 0
.LBB31_85:                              ; =>This Inner Loop Header: Depth=1
	v_add_co_u32_e32 v2, vcc, 0x100, v2
	v_addc_co_u32_e32 v3, vcc, 0, v3, vcc
	v_cmp_le_i64_e32 vcc, s[10:11], v[2:3]
	ds_write2_b32 v4, v5, v5 offset1:1
	s_or_b64 s[0:1], vcc, s[0:1]
	v_add_u32_e32 v4, 0x800, v4
	s_andn2_b64 exec, exec, s[0:1]
	s_cbranch_execnz .LBB31_85
.LBB31_86:
	s_or_b64 exec, exec, s[8:9]
	s_sub_u32 s4, s26, s10
	v_pk_mov_b32 v[2:3], s[10:11], s[10:11] op_sel:[0,1]
	s_subb_u32 s5, s27, s11
	v_cmp_ge_i64_e32 vcc, s[26:27], v[2:3]
	s_and_b64 s[0:1], vcc, exec
	s_cselect_b32 s5, s5, 0
	s_cselect_b32 s4, s4, 0
	s_waitcnt lgkmcnt(0)
	s_barrier
	s_and_saveexec_b64 s[0:1], s[2:3]
	s_xor_b64 s[6:7], exec, s[0:1]
	s_cbranch_execz .LBB31_107
; %bb.87:
	s_lshl_b64 s[0:1], s[26:27], 3
	s_add_u32 s0, s16, s0
	s_addc_u32 s1, s17, s1
	s_load_dwordx2 s[0:1], s[0:1], 0x0
	s_waitcnt lgkmcnt(0)
	s_sub_u32 s8, s0, s12
	s_subb_u32 s9, s1, s13
	v_cmp_gt_i64_e32 vcc, s[8:9], v[0:1]
	s_and_saveexec_b64 s[20:21], vcc
	s_cbranch_execz .LBB31_106
; %bb.88:
	s_add_u32 s40, s26, -1
	s_addc_u32 s41, s27, -1
	s_add_u32 s2, s26, -2
	s_addc_u32 s3, s27, -1
	v_pk_mov_b32 v[2:3], s[24:25], s[24:25] op_sel:[0,1]
	s_cmp_lg_u64 s[2:3], s[24:25]
	v_cmp_gt_i64_e32 vcc, s[40:41], v[2:3]
	s_cselect_b64 s[2:3], -1, 0
	s_and_b64 s[2:3], vcc, s[2:3]
	s_sub_u32 s42, s0, s34
	v_cndmask_b32_e64 v2, 0, 1, s[2:3]
	s_subb_u32 s43, s1, 0
	s_mov_b64 s[44:45], 0
	v_cmp_ne_u32_e64 s[0:1], 1, v2
	v_mov_b32_e32 v14, s17
	v_mov_b32_e32 v15, s33
	;; [unrolled: 1-line block ×4, first 2 shown]
	s_mov_b64 s[46:47], 0
	s_branch .LBB31_91
.LBB31_89:                              ;   in Loop: Header=BB31_91 Depth=1
	s_or_b64 exec, exec, s[2:3]
.LBB31_90:                              ;   in Loop: Header=BB31_91 Depth=1
	s_or_b64 exec, exec, s[48:49]
	v_lshlrev_b64 v[2:3], 3, v[2:3]
	v_mov_b32_e32 v8, s23
	v_add_co_u32_e32 v2, vcc, s22, v2
	v_addc_co_u32_e32 v3, vcc, v8, v3, vcc
	global_load_dwordx2 v[2:3], v[2:3], off
	s_add_u32 s46, s46, 0x100
	s_addc_u32 s47, s47, 0
	v_mov_b32_e32 v9, s47
	v_add_co_u32_e32 v8, vcc, s46, v0
	v_addc_co_u32_e32 v9, vcc, 0, v9, vcc
	v_cmp_le_i64_e32 vcc, s[8:9], v[8:9]
	v_lshlrev_b32_e32 v10, 3, v18
	s_or_b64 s[44:45], vcc, s[44:45]
	s_waitcnt vmcnt(0) lgkmcnt(0)
	v_pk_mul_f32 v[8:9], v[2:3], v[4:5] op_sel:[1,1] op_sel_hi:[1,0] neg_lo:[0,1]
	v_pk_fma_f32 v[2:3], v[4:5], v[2:3], v[8:9] op_sel_hi:[1,0,1]
	ds_write_b64 v10, v[2:3]
	s_andn2_b64 exec, exec, s[44:45]
	s_cbranch_execz .LBB31_106
.LBB31_91:                              ; =>This Loop Header: Depth=1
                                        ;     Child Loop BB31_93 Depth 2
                                        ;     Child Loop BB31_100 Depth 2
	;; [unrolled: 1-line block ×3, first 2 shown]
	v_mov_b32_e32 v2, s47
	v_add_co_u32_e32 v4, vcc, s46, v6
	v_addc_co_u32_e32 v5, vcc, v2, v7, vcc
	s_and_b64 vcc, exec, s[0:1]
	v_pk_mov_b32 v[8:9], s[24:25], s[24:25] op_sel:[0,1]
	v_pk_mov_b32 v[10:11], s[40:41], s[40:41] op_sel:[0,1]
	s_cbranch_vccnz .LBB31_95
; %bb.92:                               ;   in Loop: Header=BB31_91 Depth=1
	s_mov_b64 s[48:49], 0
	v_pk_mov_b32 v[8:9], s[24:25], s[24:25] op_sel:[0,1]
	v_pk_mov_b32 v[10:11], s[40:41], s[40:41] op_sel:[0,1]
.LBB31_93:                              ;   Parent Loop BB31_91 Depth=1
                                        ; =>  This Inner Loop Header: Depth=2
	v_add_co_u32_e32 v2, vcc, v10, v8
	v_addc_co_u32_e32 v3, vcc, v11, v9, vcc
	v_lshrrev_b32_e32 v12, 31, v3
	v_add_co_u32_e32 v2, vcc, v2, v12
	v_addc_co_u32_e32 v3, vcc, 0, v3, vcc
	v_ashrrev_i64 v[2:3], 1, v[2:3]
	v_lshlrev_b64 v[12:13], 3, v[2:3]
	v_mov_b32_e32 v18, s17
	v_add_co_u32_e32 v12, vcc, s16, v12
	v_addc_co_u32_e32 v13, vcc, v18, v13, vcc
	global_load_dwordx2 v[12:13], v[12:13], off
	v_mov_b32_e32 v18, s33
	s_waitcnt vmcnt(0)
	v_subrev_co_u32_e32 v12, vcc, s34, v12
	v_subb_co_u32_e32 v13, vcc, v13, v18, vcc
	v_cmp_gt_i64_e32 vcc, v[12:13], v[4:5]
	v_cndmask_b32_e32 v10, v10, v2, vcc
	v_cndmask_b32_e32 v11, v11, v3, vcc
	v_cndmask_b32_e32 v8, v2, v8, vcc
	v_add_co_u32_e64 v2, s[2:3], -1, v10
	v_cndmask_b32_e32 v9, v3, v9, vcc
	v_addc_co_u32_e64 v3, s[2:3], -1, v11, s[2:3]
	v_cmp_ge_i64_e32 vcc, v[8:9], v[10:11]
	v_cmp_eq_u64_e64 s[2:3], v[8:9], v[2:3]
	s_or_b64 s[2:3], vcc, s[2:3]
	s_and_b64 s[2:3], exec, s[2:3]
	s_or_b64 s[48:49], s[2:3], s[48:49]
	s_andn2_b64 exec, exec, s[48:49]
	s_cbranch_execnz .LBB31_93
; %bb.94:                               ;   in Loop: Header=BB31_91 Depth=1
	s_or_b64 exec, exec, s[48:49]
.LBB31_95:                              ;   in Loop: Header=BB31_91 Depth=1
	v_lshlrev_b64 v[2:3], 3, v[10:11]
	v_add_co_u32_e32 v2, vcc, s16, v2
	v_addc_co_u32_e32 v3, vcc, v14, v3, vcc
	v_lshlrev_b64 v[12:13], 3, v[4:5]
	global_load_dwordx2 v[2:3], v[2:3], off
	v_add_co_u32_e32 v12, vcc, s18, v12
	v_addc_co_u32_e32 v13, vcc, v16, v13, vcc
	global_load_dwordx2 v[12:13], v[12:13], off
	v_add_co_u32_e32 v18, vcc, s46, v0
	v_cmp_le_i64_e32 vcc, s[42:43], v[4:5]
	s_waitcnt vmcnt(1)
	v_subrev_co_u32_e64 v20, s[2:3], s34, v2
	v_subb_co_u32_e64 v21, s[2:3], v3, v15, s[2:3]
	s_waitcnt vmcnt(0)
	v_subrev_co_u32_e64 v2, s[2:3], s34, v12
	v_subb_co_u32_e64 v3, s[2:3], v13, v15, s[2:3]
	v_cmp_gt_i64_e64 s[2:3], v[20:21], v[4:5]
	v_cndmask_b32_e64 v9, v11, v9, s[2:3]
	v_cndmask_b32_e64 v8, v10, v8, s[2:3]
	v_cmp_eq_u64_e64 s[2:3], v[2:3], v[8:9]
	s_or_b64 s[2:3], s[2:3], vcc
	v_lshlrev_b32_e32 v12, 3, v18
                                        ; implicit-def: $vgpr4_vgpr5
	s_and_saveexec_b64 s[48:49], s[2:3]
	s_xor_b64 s[2:3], exec, s[48:49]
	s_cbranch_execz .LBB31_97
; %bb.96:                               ;   in Loop: Header=BB31_91 Depth=1
	ds_read_b64 v[4:5], v12
                                        ; implicit-def: $vgpr12
                                        ; implicit-def: $vgpr8_vgpr9
.LBB31_97:                              ;   in Loop: Header=BB31_91 Depth=1
	s_andn2_saveexec_b64 s[48:49], s[2:3]
	s_cbranch_execz .LBB31_90
; %bb.98:                               ;   in Loop: Header=BB31_91 Depth=1
	v_cmp_gt_i64_e32 vcc, s[4:5], v[2:3]
	v_cmp_le_i64_e64 s[2:3], s[26:27], v[2:3]
	s_or_b64 s[2:3], vcc, s[2:3]
	v_lshlrev_b64 v[8:9], 3, v[8:9]
                                        ; implicit-def: $vgpr4_vgpr5
	s_and_saveexec_b64 s[50:51], s[2:3]
	s_xor_b64 s[2:3], exec, s[50:51]
	s_cbranch_execz .LBB31_104
; %bb.99:                               ;   in Loop: Header=BB31_91 Depth=1
	v_mov_b32_e32 v10, s23
	v_add_co_u32_e32 v8, vcc, s22, v8
	s_waitcnt lgkmcnt(0)
	v_lshlrev_b64 v[4:5], 3, v[2:3]
	v_addc_co_u32_e32 v9, vcc, v10, v9, vcc
	v_mov_b32_e32 v13, s29
	global_load_dwordx2 v[10:11], v[8:9], off
	v_add_co_u32_e32 v8, vcc, s28, v4
	v_addc_co_u32_e32 v9, vcc, v13, v5, vcc
	global_load_dword v13, v[8:9], off
	ds_read_b64 v[4:5], v12
	s_mov_b64 s[50:51], 0
	s_waitcnt vmcnt(1) lgkmcnt(0)
	v_mul_f32_e64 v19, v11, -v5
	v_fmac_f32_e32 v19, v4, v10
.LBB31_100:                             ;   Parent Loop BB31_91 Depth=1
                                        ; =>  This Inner Loop Header: Depth=2
	s_waitcnt vmcnt(0)
	v_add_f32_e32 v12, v13, v19
	global_atomic_cmpswap v12, v[8:9], v[12:13], off glc
	s_waitcnt vmcnt(0)
	v_cmp_eq_u32_e32 vcc, v12, v13
	s_or_b64 s[50:51], vcc, s[50:51]
	v_mov_b32_e32 v13, v12
	s_andn2_b64 exec, exec, s[50:51]
	s_cbranch_execnz .LBB31_100
; %bb.101:                              ;   in Loop: Header=BB31_91 Depth=1
	s_or_b64 exec, exec, s[50:51]
	global_load_dword v13, v[8:9], off offset:4
	v_mul_f32_e32 v11, v11, v4
	v_fmac_f32_e32 v11, v5, v10
	s_mov_b64 s[50:51], 0
.LBB31_102:                             ;   Parent Loop BB31_91 Depth=1
                                        ; =>  This Inner Loop Header: Depth=2
	s_waitcnt vmcnt(0)
	v_add_f32_e32 v12, v13, v11
	global_atomic_cmpswap v10, v[8:9], v[12:13], off offset:4 glc
	s_waitcnt vmcnt(0)
	v_cmp_eq_u32_e32 vcc, v10, v13
	s_or_b64 s[50:51], vcc, s[50:51]
	v_mov_b32_e32 v13, v10
	s_andn2_b64 exec, exec, s[50:51]
	s_cbranch_execnz .LBB31_102
; %bb.103:                              ;   in Loop: Header=BB31_91 Depth=1
	s_or_b64 exec, exec, s[50:51]
                                        ; implicit-def: $vgpr8_vgpr9
                                        ; implicit-def: $vgpr12
.LBB31_104:                             ;   in Loop: Header=BB31_91 Depth=1
	s_andn2_saveexec_b64 s[2:3], s[2:3]
	s_cbranch_execz .LBB31_89
; %bb.105:                              ;   in Loop: Header=BB31_91 Depth=1
	s_waitcnt lgkmcnt(0)
	v_mov_b32_e32 v5, s23
	v_add_co_u32_e32 v4, vcc, s22, v8
	v_addc_co_u32_e32 v5, vcc, v5, v9, vcc
	global_load_dwordx2 v[8:9], v[4:5], off
	ds_read_b64 v[4:5], v12
	v_subrev_u32_e32 v10, s4, v2
	v_lshl_add_u32 v10, v10, 3, v17
	s_waitcnt vmcnt(0) lgkmcnt(0)
	v_mul_f32_e64 v11, v9, -v5
	v_mul_f32_e32 v9, v9, v4
	v_fmac_f32_e32 v11, v4, v8
	v_fmac_f32_e32 v9, v5, v8
	ds_add_f32 v10, v11
	ds_add_f32 v10, v9 offset:4
	s_branch .LBB31_89
.LBB31_106:
	s_or_b64 exec, exec, s[20:21]
                                        ; implicit-def: $vgpr8_vgpr9
                                        ; implicit-def: $vgpr6
                                        ; implicit-def: $vgpr10_vgpr11
.LBB31_107:
	s_andn2_saveexec_b64 s[6:7], s[6:7]
	s_cbranch_execz .LBB31_165
; %bb.108:
	s_add_u32 s8, s26, -1
	s_addc_u32 s9, s27, -1
	s_add_u32 s0, s26, -2
	s_addc_u32 s1, s27, -1
	v_pk_mov_b32 v[4:5], s[24:25], s[24:25] op_sel:[0,1]
	s_cmp_eq_u64 s[0:1], s[24:25]
	v_cmp_le_i64_e32 vcc, s[8:9], v[4:5]
	s_cselect_b64 s[0:1], -1, 0
	s_or_b64 s[2:3], vcc, s[0:1]
	s_and_b64 vcc, exec, s[2:3]
	v_pk_mov_b32 v[12:13], s[8:9], s[8:9] op_sel:[0,1]
	s_cbranch_vccnz .LBB31_112
; %bb.109:
	s_mov_b64 s[20:21], 0
	v_pk_mov_b32 v[4:5], s[24:25], s[24:25] op_sel:[0,1]
	v_pk_mov_b32 v[12:13], s[8:9], s[8:9] op_sel:[0,1]
	v_mov_b32_e32 v2, s17
	v_mov_b32_e32 v3, s33
.LBB31_110:                             ; =>This Inner Loop Header: Depth=1
	v_add_co_u32_e32 v14, vcc, v12, v4
	v_addc_co_u32_e32 v15, vcc, v13, v5, vcc
	v_lshrrev_b32_e32 v16, 31, v15
	v_add_co_u32_e32 v14, vcc, v14, v16
	v_addc_co_u32_e32 v15, vcc, 0, v15, vcc
	v_ashrrev_i64 v[14:15], 1, v[14:15]
	v_lshlrev_b64 v[16:17], 3, v[14:15]
	v_add_co_u32_e32 v16, vcc, s16, v16
	v_addc_co_u32_e32 v17, vcc, v2, v17, vcc
	global_load_dwordx2 v[16:17], v[16:17], off
	s_waitcnt vmcnt(0)
	v_subrev_co_u32_e32 v16, vcc, s34, v16
	v_subb_co_u32_e32 v17, vcc, v17, v3, vcc
	v_cmp_gt_i64_e32 vcc, v[16:17], v[6:7]
	v_cndmask_b32_e32 v12, v12, v14, vcc
	v_cndmask_b32_e32 v13, v13, v15, vcc
	;; [unrolled: 1-line block ×3, first 2 shown]
	v_add_co_u32_e64 v14, s[0:1], -1, v12
	v_cndmask_b32_e32 v5, v15, v5, vcc
	v_addc_co_u32_e64 v15, s[0:1], -1, v13, s[0:1]
	v_cmp_ge_i64_e32 vcc, v[4:5], v[12:13]
	v_cmp_eq_u64_e64 s[0:1], v[4:5], v[14:15]
	s_or_b64 s[0:1], vcc, s[0:1]
	s_and_b64 s[0:1], exec, s[0:1]
	s_or_b64 s[20:21], s[0:1], s[20:21]
	s_andn2_b64 exec, exec, s[20:21]
	s_cbranch_execnz .LBB31_110
; %bb.111:
	s_or_b64 exec, exec, s[20:21]
.LBB31_112:
	v_lshlrev_b64 v[2:3], 3, v[12:13]
	v_mov_b32_e32 v14, s17
	v_add_co_u32_e32 v2, vcc, s16, v2
	v_addc_co_u32_e32 v3, vcc, v14, v3, vcc
	global_load_dwordx2 v[14:15], v[2:3], off
	v_mov_b32_e32 v3, s19
	v_add_co_u32_e32 v2, vcc, s18, v10
	v_addc_co_u32_e32 v3, vcc, v3, v11, vcc
	global_load_dwordx2 v[16:17], v[2:3], off
	v_mov_b32_e32 v18, s33
	s_xor_b64 s[2:3], s[2:3], -1
	s_lshl_b64 s[0:1], s[26:27], 3
	s_add_u32 s18, s16, s0
	s_addc_u32 s19, s17, s1
	s_waitcnt vmcnt(1)
	v_subrev_co_u32_e32 v10, vcc, s34, v14
	v_subb_co_u32_e32 v11, vcc, v15, v18, vcc
	v_cmp_gt_i64_e32 vcc, v[10:11], v[6:7]
	v_cndmask_b32_e32 v11, v13, v5, vcc
	v_cndmask_b32_e32 v10, v12, v4, vcc
	s_waitcnt vmcnt(0)
	v_subrev_co_u32_e32 v4, vcc, s34, v16
	v_subb_co_u32_e32 v5, vcc, v17, v18, vcc
	v_cmp_ne_u64_e32 vcc, v[4:5], v[10:11]
	s_and_saveexec_b64 s[20:21], vcc
	s_cbranch_execz .LBB31_122
; %bb.113:
	s_load_dwordx2 s[0:1], s[18:19], 0x0
	s_waitcnt lgkmcnt(0)
	s_sub_u32 s0, s0, s34
	s_subb_u32 s1, s1, 0
	v_cmp_gt_i64_e32 vcc, s[0:1], v[6:7]
	s_and_b64 exec, exec, vcc
	s_cbranch_execz .LBB31_122
; %bb.114:
	v_cmp_gt_i64_e32 vcc, s[4:5], v[4:5]
	v_cmp_le_i64_e64 s[0:1], s[26:27], v[4:5]
	s_or_b64 s[0:1], vcc, s[0:1]
	v_lshlrev_b64 v[10:11], 3, v[10:11]
	s_and_saveexec_b64 s[40:41], s[0:1]
	s_xor_b64 s[0:1], exec, s[40:41]
	s_cbranch_execz .LBB31_120
; %bb.115:
	v_mov_b32_e32 v12, s23
	v_add_co_u32_e32 v10, vcc, s22, v10
	v_lshlrev_b64 v[14:15], 3, v[4:5]
	v_addc_co_u32_e32 v11, vcc, v12, v11, vcc
	v_mov_b32_e32 v16, s29
	global_load_dwordx2 v[12:13], v[10:11], off
	v_add_co_u32_e32 v10, vcc, s28, v14
	v_addc_co_u32_e32 v11, vcc, v16, v15, vcc
	global_load_dword v17, v[10:11], off
	ds_read_b64 v[14:15], v24
	s_mov_b64 s[40:41], 0
	s_waitcnt vmcnt(1) lgkmcnt(0)
	v_mul_f32_e64 v18, v13, -v15
	v_fmac_f32_e32 v18, v14, v12
.LBB31_116:                             ; =>This Inner Loop Header: Depth=1
	s_waitcnt vmcnt(0)
	v_add_f32_e32 v16, v17, v18
	global_atomic_cmpswap v16, v[10:11], v[16:17], off glc
	s_waitcnt vmcnt(0)
	v_cmp_eq_u32_e32 vcc, v16, v17
	s_or_b64 s[40:41], vcc, s[40:41]
	v_mov_b32_e32 v17, v16
	s_andn2_b64 exec, exec, s[40:41]
	s_cbranch_execnz .LBB31_116
; %bb.117:
	s_or_b64 exec, exec, s[40:41]
	global_load_dword v17, v[10:11], off offset:4
	v_mul_f32_e32 v13, v13, v14
	v_fmac_f32_e32 v13, v15, v12
	s_mov_b64 s[40:41], 0
.LBB31_118:                             ; =>This Inner Loop Header: Depth=1
	s_waitcnt vmcnt(0)
	v_add_f32_e32 v16, v17, v13
	global_atomic_cmpswap v12, v[10:11], v[16:17], off offset:4 glc
	s_waitcnt vmcnt(0)
	v_cmp_eq_u32_e32 vcc, v12, v17
	s_or_b64 s[40:41], vcc, s[40:41]
	v_mov_b32_e32 v17, v12
	s_andn2_b64 exec, exec, s[40:41]
	s_cbranch_execnz .LBB31_118
; %bb.119:
	s_or_b64 exec, exec, s[40:41]
                                        ; implicit-def: $vgpr10_vgpr11
.LBB31_120:
	s_andn2_saveexec_b64 s[0:1], s[0:1]
	s_cbranch_execz .LBB31_122
; %bb.121:
	v_mov_b32_e32 v12, s23
	v_add_co_u32_e32 v10, vcc, s22, v10
	v_addc_co_u32_e32 v11, vcc, v12, v11, vcc
	global_load_dwordx2 v[10:11], v[10:11], off
	ds_read_b64 v[12:13], v24
	v_subrev_u32_e32 v14, s4, v4
	v_mov_b32_e32 v15, 0x2000
	v_lshl_add_u32 v14, v14, 3, v15
	s_waitcnt vmcnt(0) lgkmcnt(0)
	v_mul_f32_e64 v15, v11, -v13
	v_mul_f32_e32 v11, v11, v12
	v_fmac_f32_e32 v15, v12, v10
	v_fmac_f32_e32 v11, v13, v10
	ds_add_f32 v14, v15
	ds_add_f32 v14, v11 offset:4
.LBB31_122:
	s_or_b64 exec, exec, s[20:21]
	v_lshlrev_b64 v[4:5], 3, v[4:5]
	v_mov_b32_e32 v10, s23
	v_add_co_u32_e32 v4, vcc, s22, v4
	v_addc_co_u32_e32 v5, vcc, v10, v5, vcc
	global_load_dwordx2 v[12:13], v[4:5], off
	ds_read_b64 v[14:15], v24
	v_cndmask_b32_e64 v16, 0, 1, s[2:3]
	v_add_co_u32_e32 v10, vcc, 0x100, v6
	v_cmp_ne_u32_e64 s[0:1], 1, v16
	v_addc_co_u32_e32 v11, vcc, 0, v7, vcc
	v_pk_mov_b32 v[4:5], s[24:25], s[24:25] op_sel:[0,1]
	s_andn2_b64 vcc, exec, s[2:3]
	s_waitcnt vmcnt(0) lgkmcnt(0)
	v_pk_mul_f32 v[16:17], v[12:13], v[14:15] op_sel:[1,1] op_sel_hi:[1,0] neg_lo:[0,1]
	v_pk_fma_f32 v[12:13], v[14:15], v[12:13], v[16:17] op_sel_hi:[1,0,1]
	ds_write_b64 v24, v[12:13]
	v_pk_mov_b32 v[12:13], s[8:9], s[8:9] op_sel:[0,1]
	s_cbranch_vccnz .LBB31_126
; %bb.123:
	s_mov_b64 s[20:21], 0
	v_pk_mov_b32 v[4:5], s[24:25], s[24:25] op_sel:[0,1]
	v_pk_mov_b32 v[12:13], s[8:9], s[8:9] op_sel:[0,1]
	v_mov_b32_e32 v14, s17
	v_mov_b32_e32 v15, s33
.LBB31_124:                             ; =>This Inner Loop Header: Depth=1
	v_add_co_u32_e32 v16, vcc, v12, v4
	v_addc_co_u32_e32 v17, vcc, v13, v5, vcc
	v_lshrrev_b32_e32 v18, 31, v17
	v_add_co_u32_e32 v16, vcc, v16, v18
	v_addc_co_u32_e32 v17, vcc, 0, v17, vcc
	v_ashrrev_i64 v[16:17], 1, v[16:17]
	v_lshlrev_b64 v[18:19], 3, v[16:17]
	v_add_co_u32_e32 v18, vcc, s16, v18
	v_addc_co_u32_e32 v19, vcc, v14, v19, vcc
	global_load_dwordx2 v[18:19], v[18:19], off
	s_waitcnt vmcnt(0)
	v_subrev_co_u32_e32 v18, vcc, s34, v18
	v_subb_co_u32_e32 v19, vcc, v19, v15, vcc
	v_cmp_gt_i64_e32 vcc, v[18:19], v[10:11]
	v_cndmask_b32_e32 v12, v12, v16, vcc
	v_cndmask_b32_e32 v13, v13, v17, vcc
	;; [unrolled: 1-line block ×3, first 2 shown]
	v_add_co_u32_e64 v16, s[2:3], -1, v12
	v_cndmask_b32_e32 v5, v17, v5, vcc
	v_addc_co_u32_e64 v17, s[2:3], -1, v13, s[2:3]
	v_cmp_ge_i64_e32 vcc, v[4:5], v[12:13]
	v_cmp_eq_u64_e64 s[2:3], v[4:5], v[16:17]
	s_or_b64 s[2:3], vcc, s[2:3]
	s_and_b64 s[2:3], exec, s[2:3]
	s_or_b64 s[20:21], s[2:3], s[20:21]
	s_andn2_b64 exec, exec, s[20:21]
	s_cbranch_execnz .LBB31_124
; %bb.125:
	s_or_b64 exec, exec, s[20:21]
.LBB31_126:
	v_lshlrev_b64 v[14:15], 3, v[12:13]
	v_mov_b32_e32 v16, s17
	v_add_co_u32_e32 v14, vcc, s16, v14
	v_addc_co_u32_e32 v15, vcc, v16, v15, vcc
	global_load_dwordx2 v[16:17], v[14:15], off
	global_load_dwordx2 v[18:19], v[2:3], off offset:2048
	v_mov_b32_e32 v20, s33
	s_waitcnt vmcnt(1)
	v_subrev_co_u32_e32 v14, vcc, s34, v16
	v_subb_co_u32_e32 v15, vcc, v17, v20, vcc
	v_cmp_gt_i64_e32 vcc, v[14:15], v[10:11]
	v_cndmask_b32_e32 v13, v13, v5, vcc
	v_cndmask_b32_e32 v12, v12, v4, vcc
	s_waitcnt vmcnt(0)
	v_subrev_co_u32_e32 v4, vcc, s34, v18
	v_subb_co_u32_e32 v5, vcc, v19, v20, vcc
	v_cmp_ne_u64_e32 vcc, v[4:5], v[12:13]
	s_and_saveexec_b64 s[20:21], vcc
	s_cbranch_execz .LBB31_136
; %bb.127:
	s_load_dwordx2 s[2:3], s[18:19], 0x0
	s_waitcnt lgkmcnt(0)
	s_sub_u32 s2, s2, s34
	s_subb_u32 s3, s3, 0
	v_cmp_gt_i64_e32 vcc, s[2:3], v[10:11]
	s_and_b64 exec, exec, vcc
	s_cbranch_execz .LBB31_136
; %bb.128:
	v_cmp_gt_i64_e32 vcc, s[4:5], v[4:5]
	v_cmp_le_i64_e64 s[2:3], s[26:27], v[4:5]
	s_or_b64 s[2:3], vcc, s[2:3]
	v_lshlrev_b64 v[10:11], 3, v[12:13]
	s_and_saveexec_b64 s[40:41], s[2:3]
	s_xor_b64 s[2:3], exec, s[40:41]
	s_cbranch_execz .LBB31_134
; %bb.129:
	v_mov_b32_e32 v12, s23
	v_add_co_u32_e32 v10, vcc, s22, v10
	v_lshlrev_b64 v[14:15], 3, v[4:5]
	v_addc_co_u32_e32 v11, vcc, v12, v11, vcc
	v_mov_b32_e32 v16, s29
	global_load_dwordx2 v[12:13], v[10:11], off
	v_add_co_u32_e32 v10, vcc, s28, v14
	v_addc_co_u32_e32 v11, vcc, v16, v15, vcc
	global_load_dword v17, v[10:11], off
	ds_read_b64 v[14:15], v24 offset:2048
	s_mov_b64 s[40:41], 0
	s_waitcnt vmcnt(1) lgkmcnt(0)
	v_mul_f32_e64 v18, v13, -v15
	v_fmac_f32_e32 v18, v14, v12
.LBB31_130:                             ; =>This Inner Loop Header: Depth=1
	s_waitcnt vmcnt(0)
	v_add_f32_e32 v16, v17, v18
	global_atomic_cmpswap v16, v[10:11], v[16:17], off glc
	s_waitcnt vmcnt(0)
	v_cmp_eq_u32_e32 vcc, v16, v17
	s_or_b64 s[40:41], vcc, s[40:41]
	v_mov_b32_e32 v17, v16
	s_andn2_b64 exec, exec, s[40:41]
	s_cbranch_execnz .LBB31_130
; %bb.131:
	s_or_b64 exec, exec, s[40:41]
	global_load_dword v17, v[10:11], off offset:4
	v_mul_f32_e32 v13, v13, v14
	v_fmac_f32_e32 v13, v15, v12
	s_mov_b64 s[40:41], 0
.LBB31_132:                             ; =>This Inner Loop Header: Depth=1
	s_waitcnt vmcnt(0)
	v_add_f32_e32 v16, v17, v13
	global_atomic_cmpswap v12, v[10:11], v[16:17], off offset:4 glc
	s_waitcnt vmcnt(0)
	v_cmp_eq_u32_e32 vcc, v12, v17
	s_or_b64 s[40:41], vcc, s[40:41]
	v_mov_b32_e32 v17, v12
	s_andn2_b64 exec, exec, s[40:41]
	s_cbranch_execnz .LBB31_132
; %bb.133:
	s_or_b64 exec, exec, s[40:41]
                                        ; implicit-def: $vgpr10_vgpr11
.LBB31_134:
	s_andn2_saveexec_b64 s[2:3], s[2:3]
	s_cbranch_execz .LBB31_136
; %bb.135:
	v_mov_b32_e32 v12, s23
	v_add_co_u32_e32 v10, vcc, s22, v10
	v_addc_co_u32_e32 v11, vcc, v12, v11, vcc
	global_load_dwordx2 v[10:11], v[10:11], off
	ds_read_b64 v[12:13], v24 offset:2048
	v_subrev_u32_e32 v14, s4, v4
	v_mov_b32_e32 v15, 0x2000
	v_lshl_add_u32 v14, v14, 3, v15
	s_waitcnt vmcnt(0) lgkmcnt(0)
	v_mul_f32_e64 v15, v11, -v13
	v_mul_f32_e32 v11, v11, v12
	v_fmac_f32_e32 v15, v12, v10
	v_fmac_f32_e32 v11, v13, v10
	ds_add_f32 v14, v15
	ds_add_f32 v14, v11 offset:4
.LBB31_136:
	s_or_b64 exec, exec, s[20:21]
	v_lshlrev_b64 v[4:5], 3, v[4:5]
	v_mov_b32_e32 v10, s23
	v_add_co_u32_e32 v4, vcc, s22, v4
	v_addc_co_u32_e32 v5, vcc, v10, v5, vcc
	global_load_dwordx2 v[10:11], v[4:5], off
	ds_read_b64 v[12:13], v24 offset:2048
	v_add_co_u32_e32 v6, vcc, 0x200, v6
	v_addc_co_u32_e32 v7, vcc, 0, v7, vcc
	v_pk_mov_b32 v[4:5], s[24:25], s[24:25] op_sel:[0,1]
	s_and_b64 vcc, exec, s[0:1]
	s_waitcnt vmcnt(0) lgkmcnt(0)
	v_pk_mul_f32 v[14:15], v[10:11], v[12:13] op_sel:[1,1] op_sel_hi:[1,0] neg_lo:[0,1]
	v_pk_fma_f32 v[10:11], v[12:13], v[10:11], v[14:15] op_sel_hi:[1,0,1]
	ds_write_b64 v24, v[10:11] offset:2048
	v_pk_mov_b32 v[10:11], s[8:9], s[8:9] op_sel:[0,1]
	s_cbranch_vccnz .LBB31_140
; %bb.137:
	s_mov_b64 s[20:21], 0
	v_pk_mov_b32 v[4:5], s[24:25], s[24:25] op_sel:[0,1]
	v_pk_mov_b32 v[10:11], s[8:9], s[8:9] op_sel:[0,1]
	v_mov_b32_e32 v12, s17
	v_mov_b32_e32 v13, s33
.LBB31_138:                             ; =>This Inner Loop Header: Depth=1
	v_add_co_u32_e32 v14, vcc, v10, v4
	v_addc_co_u32_e32 v15, vcc, v11, v5, vcc
	v_lshrrev_b32_e32 v16, 31, v15
	v_add_co_u32_e32 v14, vcc, v14, v16
	v_addc_co_u32_e32 v15, vcc, 0, v15, vcc
	v_ashrrev_i64 v[14:15], 1, v[14:15]
	v_lshlrev_b64 v[16:17], 3, v[14:15]
	v_add_co_u32_e32 v16, vcc, s16, v16
	v_addc_co_u32_e32 v17, vcc, v12, v17, vcc
	global_load_dwordx2 v[16:17], v[16:17], off
	s_waitcnt vmcnt(0)
	v_subrev_co_u32_e32 v16, vcc, s34, v16
	v_subb_co_u32_e32 v17, vcc, v17, v13, vcc
	v_cmp_gt_i64_e32 vcc, v[16:17], v[6:7]
	v_cndmask_b32_e32 v10, v10, v14, vcc
	v_cndmask_b32_e32 v11, v11, v15, vcc
	;; [unrolled: 1-line block ×3, first 2 shown]
	v_add_co_u32_e64 v14, s[2:3], -1, v10
	v_cndmask_b32_e32 v5, v15, v5, vcc
	v_addc_co_u32_e64 v15, s[2:3], -1, v11, s[2:3]
	v_cmp_ge_i64_e32 vcc, v[4:5], v[10:11]
	v_cmp_eq_u64_e64 s[2:3], v[4:5], v[14:15]
	s_or_b64 s[2:3], vcc, s[2:3]
	s_and_b64 s[2:3], exec, s[2:3]
	s_or_b64 s[20:21], s[2:3], s[20:21]
	s_andn2_b64 exec, exec, s[20:21]
	s_cbranch_execnz .LBB31_138
; %bb.139:
	s_or_b64 exec, exec, s[20:21]
.LBB31_140:
	v_lshlrev_b64 v[12:13], 3, v[10:11]
	v_mov_b32_e32 v14, s17
	v_add_co_u32_e32 v12, vcc, s16, v12
	v_addc_co_u32_e32 v13, vcc, v14, v13, vcc
	global_load_dwordx2 v[12:13], v[12:13], off
	v_add_co_u32_e32 v14, vcc, 0x1000, v2
	v_addc_co_u32_e32 v15, vcc, 0, v3, vcc
	global_load_dwordx2 v[14:15], v[14:15], off
	v_mov_b32_e32 v16, s33
	s_waitcnt vmcnt(1)
	v_subrev_co_u32_e32 v12, vcc, s34, v12
	v_subb_co_u32_e32 v13, vcc, v13, v16, vcc
	v_cmp_gt_i64_e32 vcc, v[12:13], v[6:7]
	v_cndmask_b32_e32 v11, v11, v5, vcc
	v_cndmask_b32_e32 v10, v10, v4, vcc
	s_waitcnt vmcnt(0)
	v_subrev_co_u32_e32 v4, vcc, s34, v14
	v_subb_co_u32_e32 v5, vcc, v15, v16, vcc
	v_cmp_ne_u64_e32 vcc, v[4:5], v[10:11]
	s_and_saveexec_b64 s[20:21], vcc
	s_cbranch_execz .LBB31_150
; %bb.141:
	s_load_dwordx2 s[2:3], s[18:19], 0x0
	s_waitcnt lgkmcnt(0)
	s_sub_u32 s2, s2, s34
	s_subb_u32 s3, s3, 0
	v_cmp_gt_i64_e32 vcc, s[2:3], v[6:7]
	s_and_b64 exec, exec, vcc
	s_cbranch_execz .LBB31_150
; %bb.142:
	v_cmp_gt_i64_e32 vcc, s[4:5], v[4:5]
	v_cmp_le_i64_e64 s[2:3], s[26:27], v[4:5]
	s_or_b64 s[2:3], vcc, s[2:3]
	v_lshlrev_b64 v[6:7], 3, v[10:11]
	s_and_saveexec_b64 s[40:41], s[2:3]
	s_xor_b64 s[2:3], exec, s[40:41]
	s_cbranch_execz .LBB31_148
; %bb.143:
	v_mov_b32_e32 v10, s23
	v_add_co_u32_e32 v6, vcc, s22, v6
	v_lshlrev_b64 v[12:13], 3, v[4:5]
	v_addc_co_u32_e32 v7, vcc, v10, v7, vcc
	v_mov_b32_e32 v14, s29
	global_load_dwordx2 v[10:11], v[6:7], off
	v_add_co_u32_e32 v6, vcc, s28, v12
	v_addc_co_u32_e32 v7, vcc, v14, v13, vcc
	global_load_dword v15, v[6:7], off
	ds_read_b64 v[12:13], v24 offset:4096
	s_mov_b64 s[40:41], 0
	s_waitcnt vmcnt(1) lgkmcnt(0)
	v_mul_f32_e64 v16, v11, -v13
	v_fmac_f32_e32 v16, v12, v10
.LBB31_144:                             ; =>This Inner Loop Header: Depth=1
	s_waitcnt vmcnt(0)
	v_add_f32_e32 v14, v15, v16
	global_atomic_cmpswap v14, v[6:7], v[14:15], off glc
	s_waitcnt vmcnt(0)
	v_cmp_eq_u32_e32 vcc, v14, v15
	s_or_b64 s[40:41], vcc, s[40:41]
	v_mov_b32_e32 v15, v14
	s_andn2_b64 exec, exec, s[40:41]
	s_cbranch_execnz .LBB31_144
; %bb.145:
	s_or_b64 exec, exec, s[40:41]
	global_load_dword v15, v[6:7], off offset:4
	v_mul_f32_e32 v11, v11, v12
	v_fmac_f32_e32 v11, v13, v10
	s_mov_b64 s[40:41], 0
.LBB31_146:                             ; =>This Inner Loop Header: Depth=1
	s_waitcnt vmcnt(0)
	v_add_f32_e32 v14, v15, v11
	global_atomic_cmpswap v10, v[6:7], v[14:15], off offset:4 glc
	s_waitcnt vmcnt(0)
	v_cmp_eq_u32_e32 vcc, v10, v15
	s_or_b64 s[40:41], vcc, s[40:41]
	v_mov_b32_e32 v15, v10
	s_andn2_b64 exec, exec, s[40:41]
	s_cbranch_execnz .LBB31_146
; %bb.147:
	s_or_b64 exec, exec, s[40:41]
                                        ; implicit-def: $vgpr6_vgpr7
.LBB31_148:
	s_andn2_saveexec_b64 s[2:3], s[2:3]
	s_cbranch_execz .LBB31_150
; %bb.149:
	v_mov_b32_e32 v10, s23
	v_add_co_u32_e32 v6, vcc, s22, v6
	v_addc_co_u32_e32 v7, vcc, v10, v7, vcc
	global_load_dwordx2 v[6:7], v[6:7], off
	ds_read_b64 v[10:11], v24 offset:4096
	v_subrev_u32_e32 v12, s4, v4
	v_mov_b32_e32 v13, 0x2000
	v_lshl_add_u32 v12, v12, 3, v13
	s_waitcnt vmcnt(0) lgkmcnt(0)
	v_mul_f32_e64 v13, v7, -v11
	v_mul_f32_e32 v7, v7, v10
	v_fmac_f32_e32 v13, v10, v6
	v_fmac_f32_e32 v7, v11, v6
	ds_add_f32 v12, v13
	ds_add_f32 v12, v7 offset:4
.LBB31_150:
	s_or_b64 exec, exec, s[20:21]
	v_lshlrev_b64 v[4:5], 3, v[4:5]
	v_mov_b32_e32 v6, s23
	v_add_co_u32_e32 v4, vcc, s22, v4
	v_addc_co_u32_e32 v5, vcc, v6, v5, vcc
	global_load_dwordx2 v[6:7], v[4:5], off
	ds_read_b64 v[10:11], v24 offset:4096
	s_and_b64 vcc, exec, s[0:1]
	v_pk_mov_b32 v[4:5], s[24:25], s[24:25] op_sel:[0,1]
	s_waitcnt vmcnt(0) lgkmcnt(0)
	v_pk_mul_f32 v[12:13], v[6:7], v[10:11] op_sel:[1,1] op_sel_hi:[1,0] neg_lo:[0,1]
	v_pk_fma_f32 v[6:7], v[10:11], v[6:7], v[12:13] op_sel_hi:[1,0,1]
	ds_write_b64 v24, v[6:7] offset:4096
	v_pk_mov_b32 v[6:7], s[8:9], s[8:9] op_sel:[0,1]
	s_cbranch_vccnz .LBB31_154
; %bb.151:
	s_mov_b64 s[2:3], 0
	v_pk_mov_b32 v[4:5], s[24:25], s[24:25] op_sel:[0,1]
	v_pk_mov_b32 v[6:7], s[8:9], s[8:9] op_sel:[0,1]
	v_mov_b32_e32 v10, s17
	v_mov_b32_e32 v11, s33
.LBB31_152:                             ; =>This Inner Loop Header: Depth=1
	v_add_co_u32_e32 v12, vcc, v6, v4
	v_addc_co_u32_e32 v13, vcc, v7, v5, vcc
	v_lshrrev_b32_e32 v14, 31, v13
	v_add_co_u32_e32 v12, vcc, v12, v14
	v_addc_co_u32_e32 v13, vcc, 0, v13, vcc
	v_ashrrev_i64 v[12:13], 1, v[12:13]
	v_lshlrev_b64 v[14:15], 3, v[12:13]
	v_add_co_u32_e32 v14, vcc, s16, v14
	v_addc_co_u32_e32 v15, vcc, v10, v15, vcc
	global_load_dwordx2 v[14:15], v[14:15], off
	s_waitcnt vmcnt(0)
	v_subrev_co_u32_e32 v14, vcc, s34, v14
	v_subb_co_u32_e32 v15, vcc, v15, v11, vcc
	v_cmp_gt_i64_e32 vcc, v[14:15], v[8:9]
	v_cndmask_b32_e32 v6, v6, v12, vcc
	v_cndmask_b32_e32 v7, v7, v13, vcc
	;; [unrolled: 1-line block ×3, first 2 shown]
	v_add_co_u32_e64 v12, s[0:1], -1, v6
	v_cndmask_b32_e32 v5, v13, v5, vcc
	v_addc_co_u32_e64 v13, s[0:1], -1, v7, s[0:1]
	v_cmp_ge_i64_e32 vcc, v[4:5], v[6:7]
	v_cmp_eq_u64_e64 s[0:1], v[4:5], v[12:13]
	s_or_b64 s[0:1], vcc, s[0:1]
	s_and_b64 s[0:1], exec, s[0:1]
	s_or_b64 s[2:3], s[0:1], s[2:3]
	s_andn2_b64 exec, exec, s[2:3]
	s_cbranch_execnz .LBB31_152
; %bb.153:
	s_or_b64 exec, exec, s[2:3]
.LBB31_154:
	v_lshlrev_b64 v[10:11], 3, v[6:7]
	v_mov_b32_e32 v12, s17
	v_add_co_u32_e32 v10, vcc, s16, v10
	v_addc_co_u32_e32 v11, vcc, v12, v11, vcc
	global_load_dwordx2 v[10:11], v[10:11], off
	v_add_co_u32_e32 v2, vcc, 0x1000, v2
	v_addc_co_u32_e32 v3, vcc, 0, v3, vcc
	global_load_dwordx2 v[2:3], v[2:3], off offset:2048
	v_mov_b32_e32 v12, s33
	s_waitcnt vmcnt(1)
	v_subrev_co_u32_e32 v10, vcc, s34, v10
	v_subb_co_u32_e32 v11, vcc, v11, v12, vcc
	v_cmp_gt_i64_e32 vcc, v[10:11], v[8:9]
	v_cndmask_b32_e32 v5, v7, v5, vcc
	v_cndmask_b32_e32 v4, v6, v4, vcc
	s_waitcnt vmcnt(0)
	v_subrev_co_u32_e32 v2, vcc, s34, v2
	v_subb_co_u32_e32 v3, vcc, v3, v12, vcc
	v_cmp_ne_u64_e32 vcc, v[2:3], v[4:5]
	s_and_saveexec_b64 s[2:3], vcc
	s_cbranch_execz .LBB31_164
; %bb.155:
	s_load_dwordx2 s[0:1], s[18:19], 0x0
	s_waitcnt lgkmcnt(0)
	s_sub_u32 s0, s0, s34
	s_subb_u32 s1, s1, 0
	v_cmp_gt_i64_e32 vcc, s[0:1], v[8:9]
	s_and_b64 exec, exec, vcc
	s_cbranch_execz .LBB31_164
; %bb.156:
	v_cmp_gt_i64_e32 vcc, s[4:5], v[2:3]
	v_cmp_le_i64_e64 s[0:1], s[26:27], v[2:3]
	s_or_b64 s[0:1], vcc, s[0:1]
	v_lshlrev_b64 v[4:5], 3, v[4:5]
	s_and_saveexec_b64 s[8:9], s[0:1]
	s_xor_b64 s[0:1], exec, s[8:9]
	s_cbranch_execz .LBB31_162
; %bb.157:
	v_mov_b32_e32 v6, s23
	v_add_co_u32_e32 v4, vcc, s22, v4
	v_lshlrev_b64 v[8:9], 3, v[2:3]
	v_addc_co_u32_e32 v5, vcc, v6, v5, vcc
	v_mov_b32_e32 v10, s29
	global_load_dwordx2 v[6:7], v[4:5], off
	v_add_co_u32_e32 v4, vcc, s28, v8
	v_addc_co_u32_e32 v5, vcc, v10, v9, vcc
	global_load_dword v11, v[4:5], off
	ds_read_b64 v[8:9], v24 offset:6144
	s_mov_b64 s[8:9], 0
	s_waitcnt vmcnt(1) lgkmcnt(0)
	v_mul_f32_e64 v12, v7, -v9
	v_fmac_f32_e32 v12, v8, v6
.LBB31_158:                             ; =>This Inner Loop Header: Depth=1
	s_waitcnt vmcnt(0)
	v_add_f32_e32 v10, v11, v12
	global_atomic_cmpswap v10, v[4:5], v[10:11], off glc
	s_waitcnt vmcnt(0)
	v_cmp_eq_u32_e32 vcc, v10, v11
	s_or_b64 s[8:9], vcc, s[8:9]
	v_mov_b32_e32 v11, v10
	s_andn2_b64 exec, exec, s[8:9]
	s_cbranch_execnz .LBB31_158
; %bb.159:
	s_or_b64 exec, exec, s[8:9]
	global_load_dword v11, v[4:5], off offset:4
	v_mul_f32_e32 v7, v7, v8
	v_fmac_f32_e32 v7, v9, v6
	s_mov_b64 s[8:9], 0
.LBB31_160:                             ; =>This Inner Loop Header: Depth=1
	s_waitcnt vmcnt(0)
	v_add_f32_e32 v10, v11, v7
	global_atomic_cmpswap v6, v[4:5], v[10:11], off offset:4 glc
	s_waitcnt vmcnt(0)
	v_cmp_eq_u32_e32 vcc, v6, v11
	s_or_b64 s[8:9], vcc, s[8:9]
	v_mov_b32_e32 v11, v6
	s_andn2_b64 exec, exec, s[8:9]
	s_cbranch_execnz .LBB31_160
; %bb.161:
	s_or_b64 exec, exec, s[8:9]
                                        ; implicit-def: $vgpr4_vgpr5
.LBB31_162:
	s_andn2_saveexec_b64 s[0:1], s[0:1]
	s_cbranch_execz .LBB31_164
; %bb.163:
	v_mov_b32_e32 v6, s23
	v_add_co_u32_e32 v4, vcc, s22, v4
	v_addc_co_u32_e32 v5, vcc, v6, v5, vcc
	global_load_dwordx2 v[4:5], v[4:5], off
	ds_read_b64 v[6:7], v24 offset:6144
	v_subrev_u32_e32 v8, s4, v2
	v_mov_b32_e32 v9, 0x2000
	v_lshl_add_u32 v8, v8, 3, v9
	s_waitcnt vmcnt(0) lgkmcnt(0)
	v_mul_f32_e64 v9, v5, -v7
	v_mul_f32_e32 v5, v5, v6
	v_fmac_f32_e32 v9, v6, v4
	v_fmac_f32_e32 v5, v7, v4
	ds_add_f32 v8, v9
	ds_add_f32 v8, v5 offset:4
.LBB31_164:
	s_or_b64 exec, exec, s[2:3]
	v_lshlrev_b64 v[2:3], 3, v[2:3]
	v_mov_b32_e32 v4, s23
	v_add_co_u32_e32 v2, vcc, s22, v2
	v_addc_co_u32_e32 v3, vcc, v4, v3, vcc
	global_load_dwordx2 v[2:3], v[2:3], off
	ds_read_b64 v[4:5], v24 offset:6144
	s_waitcnt vmcnt(0) lgkmcnt(0)
	v_pk_mul_f32 v[6:7], v[2:3], v[4:5] op_sel:[1,1] op_sel_hi:[1,0] neg_lo:[0,1]
	v_pk_fma_f32 v[2:3], v[4:5], v[2:3], v[6:7] op_sel_hi:[1,0,1]
	ds_write_b64 v24, v[2:3] offset:6144
.LBB31_165:
	s_or_b64 exec, exec, s[6:7]
	v_pk_mov_b32 v[2:3], s[10:11], s[10:11] op_sel:[0,1]
	v_cmp_lt_i64_e32 vcc, s[26:27], v[2:3]
	s_and_b64 s[0:1], vcc, exec
	s_cselect_b32 s8, s26, s10
	s_cselect_b32 s0, s27, s11
	s_sub_u32 s2, s8, s30
	s_subb_u32 s3, s0, s31
	v_cmp_gt_i64_e32 vcc, s[2:3], v[0:1]
	s_waitcnt lgkmcnt(0)
	s_barrier
	s_and_saveexec_b64 s[0:1], vcc
	s_cbranch_execz .LBB31_172
; %bb.166:
	s_lshl_b64 s[4:5], s[4:5], 3
	s_add_u32 s9, s28, s4
	s_addc_u32 s6, s29, s5
	s_mov_b64 s[4:5], 0
	v_mov_b32_e32 v10, s6
	v_mov_b32_e32 v11, 0x2000
	v_pk_mov_b32 v[2:3], v[0:1], v[0:1] op_sel:[0,1]
.LBB31_167:                             ; =>This Loop Header: Depth=1
                                        ;     Child Loop BB31_168 Depth 2
                                        ;     Child Loop BB31_170 Depth 2
	v_lshlrev_b64 v[4:5], 3, v[2:3]
	v_add_co_u32_e32 v4, vcc, s9, v4
	v_addc_co_u32_e32 v5, vcc, v10, v5, vcc
	global_load_dword v9, v[4:5], off
	v_lshl_add_u32 v6, v2, 3, v11
	ds_read2_b32 v[6:7], v6 offset1:1
	s_mov_b64 s[6:7], 0
.LBB31_168:                             ;   Parent Loop BB31_167 Depth=1
                                        ; =>  This Inner Loop Header: Depth=2
	s_waitcnt vmcnt(0) lgkmcnt(0)
	v_add_f32_e32 v8, v9, v6
	global_atomic_cmpswap v8, v[4:5], v[8:9], off glc
	s_waitcnt vmcnt(0)
	v_cmp_eq_u32_e32 vcc, v8, v9
	s_or_b64 s[6:7], vcc, s[6:7]
	v_mov_b32_e32 v9, v8
	s_andn2_b64 exec, exec, s[6:7]
	s_cbranch_execnz .LBB31_168
; %bb.169:                              ;   in Loop: Header=BB31_167 Depth=1
	s_or_b64 exec, exec, s[6:7]
	global_load_dword v9, v[4:5], off offset:4
	s_mov_b64 s[6:7], 0
.LBB31_170:                             ;   Parent Loop BB31_167 Depth=1
                                        ; =>  This Inner Loop Header: Depth=2
	s_waitcnt vmcnt(0)
	v_add_f32_e32 v8, v9, v7
	global_atomic_cmpswap v6, v[4:5], v[8:9], off offset:4 glc
	s_waitcnt vmcnt(0)
	v_cmp_eq_u32_e32 vcc, v6, v9
	s_or_b64 s[6:7], vcc, s[6:7]
	v_mov_b32_e32 v9, v6
	s_andn2_b64 exec, exec, s[6:7]
	s_cbranch_execnz .LBB31_170
; %bb.171:                              ;   in Loop: Header=BB31_167 Depth=1
	s_or_b64 exec, exec, s[6:7]
	v_add_co_u32_e32 v2, vcc, 0x100, v2
	v_addc_co_u32_e32 v3, vcc, 0, v3, vcc
	v_cmp_le_i64_e32 vcc, s[2:3], v[2:3]
	s_or_b64 s[4:5], vcc, s[4:5]
	s_andn2_b64 exec, exec, s[4:5]
	s_cbranch_execnz .LBB31_167
.LBB31_172:
	s_or_b64 exec, exec, s[0:1]
	s_add_i32 s0, s38, -1
	s_ashr_i32 s1, s0, 1
	s_or_b32 s0, s1, s0
	s_ashr_i32 s1, s0, 2
	s_or_b32 s0, s1, s0
	;; [unrolled: 2-line block ×5, first 2 shown]
	s_add_i32 s3, s3, 1
	s_ashr_i32 s18, s3, 1
	v_mov_b32_e32 v2, s25
	v_add_co_u32_e32 v6, vcc, s24, v0
	v_addc_co_u32_e32 v7, vcc, 0, v2, vcc
	s_cmp_gt_i32 s18, 1
	s_mov_b64 s[0:1], -1
	s_barrier
	s_cbranch_scc1 .LBB31_185
; %bb.173:
	v_cmp_gt_i64_e32 vcc, s[26:27], v[6:7]
	s_and_saveexec_b64 s[0:1], vcc
	s_cbranch_execz .LBB31_184
; %bb.174:
	s_sub_i32 s4, s8, s26
	s_lshl_b32 s4, s4, 3
	s_add_i32 s10, s4, 0x2000
	s_lshl_b32 s4, s12, 3
	s_sub_i32 s11, 0, s4
	s_mov_b64 s[4:5], 0
	v_mov_b32_e32 v16, s17
	v_mov_b32_e32 v17, s29
	v_mov_b32_e32 v18, s37
	v_pk_mov_b32 v[8:9], v[6:7], v[6:7] op_sel:[0,1]
.LBB31_175:                             ; =>This Loop Header: Depth=1
                                        ;     Child Loop BB31_177 Depth 2
                                        ;     Child Loop BB31_180 Depth 2
	;; [unrolled: 1-line block ×3, first 2 shown]
	v_lshlrev_b64 v[10:11], 3, v[8:9]
	v_add_co_u32_e32 v2, vcc, s16, v10
	v_addc_co_u32_e32 v3, vcc, v16, v11, vcc
	global_load_dwordx4 v[2:5], v[2:3], off
	v_mov_b32_e32 v13, 0
	v_mov_b32_e32 v12, v13
	s_waitcnt vmcnt(0)
	v_cmp_lt_i64_e32 vcc, v[2:3], v[4:5]
	s_and_saveexec_b64 s[6:7], vcc
	s_cbranch_execz .LBB31_179
; %bb.176:                              ;   in Loop: Header=BB31_175 Depth=1
	v_mov_b32_e32 v12, s13
	v_subrev_co_u32_e32 v4, vcc, s12, v4
	v_subb_co_u32_e32 v5, vcc, v5, v12, vcc
	v_subrev_co_u32_e32 v14, vcc, s12, v2
	v_subb_co_u32_e32 v15, vcc, v3, v12, vcc
	v_mov_b32_e32 v12, 0
	v_lshl_add_u32 v2, v2, 3, s11
	s_mov_b64 s[8:9], 0
	v_mov_b32_e32 v13, v12
.LBB31_177:                             ;   Parent Loop BB31_175 Depth=1
                                        ; =>  This Inner Loop Header: Depth=2
	ds_read_b64 v[20:21], v2
	v_add_co_u32_e32 v14, vcc, 1, v14
	v_addc_co_u32_e32 v15, vcc, 0, v15, vcc
	v_cmp_ge_i64_e32 vcc, v[14:15], v[4:5]
	v_add_u32_e32 v2, 8, v2
	s_or_b64 s[8:9], vcc, s[8:9]
	s_waitcnt lgkmcnt(0)
	v_pk_add_f32 v[12:13], v[12:13], v[20:21]
	s_andn2_b64 exec, exec, s[8:9]
	s_cbranch_execnz .LBB31_177
; %bb.178:                              ;   in Loop: Header=BB31_175 Depth=1
	s_or_b64 exec, exec, s[8:9]
.LBB31_179:                             ;   in Loop: Header=BB31_175 Depth=1
	s_or_b64 exec, exec, s[6:7]
	v_add_co_u32_e32 v2, vcc, s28, v10
	v_addc_co_u32_e32 v3, vcc, v17, v11, vcc
	global_load_dword v11, v[2:3], off
	v_lshl_add_u32 v4, v8, 3, s10
	ds_read2_b32 v[4:5], v4 offset1:1
	s_mov_b64 s[6:7], 0
	s_waitcnt lgkmcnt(0)
	v_add_f32_e32 v4, v12, v4
.LBB31_180:                             ;   Parent Loop BB31_175 Depth=1
                                        ; =>  This Inner Loop Header: Depth=2
	s_waitcnt vmcnt(0)
	v_add_f32_e32 v10, v11, v4
	global_atomic_cmpswap v10, v[2:3], v[10:11], off glc
	s_waitcnt vmcnt(0)
	v_cmp_eq_u32_e32 vcc, v10, v11
	s_or_b64 s[6:7], vcc, s[6:7]
	v_mov_b32_e32 v11, v10
	s_andn2_b64 exec, exec, s[6:7]
	s_cbranch_execnz .LBB31_180
; %bb.181:                              ;   in Loop: Header=BB31_175 Depth=1
	s_or_b64 exec, exec, s[6:7]
	global_load_dword v11, v[2:3], off offset:4
	v_add_f32_e32 v4, v13, v5
	s_mov_b64 s[6:7], 0
.LBB31_182:                             ;   Parent Loop BB31_175 Depth=1
                                        ; =>  This Inner Loop Header: Depth=2
	s_waitcnt vmcnt(0)
	v_add_f32_e32 v10, v11, v4
	global_atomic_cmpswap v5, v[2:3], v[10:11], off offset:4 glc
	s_waitcnt vmcnt(0)
	v_cmp_eq_u32_e32 vcc, v5, v11
	s_or_b64 s[6:7], vcc, s[6:7]
	v_mov_b32_e32 v11, v5
	s_andn2_b64 exec, exec, s[6:7]
	s_cbranch_execnz .LBB31_182
; %bb.183:                              ;   in Loop: Header=BB31_175 Depth=1
	s_or_b64 exec, exec, s[6:7]
	v_add_co_u32_e32 v8, vcc, s36, v8
	v_addc_co_u32_e32 v9, vcc, v9, v18, vcc
	v_cmp_le_i64_e32 vcc, s[26:27], v[8:9]
	s_or_b64 s[4:5], vcc, s[4:5]
	s_andn2_b64 exec, exec, s[4:5]
	s_cbranch_execnz .LBB31_175
.LBB31_184:
	s_or_b64 exec, exec, s[0:1]
	s_mov_b64 s[0:1], 0
.LBB31_185:
	s_andn2_b64 vcc, exec, s[0:1]
	s_cbranch_vccnz .LBB31_216
; %bb.186:
	v_cvt_f32_u32_e32 v14, s18
	s_sub_i32 s6, 0, s18
	v_mov_b32_e32 v11, 0
	v_mov_b32_e32 v4, s15
	v_rcp_iflag_f32_e32 v2, v14
	v_mov_b32_e32 v12, s13
	v_mul_f32_e32 v2, 0x4f7ffffe, v2
	v_cvt_u32_f32_e32 v2, v2
	v_mul_lo_u32 v3, s6, v2
	v_mul_hi_u32 v3, v2, v3
	v_add_u32_e32 v2, v2, v3
	v_mul_hi_u32 v2, v0, v2
	v_mul_lo_u32 v3, v2, s18
	v_sub_u32_e32 v3, v0, v3
	v_add_u32_e32 v5, 1, v2
	v_cmp_le_u32_e32 vcc, s18, v3
	v_cndmask_b32_e32 v2, v2, v5, vcc
	v_subrev_u32_e32 v5, s18, v3
	v_cndmask_b32_e32 v3, v3, v5, vcc
	v_add_u32_e32 v5, 1, v2
	v_cmp_le_u32_e32 vcc, s18, v3
	v_cndmask_b32_e32 v10, v2, v5, vcc
	v_lshlrev_b64 v[2:3], 3, v[10:11]
	v_add_co_u32_e32 v2, vcc, s14, v2
	v_addc_co_u32_e32 v3, vcc, v4, v3, vcc
	global_load_dwordx4 v[2:5], v[2:3], off
	s_waitcnt vmcnt(0)
	v_subrev_co_u32_e32 v8, vcc, s12, v2
	v_subb_co_u32_e32 v9, vcc, v3, v12, vcc
	v_subrev_co_u32_e32 v18, vcc, s12, v4
	v_subb_co_u32_e32 v19, vcc, v5, v12, vcc
	v_sub_co_u32_e32 v3, vcc, v18, v8
	v_subb_co_u32_e32 v13, vcc, v19, v9, vcc
	v_mov_b32_e32 v12, v11
	v_cmp_ne_u64_e32 vcc, 0, v[12:13]
                                        ; implicit-def: $vgpr4_vgpr5
	s_and_saveexec_b64 s[0:1], vcc
	s_xor_b64 s[4:5], exec, s[0:1]
	s_cbranch_execz .LBB31_188
; %bb.187:
	v_cvt_f32_ubyte0_e32 v4, 0
	v_madmk_f32 v4, v4, 0x4f800000, v14
	v_rcp_f32_e32 v4, v4
	s_sub_u32 s0, 0, s18
	s_subb_u32 s1, 0, 0
	v_mul_f32_e32 v4, 0x5f7ffffc, v4
	v_mul_f32_e32 v5, 0x2f800000, v4
	v_trunc_f32_e32 v5, v5
	v_madmk_f32 v4, v5, 0xcf800000, v4
	v_cvt_u32_f32_e32 v5, v5
	v_cvt_u32_f32_e32 v4, v4
	v_mul_lo_u32 v12, s0, v5
	v_mul_hi_u32 v15, s0, v4
	v_mul_lo_u32 v14, s1, v4
	v_add_u32_e32 v12, v15, v12
	v_add_u32_e32 v12, v12, v14
	v_mul_lo_u32 v16, s0, v4
	v_mul_lo_u32 v15, v4, v12
	v_mul_hi_u32 v17, v4, v16
	v_mul_hi_u32 v14, v4, v12
	v_add_co_u32_e32 v15, vcc, v17, v15
	v_addc_co_u32_e32 v14, vcc, 0, v14, vcc
	v_mul_hi_u32 v20, v5, v16
	v_mul_lo_u32 v16, v5, v16
	v_add_co_u32_e32 v15, vcc, v15, v16
	v_mul_hi_u32 v17, v5, v12
	v_addc_co_u32_e32 v14, vcc, v14, v20, vcc
	v_addc_co_u32_e32 v15, vcc, 0, v17, vcc
	v_mul_lo_u32 v12, v5, v12
	v_add_co_u32_e32 v12, vcc, v14, v12
	v_addc_co_u32_e32 v14, vcc, 0, v15, vcc
	v_add_co_u32_e32 v4, vcc, v4, v12
	v_addc_co_u32_e32 v5, vcc, v5, v14, vcc
	v_mul_lo_u32 v12, s0, v5
	v_mul_hi_u32 v14, s0, v4
	v_add_u32_e32 v12, v14, v12
	v_mul_lo_u32 v14, s1, v4
	v_add_u32_e32 v12, v12, v14
	v_mul_lo_u32 v15, s0, v4
	v_mul_hi_u32 v16, v5, v15
	v_mul_lo_u32 v17, v5, v15
	v_mul_lo_u32 v21, v4, v12
	v_mul_hi_u32 v15, v4, v15
	v_mul_hi_u32 v20, v4, v12
	v_add_co_u32_e32 v15, vcc, v15, v21
	v_addc_co_u32_e32 v20, vcc, 0, v20, vcc
	v_add_co_u32_e32 v15, vcc, v15, v17
	v_mul_hi_u32 v14, v5, v12
	v_addc_co_u32_e32 v15, vcc, v20, v16, vcc
	v_addc_co_u32_e32 v14, vcc, 0, v14, vcc
	v_mul_lo_u32 v12, v5, v12
	v_add_co_u32_e32 v12, vcc, v15, v12
	v_addc_co_u32_e32 v14, vcc, 0, v14, vcc
	v_add_co_u32_e32 v12, vcc, v4, v12
	v_addc_co_u32_e32 v14, vcc, v5, v14, vcc
	v_ashrrev_i32_e32 v15, 31, v13
	v_add_co_u32_e32 v3, vcc, v3, v15
	v_addc_co_u32_e32 v4, vcc, v13, v15, vcc
	v_xor_b32_e32 v3, v3, v15
	v_xor_b32_e32 v16, v4, v15
	v_mad_u64_u32 v[4:5], s[0:1], v3, v14, 0
	v_mul_hi_u32 v13, v3, v12
	v_add_co_u32_e32 v17, vcc, v13, v4
	v_addc_co_u32_e32 v20, vcc, 0, v5, vcc
	v_mad_u64_u32 v[12:13], s[0:1], v16, v12, 0
	v_add_co_u32_e32 v12, vcc, v17, v12
	v_mad_u64_u32 v[4:5], s[0:1], v16, v14, 0
	v_addc_co_u32_e32 v12, vcc, v20, v13, vcc
	v_addc_co_u32_e32 v5, vcc, 0, v5, vcc
	v_add_co_u32_e32 v14, vcc, v12, v4
	v_addc_co_u32_e32 v17, vcc, 0, v5, vcc
	v_mad_u64_u32 v[4:5], s[0:1], s18, v14, 0
	v_mov_b32_e32 v12, v5
	v_mad_u64_u32 v[12:13], s[0:1], s18, v17, v[12:13]
	v_sub_co_u32_e32 v3, vcc, v3, v4
	v_subb_co_u32_e32 v4, vcc, v16, v12, vcc
	v_subrev_co_u32_e32 v5, vcc, s18, v3
	v_subbrev_co_u32_e32 v12, vcc, 0, v4, vcc
	v_cmp_le_u32_e32 vcc, s18, v5
	v_cndmask_b32_e64 v5, 0, -1, vcc
	v_cmp_eq_u32_e32 vcc, 0, v12
	v_cndmask_b32_e32 v5, -1, v5, vcc
	v_add_co_u32_e32 v12, vcc, 2, v14
	v_addc_co_u32_e32 v13, vcc, 0, v17, vcc
	v_add_co_u32_e32 v16, vcc, 1, v14
	v_cmp_le_u32_e64 s[0:1], s18, v3
	v_addc_co_u32_e32 v20, vcc, 0, v17, vcc
	v_cndmask_b32_e64 v3, 0, -1, s[0:1]
	v_cmp_eq_u32_e64 s[0:1], 0, v4
	v_cmp_ne_u32_e32 vcc, 0, v5
	v_cndmask_b32_e64 v3, -1, v3, s[0:1]
	v_cmp_ne_u32_e64 s[0:1], 0, v3
	v_cndmask_b32_e32 v4, v16, v12, vcc
	v_cndmask_b32_e32 v5, v20, v13, vcc
	v_cndmask_b32_e64 v4, v14, v4, s[0:1]
	v_cndmask_b32_e64 v3, v17, v5, s[0:1]
	v_xor_b32_e32 v4, v4, v15
	v_xor_b32_e32 v3, v3, v15
	v_sub_co_u32_e32 v4, vcc, v4, v15
	v_subb_co_u32_e32 v5, vcc, v3, v15, vcc
                                        ; implicit-def: $vgpr3
.LBB31_188:
	s_andn2_saveexec_b64 s[0:1], s[4:5]
	s_cbranch_execz .LBB31_190
; %bb.189:
	v_cvt_f32_u32_e32 v4, s18
	v_rcp_iflag_f32_e32 v4, v4
	v_mul_f32_e32 v4, 0x4f7ffffe, v4
	v_cvt_u32_f32_e32 v4, v4
	v_mul_lo_u32 v5, s6, v4
	v_mul_hi_u32 v5, v4, v5
	v_add_u32_e32 v4, v4, v5
	v_mul_hi_u32 v4, v3, v4
	v_mul_lo_u32 v5, v4, s18
	v_sub_u32_e32 v3, v3, v5
	v_add_u32_e32 v12, 1, v4
	v_subrev_u32_e32 v5, s18, v3
	v_cmp_le_u32_e32 vcc, s18, v3
	v_cndmask_b32_e32 v3, v3, v5, vcc
	v_cndmask_b32_e32 v4, v4, v12, vcc
	v_add_u32_e32 v5, 1, v4
	v_cmp_le_u32_e32 vcc, s18, v3
	v_cndmask_b32_e32 v4, v4, v5, vcc
	v_mov_b32_e32 v5, 0
.LBB31_190:
	s_or_b64 exec, exec, s[0:1]
	v_cmp_gt_i64_e32 vcc, s[30:31], v[10:11]
	v_mov_b32_e32 v11, 0
	v_mov_b32_e32 v10, 0
	s_and_saveexec_b64 s[0:1], vcc
	s_cbranch_execz .LBB31_204
; %bb.191:
	s_add_i32 s4, s18, -1
	v_and_b32_e32 v12, s4, v0
	v_cmp_lt_i64_e32 vcc, 0, v[4:5]
	s_mov_b32 s6, 0
	v_mov_b32_e32 v11, 0
	v_mov_b32_e32 v10, 0
	s_and_saveexec_b64 s[4:5], vcc
	s_cbranch_execz .LBB31_201
; %bb.192:
	s_mov_b32 s7, s6
	v_cmp_lt_u64_e32 vcc, 3, v[4:5]
	v_pk_mov_b32 v[10:11], s[6:7], s[6:7] op_sel:[0,1]
	v_pk_mov_b32 v[14:15], 0, 0
	s_and_saveexec_b64 s[6:7], vcc
	s_cbranch_execz .LBB31_196
; %bb.193:
	s_lshl_b32 s8, s18, 3
	s_lshl_b32 s9, s12, 3
	s_sub_i32 s13, s8, s9
	s_lshl_b32 s8, s18, 4
	v_lshlrev_b32_e32 v3, 3, v2
	s_sub_i32 s15, s8, s9
	s_mul_i32 s8, s18, 24
	v_mov_b32_e32 v10, 0
	v_and_b32_e32 v15, 0x7fffffff, v5
	v_and_b32_e32 v14, -4, v4
	v_lshl_add_u32 v3, v12, 3, v3
	s_lshl_b32 s14, s18, 5
	s_sub_i32 s16, s8, s9
	s_sub_i32 s17, 0, s9
	s_mov_b64 s[8:9], 0
	s_mov_b64 s[10:11], 0
	v_mov_b32_e32 v11, v10
.LBB31_194:                             ; =>This Inner Loop Header: Depth=1
	v_add_u32_e32 v13, s17, v3
	v_add_u32_e32 v20, s13, v3
	;; [unrolled: 1-line block ×4, first 2 shown]
	ds_read_b64 v[16:17], v13
	ds_read_b64 v[20:21], v20
	ds_read_b64 v[22:23], v22
	ds_read_b64 v[26:27], v25
	s_add_u32 s10, s10, 4
	s_waitcnt lgkmcnt(3)
	v_pk_add_f32 v[10:11], v[10:11], v[16:17]
	s_addc_u32 s11, s11, 0
	s_waitcnt lgkmcnt(2)
	v_pk_add_f32 v[10:11], v[10:11], v[20:21]
	v_cmp_eq_u64_e32 vcc, s[10:11], v[14:15]
	s_waitcnt lgkmcnt(1)
	v_pk_add_f32 v[10:11], v[10:11], v[22:23]
	v_add_u32_e32 v3, s14, v3
	s_or_b64 s[8:9], vcc, s[8:9]
	s_waitcnt lgkmcnt(0)
	v_pk_add_f32 v[10:11], v[10:11], v[26:27]
	s_andn2_b64 exec, exec, s[8:9]
	s_cbranch_execnz .LBB31_194
; %bb.195:
	s_or_b64 exec, exec, s[8:9]
.LBB31_196:
	s_or_b64 exec, exec, s[6:7]
	v_and_b32_e32 v16, 3, v4
	v_mov_b32_e32 v17, 0
	s_mov_b64 s[8:9], 0
	v_cmp_ne_u64_e32 vcc, 0, v[16:17]
	s_and_saveexec_b64 s[6:7], vcc
	s_cbranch_execz .LBB31_200
; %bb.197:
	v_mul_lo_u32 v3, s18, v14
	v_add3_u32 v2, v12, v3, v2
	v_subrev_u32_e32 v2, s12, v2
	v_lshlrev_b32_e32 v2, 3, v2
	s_lshl_b32 s10, s18, 3
.LBB31_198:                             ; =>This Inner Loop Header: Depth=1
	ds_read_b64 v[14:15], v2
	v_add_co_u32_e32 v16, vcc, -1, v16
	v_addc_co_u32_e32 v17, vcc, -1, v17, vcc
	v_cmp_eq_u64_e32 vcc, 0, v[16:17]
	v_add_u32_e32 v2, s10, v2
	s_or_b64 s[8:9], vcc, s[8:9]
	s_waitcnt lgkmcnt(0)
	v_pk_add_f32 v[10:11], v[10:11], v[14:15]
	s_andn2_b64 exec, exec, s[8:9]
	s_cbranch_execnz .LBB31_198
; %bb.199:
	s_or_b64 exec, exec, s[8:9]
.LBB31_200:
	s_or_b64 exec, exec, s[6:7]
.LBB31_201:
	s_or_b64 exec, exec, s[4:5]
	v_mad_u64_u32 v[2:3], s[4:5], v4, s18, v[8:9]
	v_mov_b32_e32 v4, v3
	v_mad_u64_u32 v[4:5], s[4:5], v5, s18, v[4:5]
	v_mov_b32_e32 v3, v4
	v_sub_co_u32_e32 v4, vcc, v18, v2
	v_mov_b32_e32 v13, 0
	v_subb_co_u32_e32 v5, vcc, v19, v3, vcc
	v_cmp_gt_i64_e32 vcc, v[4:5], v[12:13]
	s_and_saveexec_b64 s[4:5], vcc
	s_cbranch_execz .LBB31_203
; %bb.202:
	v_add_lshl_u32 v2, v12, v2, 3
	ds_read_b64 v[2:3], v2
	s_waitcnt lgkmcnt(0)
	v_pk_add_f32 v[10:11], v[10:11], v[2:3]
.LBB31_203:
	s_or_b64 exec, exec, s[4:5]
.LBB31_204:
	s_or_b64 exec, exec, s[0:1]
	v_cmp_gt_i64_e32 vcc, s[30:31], v[0:1]
	s_barrier
	ds_write_b64 v24, v[10:11]
	s_waitcnt lgkmcnt(0)
	s_barrier
	s_and_b64 exec, exec, vcc
	s_cbranch_execz .LBB31_216
; %bb.205:
	v_mul_lo_u32 v1, s18, v0
	s_mov_b32 s0, 0
	s_cmp_lt_u32 s18, 8
	s_cbranch_scc1 .LBB31_208
; %bb.206:
	v_mov_b32_e32 v2, 0
	s_and_b32 s0, s18, 0x7ffffff8
	v_lshlrev_b32_e32 v4, 3, v1
	s_mov_b32 s1, 0
	v_mov_b32_e32 v3, v2
.LBB31_207:                             ; =>This Inner Loop Header: Depth=1
	ds_read2_b64 v[8:11], v4 offset1:1
	ds_read2_b64 v[12:15], v4 offset0:2 offset1:3
	ds_read2_b64 v[16:19], v4 offset0:4 offset1:5
	;; [unrolled: 1-line block ×3, first 2 shown]
	s_add_i32 s1, s1, 8
	s_waitcnt lgkmcnt(3)
	v_pk_add_f32 v[2:3], v[2:3], v[8:9]
	v_pk_add_f32 v[2:3], v[2:3], v[10:11]
	s_waitcnt lgkmcnt(2)
	v_pk_add_f32 v[2:3], v[2:3], v[12:13]
	v_pk_add_f32 v[2:3], v[2:3], v[14:15]
	;; [unrolled: 3-line block ×3, first 2 shown]
	s_waitcnt lgkmcnt(0)
	v_pk_add_f32 v[2:3], v[2:3], v[20:21]
	v_add_u32_e32 v4, 64, v4
	s_cmp_eq_u32 s0, s1
	v_pk_add_f32 v[2:3], v[2:3], v[22:23]
	s_cbranch_scc0 .LBB31_207
	s_branch .LBB31_209
.LBB31_208:
	s_mov_b32 s1, s0
	v_pk_mov_b32 v[2:3], s[0:1], s[0:1] op_sel:[0,1]
.LBB31_209:
	s_bfe_u32 s1, s3, 0x30001
	s_cmp_eq_u32 s1, 0
	s_cbranch_scc1 .LBB31_212
; %bb.210:
	v_add_lshl_u32 v1, s0, v1, 3
.LBB31_211:                             ; =>This Inner Loop Header: Depth=1
	ds_read_b64 v[4:5], v1
	s_add_i32 s1, s1, -1
	v_add_u32_e32 v1, 8, v1
	s_cmp_lg_u32 s1, 0
	s_waitcnt lgkmcnt(0)
	v_pk_add_f32 v[2:3], v[2:3], v[4:5]
	s_cbranch_scc1 .LBB31_211
.LBB31_212:
	v_lshlrev_b64 v[4:5], 3, v[6:7]
	v_mov_b32_e32 v1, s29
	v_add_co_u32_e32 v4, vcc, s28, v4
	v_addc_co_u32_e32 v5, vcc, v1, v5, vcc
	global_load_dword v7, v[4:5], off
	s_lshl_b32 s0, s2, 3
	s_addk_i32 s0, 0x2000
	v_lshl_add_u32 v0, v0, 3, s0
	ds_read2_b32 v[0:1], v0 offset1:1
	s_mov_b64 s[0:1], 0
	s_waitcnt lgkmcnt(0)
	v_add_f32_e32 v0, v2, v0
.LBB31_213:                             ; =>This Inner Loop Header: Depth=1
	s_waitcnt vmcnt(0)
	v_add_f32_e32 v6, v7, v0
	global_atomic_cmpswap v2, v[4:5], v[6:7], off glc
	s_waitcnt vmcnt(0)
	v_cmp_eq_u32_e32 vcc, v2, v7
	s_or_b64 s[0:1], vcc, s[0:1]
	v_mov_b32_e32 v7, v2
	s_andn2_b64 exec, exec, s[0:1]
	s_cbranch_execnz .LBB31_213
; %bb.214:
	s_or_b64 exec, exec, s[0:1]
	global_load_dword v7, v[4:5], off offset:4
	v_add_f32_e32 v0, v3, v1
	s_mov_b64 s[0:1], 0
.LBB31_215:                             ; =>This Inner Loop Header: Depth=1
	s_waitcnt vmcnt(0)
	v_add_f32_e32 v6, v7, v0
	global_atomic_cmpswap v1, v[4:5], v[6:7], off offset:4 glc
	s_waitcnt vmcnt(0)
	v_cmp_eq_u32_e32 vcc, v1, v7
	s_or_b64 s[0:1], vcc, s[0:1]
	v_mov_b32_e32 v7, v1
	s_andn2_b64 exec, exec, s[0:1]
	s_cbranch_execnz .LBB31_215
.LBB31_216:
	s_endpgm
	.section	.rodata,"a",@progbits
	.p2align	6, 0x0
	.amdhsa_kernel _ZN9rocsparseL27csrmvn_symm_adaptive_kernelIll21rocsparse_complex_numIfES2_S2_S2_EEvbT_S3_PKS3_NS_24const_host_device_scalarIT4_EES5_PKT0_PKT1_PKT2_S8_PT3_21rocsparse_index_base_b
		.amdhsa_group_segment_fixed_size 8192
		.amdhsa_private_segment_fixed_size 0
		.amdhsa_kernarg_size 352
		.amdhsa_user_sgpr_count 6
		.amdhsa_user_sgpr_private_segment_buffer 1
		.amdhsa_user_sgpr_dispatch_ptr 0
		.amdhsa_user_sgpr_queue_ptr 0
		.amdhsa_user_sgpr_kernarg_segment_ptr 1
		.amdhsa_user_sgpr_dispatch_id 0
		.amdhsa_user_sgpr_flat_scratch_init 0
		.amdhsa_user_sgpr_kernarg_preload_length 0
		.amdhsa_user_sgpr_kernarg_preload_offset 0
		.amdhsa_user_sgpr_private_segment_size 0
		.amdhsa_uses_dynamic_stack 0
		.amdhsa_system_sgpr_private_segment_wavefront_offset 0
		.amdhsa_system_sgpr_workgroup_id_x 1
		.amdhsa_system_sgpr_workgroup_id_y 0
		.amdhsa_system_sgpr_workgroup_id_z 0
		.amdhsa_system_sgpr_workgroup_info 0
		.amdhsa_system_vgpr_workitem_id 0
		.amdhsa_next_free_vgpr 36
		.amdhsa_next_free_sgpr 54
		.amdhsa_accum_offset 36
		.amdhsa_reserve_vcc 1
		.amdhsa_reserve_flat_scratch 0
		.amdhsa_float_round_mode_32 0
		.amdhsa_float_round_mode_16_64 0
		.amdhsa_float_denorm_mode_32 3
		.amdhsa_float_denorm_mode_16_64 3
		.amdhsa_dx10_clamp 1
		.amdhsa_ieee_mode 1
		.amdhsa_fp16_overflow 0
		.amdhsa_tg_split 0
		.amdhsa_exception_fp_ieee_invalid_op 0
		.amdhsa_exception_fp_denorm_src 0
		.amdhsa_exception_fp_ieee_div_zero 0
		.amdhsa_exception_fp_ieee_overflow 0
		.amdhsa_exception_fp_ieee_underflow 0
		.amdhsa_exception_fp_ieee_inexact 0
		.amdhsa_exception_int_div_zero 0
	.end_amdhsa_kernel
	.section	.text._ZN9rocsparseL27csrmvn_symm_adaptive_kernelIll21rocsparse_complex_numIfES2_S2_S2_EEvbT_S3_PKS3_NS_24const_host_device_scalarIT4_EES5_PKT0_PKT1_PKT2_S8_PT3_21rocsparse_index_base_b,"axG",@progbits,_ZN9rocsparseL27csrmvn_symm_adaptive_kernelIll21rocsparse_complex_numIfES2_S2_S2_EEvbT_S3_PKS3_NS_24const_host_device_scalarIT4_EES5_PKT0_PKT1_PKT2_S8_PT3_21rocsparse_index_base_b,comdat
.Lfunc_end31:
	.size	_ZN9rocsparseL27csrmvn_symm_adaptive_kernelIll21rocsparse_complex_numIfES2_S2_S2_EEvbT_S3_PKS3_NS_24const_host_device_scalarIT4_EES5_PKT0_PKT1_PKT2_S8_PT3_21rocsparse_index_base_b, .Lfunc_end31-_ZN9rocsparseL27csrmvn_symm_adaptive_kernelIll21rocsparse_complex_numIfES2_S2_S2_EEvbT_S3_PKS3_NS_24const_host_device_scalarIT4_EES5_PKT0_PKT1_PKT2_S8_PT3_21rocsparse_index_base_b
                                        ; -- End function
	.section	.AMDGPU.csdata,"",@progbits
; Kernel info:
; codeLenInByte = 10484
; NumSgprs: 58
; NumVgprs: 36
; NumAgprs: 0
; TotalNumVgprs: 36
; ScratchSize: 0
; MemoryBound: 0
; FloatMode: 240
; IeeeMode: 1
; LDSByteSize: 8192 bytes/workgroup (compile time only)
; SGPRBlocks: 7
; VGPRBlocks: 4
; NumSGPRsForWavesPerEU: 58
; NumVGPRsForWavesPerEU: 36
; AccumOffset: 36
; Occupancy: 8
; WaveLimiterHint : 1
; COMPUTE_PGM_RSRC2:SCRATCH_EN: 0
; COMPUTE_PGM_RSRC2:USER_SGPR: 6
; COMPUTE_PGM_RSRC2:TRAP_HANDLER: 0
; COMPUTE_PGM_RSRC2:TGID_X_EN: 1
; COMPUTE_PGM_RSRC2:TGID_Y_EN: 0
; COMPUTE_PGM_RSRC2:TGID_Z_EN: 0
; COMPUTE_PGM_RSRC2:TIDIG_COMP_CNT: 0
; COMPUTE_PGM_RSRC3_GFX90A:ACCUM_OFFSET: 8
; COMPUTE_PGM_RSRC3_GFX90A:TG_SPLIT: 0
	.section	.text._ZL33csrmvn_symm_large_adaptive_kernelIll21rocsparse_complex_numIfES1_S1_S1_EvbT_PKS2_N9rocsparse24const_host_device_scalarIT4_EES4_PKT0_PKT1_PKT2_S8_PT3_21rocsparse_index_base_b,"axG",@progbits,_ZL33csrmvn_symm_large_adaptive_kernelIll21rocsparse_complex_numIfES1_S1_S1_EvbT_PKS2_N9rocsparse24const_host_device_scalarIT4_EES4_PKT0_PKT1_PKT2_S8_PT3_21rocsparse_index_base_b,comdat
	.globl	_ZL33csrmvn_symm_large_adaptive_kernelIll21rocsparse_complex_numIfES1_S1_S1_EvbT_PKS2_N9rocsparse24const_host_device_scalarIT4_EES4_PKT0_PKT1_PKT2_S8_PT3_21rocsparse_index_base_b ; -- Begin function _ZL33csrmvn_symm_large_adaptive_kernelIll21rocsparse_complex_numIfES1_S1_S1_EvbT_PKS2_N9rocsparse24const_host_device_scalarIT4_EES4_PKT0_PKT1_PKT2_S8_PT3_21rocsparse_index_base_b
	.p2align	8
	.type	_ZL33csrmvn_symm_large_adaptive_kernelIll21rocsparse_complex_numIfES1_S1_S1_EvbT_PKS2_N9rocsparse24const_host_device_scalarIT4_EES4_PKT0_PKT1_PKT2_S8_PT3_21rocsparse_index_base_b,@function
_ZL33csrmvn_symm_large_adaptive_kernelIll21rocsparse_complex_numIfES1_S1_S1_EvbT_PKS2_N9rocsparse24const_host_device_scalarIT4_EES4_PKT0_PKT1_PKT2_S8_PT3_21rocsparse_index_base_b: ; @_ZL33csrmvn_symm_large_adaptive_kernelIll21rocsparse_complex_numIfES1_S1_S1_EvbT_PKS2_N9rocsparse24const_host_device_scalarIT4_EES4_PKT0_PKT1_PKT2_S8_PT3_21rocsparse_index_base_b
; %bb.0:
	s_load_dwordx2 s[24:25], s[4:5], 0x50
	s_load_dwordx2 s[8:9], s[4:5], 0x18
	;; [unrolled: 1-line block ×3, first 2 shown]
	s_waitcnt lgkmcnt(0)
	s_bitcmp1_b32 s25, 0
	s_cselect_b64 s[0:1], -1, 0
	s_xor_b64 s[10:11], s[0:1], -1
	s_and_b64 vcc, exec, s[0:1]
	v_mov_b32_e32 v8, s8
	s_cbranch_vccnz .LBB32_2
; %bb.1:
	v_pk_mov_b32 v[2:3], s[8:9], s[8:9] op_sel:[0,1]
	flat_load_dword v8, v[2:3]
.LBB32_2:
	v_cndmask_b32_e64 v1, 0, 1, s[10:11]
	v_cmp_ne_u32_e64 s[0:1], 1, v1
	s_andn2_b64 vcc, exec, s[10:11]
	v_mov_b32_e32 v9, s9
	s_cbranch_vccz .LBB32_11
; %bb.3:
	s_and_b64 vcc, exec, s[0:1]
	v_mov_b32_e32 v1, s2
	s_cbranch_vccz .LBB32_12
.LBB32_4:
	s_and_b64 vcc, exec, s[0:1]
	v_mov_b32_e32 v2, s3
	s_cbranch_vccnz .LBB32_6
.LBB32_5:
	v_pk_mov_b32 v[2:3], s[2:3], s[2:3] op_sel:[0,1]
	flat_load_dword v2, v[2:3] offset:4
.LBB32_6:
	s_waitcnt vmcnt(0) lgkmcnt(0)
	v_cmp_eq_f32_e32 vcc, 0, v8
	v_cmp_eq_f32_e64 s[0:1], 0, v9
	s_and_b64 s[8:9], vcc, s[0:1]
	s_mov_b64 s[0:1], -1
	s_and_saveexec_b64 s[2:3], s[8:9]
; %bb.7:
	v_cmp_neq_f32_e32 vcc, 1.0, v1
	v_and_b32_e32 v1, 0x7fffffff, v2
	v_cmp_ne_u32_e64 s[0:1], 0, v1
	s_or_b64 s[0:1], vcc, s[0:1]
	s_orn2_b64 s[0:1], s[0:1], exec
; %bb.8:
	s_or_b64 exec, exec, s[2:3]
	s_and_saveexec_b64 s[2:3], s[0:1]
	s_cbranch_execz .LBB32_55
; %bb.9:
	s_load_dword s7, s[4:5], 0x0
	s_load_dwordx2 s[0:1], s[4:5], 0x10
	s_mov_b32 s2, 0
	s_mov_b32 s3, s2
	v_lshlrev_b32_e32 v10, 3, v0
	s_waitcnt lgkmcnt(0)
	s_bitcmp1_b32 s7, 0
	s_cselect_b64 s[26:27], -1, 0
	s_ashr_i32 s7, s6, 31
	s_lshl_b64 s[6:7], s[6:7], 3
	s_add_u32 s0, s0, s6
	v_pk_mov_b32 v[2:3], s[2:3], s[2:3] op_sel:[0,1]
	s_addc_u32 s1, s1, s7
	ds_write2st64_b64 v10, v[2:3], v[2:3] offset1:4
	ds_write2st64_b64 v10, v[2:3], v[2:3] offset0:8 offset1:12
	s_waitcnt lgkmcnt(0)
	s_barrier
	s_load_dwordx4 s[20:23], s[0:1], 0x0
	s_load_dwordx8 s[12:19], s[4:5], 0x20
	s_load_dwordx2 s[28:29], s[4:5], 0x48
	v_subrev_co_u32_e64 v11, s[0:1], s24, v0
	s_waitcnt lgkmcnt(0)
	v_pk_mov_b32 v[2:3], s[22:23], s[22:23] op_sel:[0,1]
	v_cmp_lt_i64_e32 vcc, s[20:21], v[2:3]
	s_mov_b32 s25, s2
	v_subb_co_u32_e64 v12, s[0:1], 0, 0, s[0:1]
	s_cbranch_vccnz .LBB32_13
; %bb.10:
	s_lshl_b64 s[0:1], s[20:21], 3
	s_add_u32 s0, s12, s0
	s_addc_u32 s1, s13, s1
	s_load_dwordx2 s[30:31], s[0:1], 0x0
	s_cbranch_execz .LBB32_14
	s_branch .LBB32_43
.LBB32_11:
	v_pk_mov_b32 v[2:3], s[8:9], s[8:9] op_sel:[0,1]
	flat_load_dword v9, v[2:3] offset:4
	s_and_b64 vcc, exec, s[0:1]
	v_mov_b32_e32 v1, s2
	s_cbranch_vccnz .LBB32_4
.LBB32_12:
	v_pk_mov_b32 v[2:3], s[2:3], s[2:3] op_sel:[0,1]
	flat_load_dword v1, v[2:3]
	s_and_b64 vcc, exec, s[0:1]
	v_mov_b32_e32 v2, s3
	s_cbranch_vccz .LBB32_5
	s_branch .LBB32_6
.LBB32_13:
                                        ; implicit-def: $sgpr30_sgpr31
.LBB32_14:
	s_lshl_b64 s[10:11], s[20:21], 3
	s_add_u32 s10, s12, s10
	s_addc_u32 s11, s13, s11
	s_waitcnt lgkmcnt(0)
	s_load_dwordx2 s[30:31], s[10:11], 0x0
	s_add_u32 s46, s12, 8
	s_addc_u32 s47, s13, 0
	s_movk_i32 s33, 0x100
	s_add_u32 s48, s16, 4
	v_cmp_gt_u32_e64 s[0:1], s33, v0
	v_cmp_gt_u32_e64 s[2:3], 64, v0
	;; [unrolled: 1-line block ×4, first 2 shown]
	v_cmp_eq_u32_e64 s[8:9], 0, v0
	s_addc_u32 s49, s17, 0
	v_mov_b32_e32 v13, s25
	v_mov_b32_e32 v14, s19
	;; [unrolled: 1-line block ×3, first 2 shown]
	s_waitcnt lgkmcnt(0)
	s_mov_b64 s[36:37], s[30:31]
	s_mov_b64 s[34:35], s[20:21]
	s_branch .LBB32_16
.LBB32_15:                              ;   in Loop: Header=BB32_16 Depth=1
	s_or_b64 exec, exec, s[10:11]
	s_add_u32 s34, s34, 1
	s_addc_u32 s35, s35, 0
	v_pk_mov_b32 v[0:1], s[22:23], s[22:23] op_sel:[0,1]
	v_cmp_ge_i64_e32 vcc, s[34:35], v[0:1]
	s_cbranch_vccnz .LBB32_43
.LBB32_16:                              ; =>This Loop Header: Depth=1
                                        ;     Child Loop BB32_18 Depth 2
                                        ;     Child Loop BB32_32 Depth 2
	;; [unrolled: 1-line block ×5, first 2 shown]
	s_lshl_b64 s[38:39], s[34:35], 3
	s_mov_b64 s[10:11], s[36:37]
	s_add_u32 s36, s46, s38
	s_addc_u32 s37, s47, s39
	s_load_dwordx2 s[36:37], s[36:37], 0x0
	v_mov_b32_e32 v1, s11
	v_add_co_u32_e32 v0, vcc, s10, v11
	v_addc_co_u32_e32 v1, vcc, v1, v12, vcc
	s_waitcnt lgkmcnt(0)
	s_sub_u32 s40, s36, s24
	s_subb_u32 s41, s37, 0
	v_cmp_gt_i64_e32 vcc, s[40:41], v[0:1]
	v_mov_b32_e32 v3, 0
	v_mov_b32_e32 v2, 0
	s_and_saveexec_b64 s[42:43], vcc
	s_cbranch_execz .LBB32_20
; %bb.17:                               ;   in Loop: Header=BB32_16 Depth=1
	v_lshlrev_b64 v[2:3], 3, v[0:1]
	v_mov_b32_e32 v5, s15
	v_add_co_u32_e32 v4, vcc, s14, v2
	v_addc_co_u32_e32 v5, vcc, v5, v3, vcc
	v_mov_b32_e32 v7, s49
	v_add_co_u32_e32 v6, vcc, s48, v2
	v_mov_b32_e32 v2, 0
	v_addc_co_u32_e32 v7, vcc, v7, v3, vcc
	s_mov_b64 s[44:45], 0
	v_mov_b32_e32 v3, v2
.LBB32_18:                              ;   Parent Loop BB32_16 Depth=1
                                        ; =>  This Inner Loop Header: Depth=2
	global_load_dwordx2 v[16:17], v[4:5], off
	global_load_dwordx2 v[18:19], v[6:7], off offset:-4
	s_waitcnt vmcnt(1)
	v_subrev_co_u32_e32 v16, vcc, s24, v16
	v_subb_co_u32_e32 v17, vcc, v17, v13, vcc
	v_lshlrev_b64 v[16:17], 3, v[16:17]
	v_add_co_u32_e32 v16, vcc, s18, v16
	v_addc_co_u32_e32 v17, vcc, v14, v17, vcc
	global_load_dwordx2 v[16:17], v[16:17], off
	v_add_co_u32_e32 v0, vcc, s33, v0
	v_addc_co_u32_e32 v1, vcc, 0, v1, vcc
	v_add_co_u32_e32 v4, vcc, 0x800, v4
	v_addc_co_u32_e32 v5, vcc, 0, v5, vcc
	s_waitcnt vmcnt(1)
	v_cndmask_b32_e64 v19, v19, -v19, s[26:27]
	v_add_co_u32_e32 v6, vcc, 0x800, v6
	v_cmp_le_i64_e64 s[10:11], s[40:41], v[0:1]
	v_mov_b32_e32 v21, v18
	v_xor_b32_e32 v20, 0x80000000, v19
	v_addc_co_u32_e32 v7, vcc, 0, v7, vcc
	s_or_b64 s[44:45], s[10:11], s[44:45]
	s_waitcnt vmcnt(0)
	v_pk_fma_f32 v[2:3], v[18:19], v[16:17], v[2:3] op_sel_hi:[1,0,1]
	v_pk_fma_f32 v[2:3], v[20:21], v[16:17], v[2:3] op_sel:[0,1,0]
	s_andn2_b64 exec, exec, s[44:45]
	s_cbranch_execnz .LBB32_18
; %bb.19:                               ;   in Loop: Header=BB32_16 Depth=1
	s_or_b64 exec, exec, s[44:45]
.LBB32_20:                              ;   in Loop: Header=BB32_16 Depth=1
	s_or_b64 exec, exec, s[42:43]
	ds_write_b64 v10, v[2:3]
	s_waitcnt lgkmcnt(0)
	s_barrier
	s_and_saveexec_b64 s[10:11], s[0:1]
	s_cbranch_execz .LBB32_22
; %bb.21:                               ;   in Loop: Header=BB32_16 Depth=1
	ds_read2st64_b64 v[0:3], v10 offset1:4
	ds_read2st64_b64 v[4:7], v10 offset0:8 offset1:12
	s_waitcnt lgkmcnt(0)
	v_pk_add_f32 v[2:3], v[4:5], v[2:3]
	v_pk_add_f32 v[2:3], v[2:3], v[6:7]
	;; [unrolled: 1-line block ×3, first 2 shown]
	ds_write_b64 v10, v[0:1]
.LBB32_22:                              ;   in Loop: Header=BB32_16 Depth=1
	s_or_b64 exec, exec, s[10:11]
	s_waitcnt lgkmcnt(0)
	s_barrier
	s_and_saveexec_b64 s[10:11], s[2:3]
	s_cbranch_execz .LBB32_24
; %bb.23:                               ;   in Loop: Header=BB32_16 Depth=1
	ds_read2st64_b64 v[0:3], v10 offset1:1
	ds_read2st64_b64 v[4:7], v10 offset0:2 offset1:3
	s_waitcnt lgkmcnt(0)
	v_pk_add_f32 v[2:3], v[4:5], v[2:3]
	v_pk_add_f32 v[2:3], v[2:3], v[6:7]
	;; [unrolled: 1-line block ×3, first 2 shown]
	ds_write_b64 v10, v[0:1]
.LBB32_24:                              ;   in Loop: Header=BB32_16 Depth=1
	s_or_b64 exec, exec, s[10:11]
	s_waitcnt lgkmcnt(0)
	s_barrier
	s_and_saveexec_b64 s[10:11], s[4:5]
	s_cbranch_execz .LBB32_26
; %bb.25:                               ;   in Loop: Header=BB32_16 Depth=1
	ds_read2_b64 v[0:3], v10 offset1:16
	ds_read2_b64 v[4:7], v10 offset0:32 offset1:48
	s_waitcnt lgkmcnt(0)
	v_pk_add_f32 v[2:3], v[4:5], v[2:3]
	v_pk_add_f32 v[2:3], v[2:3], v[6:7]
	;; [unrolled: 1-line block ×3, first 2 shown]
	ds_write_b64 v10, v[0:1]
.LBB32_26:                              ;   in Loop: Header=BB32_16 Depth=1
	s_or_b64 exec, exec, s[10:11]
	s_waitcnt lgkmcnt(0)
	s_barrier
	s_and_saveexec_b64 s[10:11], s[6:7]
	s_cbranch_execz .LBB32_28
; %bb.27:                               ;   in Loop: Header=BB32_16 Depth=1
	ds_read2_b64 v[0:3], v10 offset1:4
	ds_read2_b64 v[4:7], v10 offset0:8 offset1:12
	s_waitcnt lgkmcnt(0)
	v_pk_add_f32 v[2:3], v[4:5], v[2:3]
	v_pk_add_f32 v[2:3], v[2:3], v[6:7]
	;; [unrolled: 1-line block ×3, first 2 shown]
	ds_write_b64 v10, v[0:1]
.LBB32_28:                              ;   in Loop: Header=BB32_16 Depth=1
	s_or_b64 exec, exec, s[10:11]
	s_waitcnt lgkmcnt(0)
	s_barrier
	s_and_saveexec_b64 s[10:11], s[8:9]
	s_cbranch_execz .LBB32_30
; %bb.29:                               ;   in Loop: Header=BB32_16 Depth=1
	ds_read_b128 v[0:3], v15 offset:16
	ds_read_b64 v[4:5], v15 offset:8
	ds_read_b64 v[6:7], v10
	s_waitcnt lgkmcnt(1)
	v_pk_add_f32 v[0:1], v[0:1], v[4:5]
	v_pk_add_f32 v[0:1], v[0:1], v[2:3]
	s_waitcnt lgkmcnt(0)
	v_pk_add_f32 v[0:1], v[0:1], v[6:7]
	ds_write_b64 v10, v[0:1]
.LBB32_30:                              ;   in Loop: Header=BB32_16 Depth=1
	s_or_b64 exec, exec, s[10:11]
	s_waitcnt lgkmcnt(0)
	s_barrier
	s_and_saveexec_b64 s[10:11], s[8:9]
	s_cbranch_execz .LBB32_15
; %bb.31:                               ;   in Loop: Header=BB32_16 Depth=1
	ds_read_b64 v[0:1], v15
	s_mov_b64 s[40:41], exec
	v_bfrev_b32_e32 v4, 1
	s_waitcnt lgkmcnt(0)
	v_mul_f32_e64 v2, v1, -v9
	v_fmac_f32_e32 v2, v8, v0
.LBB32_32:                              ;   Parent Loop BB32_16 Depth=1
                                        ; =>  This Inner Loop Header: Depth=2
	s_ff1_i32_b64 s42, s[40:41]
	v_readlane_b32 s44, v2, s42
	s_lshl_b64 s[42:43], 1, s42
	s_andn2_b64 s[40:41], s[40:41], s[42:43]
	s_cmp_lg_u64 s[40:41], 0
	v_add_f32_e32 v4, s44, v4
	s_cbranch_scc1 .LBB32_32
; %bb.33:                               ;   in Loop: Header=BB32_16 Depth=1
	v_mbcnt_lo_u32_b32 v2, exec_lo, 0
	s_add_u32 s38, s28, s38
	v_mbcnt_hi_u32_b32 v2, exec_hi, v2
	s_addc_u32 s39, s29, s39
	v_cmp_eq_u32_e32 vcc, 0, v2
	s_and_saveexec_b64 s[40:41], vcc
	s_xor_b64 s[40:41], exec, s[40:41]
	s_cbranch_execz .LBB32_37
; %bb.34:                               ;   in Loop: Header=BB32_16 Depth=1
	global_load_dword v3, v15, s[38:39]
	s_mov_b64 s[42:43], 0
.LBB32_35:                              ;   Parent Loop BB32_16 Depth=1
                                        ; =>  This Inner Loop Header: Depth=2
	s_waitcnt vmcnt(0)
	v_add_f32_e32 v2, v3, v4
	global_atomic_cmpswap v2, v15, v[2:3], s[38:39] glc
	s_waitcnt vmcnt(0)
	v_cmp_eq_u32_e32 vcc, v2, v3
	s_or_b64 s[42:43], vcc, s[42:43]
	v_mov_b32_e32 v3, v2
	s_andn2_b64 exec, exec, s[42:43]
	s_cbranch_execnz .LBB32_35
; %bb.36:                               ;   in Loop: Header=BB32_16 Depth=1
	s_or_b64 exec, exec, s[42:43]
.LBB32_37:                              ;   in Loop: Header=BB32_16 Depth=1
	s_or_b64 exec, exec, s[40:41]
	v_mul_f32_e32 v1, v1, v8
	s_mov_b64 s[40:41], exec
	v_fmac_f32_e32 v1, v9, v0
	v_bfrev_b32_e32 v2, 1
.LBB32_38:                              ;   Parent Loop BB32_16 Depth=1
                                        ; =>  This Inner Loop Header: Depth=2
	s_ff1_i32_b64 s42, s[40:41]
	v_readlane_b32 s44, v1, s42
	s_lshl_b64 s[42:43], 1, s42
	s_andn2_b64 s[40:41], s[40:41], s[42:43]
	s_cmp_lg_u64 s[40:41], 0
	v_add_f32_e32 v2, s44, v2
	s_cbranch_scc1 .LBB32_38
; %bb.39:                               ;   in Loop: Header=BB32_16 Depth=1
	v_mbcnt_lo_u32_b32 v0, exec_lo, 0
	v_mbcnt_hi_u32_b32 v0, exec_hi, v0
	v_cmp_eq_u32_e32 vcc, 0, v0
	s_and_saveexec_b64 s[40:41], vcc
	s_xor_b64 s[40:41], exec, s[40:41]
	s_cbranch_execz .LBB32_15
; %bb.40:                               ;   in Loop: Header=BB32_16 Depth=1
	global_load_dword v1, v15, s[38:39] offset:4
	s_mov_b64 s[40:41], 0
.LBB32_41:                              ;   Parent Loop BB32_16 Depth=1
                                        ; =>  This Inner Loop Header: Depth=2
	s_waitcnt vmcnt(0)
	v_add_f32_e32 v0, v1, v2
	global_atomic_cmpswap v0, v15, v[0:1], s[38:39] offset:4 glc
	s_waitcnt vmcnt(0)
	v_cmp_eq_u32_e32 vcc, v0, v1
	s_or_b64 s[40:41], vcc, s[40:41]
	v_mov_b32_e32 v1, v0
	s_andn2_b64 exec, exec, s[40:41]
	s_cbranch_execnz .LBB32_41
; %bb.42:                               ;   in Loop: Header=BB32_16 Depth=1
	s_or_b64 exec, exec, s[40:41]
	s_branch .LBB32_15
.LBB32_43:
	s_lshl_b64 s[0:1], s[22:23], 3
	s_add_u32 s0, s12, s0
	s_addc_u32 s1, s13, s1
	s_load_dwordx2 s[0:1], s[0:1], 0x0
	s_waitcnt lgkmcnt(0)
	v_mov_b32_e32 v1, s31
	v_add_co_u32_e32 v0, vcc, s30, v11
	v_addc_co_u32_e32 v1, vcc, v1, v12, vcc
	s_sub_u32 s4, s0, s24
	s_subb_u32 s5, s1, 0
	v_cmp_gt_i64_e32 vcc, s[4:5], v[0:1]
	s_and_b64 exec, exec, vcc
	s_cbranch_execz .LBB32_55
; %bb.44:
	s_add_u32 s6, s22, -1
	s_addc_u32 s7, s23, -1
	s_add_u32 s0, s22, -2
	s_addc_u32 s1, s23, -1
	v_pk_mov_b32 v[2:3], s[20:21], s[20:21] op_sel:[0,1]
	s_cmp_lg_u64 s[0:1], s[20:21]
	v_cmp_gt_i64_e32 vcc, s[6:7], v[2:3]
	s_cselect_b64 s[0:1], -1, 0
	s_and_b64 s[0:1], vcc, s[0:1]
	v_cndmask_b32_e64 v2, 0, 1, s[0:1]
	s_mov_b64 s[8:9], 0
	v_cmp_ne_u32_e64 s[0:1], 1, v2
	v_mov_b32_e32 v10, s13
	v_mov_b32_e32 v11, s25
	;; [unrolled: 1-line block ×3, first 2 shown]
	s_branch .LBB32_46
.LBB32_45:                              ;   in Loop: Header=BB32_46 Depth=1
	s_or_b64 exec, exec, s[2:3]
	v_add_co_u32_e32 v0, vcc, 0x100, v0
	v_addc_co_u32_e32 v1, vcc, 0, v1, vcc
	v_cmp_le_i64_e32 vcc, s[4:5], v[0:1]
	s_or_b64 s[8:9], vcc, s[8:9]
	s_andn2_b64 exec, exec, s[8:9]
	s_cbranch_execz .LBB32_55
.LBB32_46:                              ; =>This Loop Header: Depth=1
                                        ;     Child Loop BB32_48 Depth 2
                                        ;     Child Loop BB32_52 Depth 2
	;; [unrolled: 1-line block ×3, first 2 shown]
	s_and_b64 vcc, exec, s[0:1]
	v_pk_mov_b32 v[2:3], s[20:21], s[20:21] op_sel:[0,1]
	v_pk_mov_b32 v[4:5], s[6:7], s[6:7] op_sel:[0,1]
	s_cbranch_vccnz .LBB32_50
; %bb.47:                               ;   in Loop: Header=BB32_46 Depth=1
	s_mov_b64 s[10:11], 0
	v_pk_mov_b32 v[2:3], s[20:21], s[20:21] op_sel:[0,1]
	v_pk_mov_b32 v[4:5], s[6:7], s[6:7] op_sel:[0,1]
.LBB32_48:                              ;   Parent Loop BB32_46 Depth=1
                                        ; =>  This Inner Loop Header: Depth=2
	v_add_co_u32_e32 v6, vcc, v4, v2
	v_addc_co_u32_e32 v7, vcc, v5, v3, vcc
	v_lshrrev_b32_e32 v14, 31, v7
	v_add_co_u32_e32 v6, vcc, v6, v14
	v_addc_co_u32_e32 v7, vcc, 0, v7, vcc
	v_ashrrev_i64 v[6:7], 1, v[6:7]
	v_lshlrev_b64 v[14:15], 3, v[6:7]
	v_mov_b32_e32 v13, s13
	v_add_co_u32_e32 v14, vcc, s12, v14
	v_addc_co_u32_e32 v15, vcc, v13, v15, vcc
	global_load_dwordx2 v[14:15], v[14:15], off
	v_mov_b32_e32 v13, s25
	s_waitcnt vmcnt(0)
	v_subrev_co_u32_e32 v14, vcc, s24, v14
	v_subb_co_u32_e32 v15, vcc, v15, v13, vcc
	v_cmp_gt_i64_e32 vcc, v[14:15], v[0:1]
	v_cndmask_b32_e32 v4, v4, v6, vcc
	v_cndmask_b32_e32 v5, v5, v7, vcc
	;; [unrolled: 1-line block ×3, first 2 shown]
	v_add_co_u32_e64 v6, s[2:3], -1, v4
	v_cndmask_b32_e32 v3, v7, v3, vcc
	v_addc_co_u32_e64 v7, s[2:3], -1, v5, s[2:3]
	v_cmp_ge_i64_e32 vcc, v[2:3], v[4:5]
	v_cmp_eq_u64_e64 s[2:3], v[2:3], v[6:7]
	s_or_b64 s[2:3], vcc, s[2:3]
	s_and_b64 s[2:3], exec, s[2:3]
	s_or_b64 s[10:11], s[2:3], s[10:11]
	s_andn2_b64 exec, exec, s[10:11]
	s_cbranch_execnz .LBB32_48
; %bb.49:                               ;   in Loop: Header=BB32_46 Depth=1
	s_or_b64 exec, exec, s[10:11]
.LBB32_50:                              ;   in Loop: Header=BB32_46 Depth=1
	v_lshlrev_b64 v[6:7], 3, v[4:5]
	v_add_co_u32_e32 v6, vcc, s12, v6
	v_addc_co_u32_e32 v7, vcc, v10, v7, vcc
	global_load_dwordx2 v[14:15], v[6:7], off
	v_lshlrev_b64 v[6:7], 3, v[0:1]
	v_add_co_u32_e32 v16, vcc, s14, v6
	v_addc_co_u32_e32 v17, vcc, v12, v7, vcc
	global_load_dwordx2 v[16:17], v[16:17], off
	s_waitcnt vmcnt(1)
	v_subrev_co_u32_e32 v14, vcc, s24, v14
	v_subb_co_u32_e32 v15, vcc, v15, v11, vcc
	v_cmp_gt_i64_e32 vcc, v[14:15], v[0:1]
	v_cndmask_b32_e32 v3, v5, v3, vcc
	v_cndmask_b32_e32 v2, v4, v2, vcc
	s_waitcnt vmcnt(0)
	v_subrev_co_u32_e32 v4, vcc, s24, v16
	v_subb_co_u32_e32 v5, vcc, v17, v11, vcc
	v_cmp_ne_u64_e32 vcc, v[4:5], v[2:3]
	s_and_saveexec_b64 s[2:3], vcc
	s_cbranch_execz .LBB32_45
; %bb.51:                               ;   in Loop: Header=BB32_46 Depth=1
	v_lshlrev_b64 v[14:15], 3, v[4:5]
	v_mov_b32_e32 v5, s17
	v_add_co_u32_e32 v4, vcc, s16, v6
	v_addc_co_u32_e32 v5, vcc, v5, v7, vcc
	global_load_dwordx2 v[16:17], v[4:5], off
	v_lshlrev_b64 v[2:3], 3, v[2:3]
	v_mov_b32_e32 v4, s19
	v_add_co_u32_e32 v2, vcc, s18, v2
	v_addc_co_u32_e32 v3, vcc, v4, v3, vcc
	v_mov_b32_e32 v13, s29
	global_load_dwordx2 v[4:5], v[2:3], off
	v_add_co_u32_e32 v2, vcc, s28, v14
	v_addc_co_u32_e32 v3, vcc, v13, v15, vcc
	global_load_dword v7, v[2:3], off
	s_mov_b64 s[10:11], 0
	s_waitcnt vmcnt(2)
	v_cndmask_b32_e64 v6, v17, -v17, s[26:27]
	v_mul_f32_e32 v14, v6, v8
	v_mul_f32_e64 v13, v6, -v9
	v_fmac_f32_e32 v14, v9, v16
	v_fmac_f32_e32 v13, v8, v16
	s_waitcnt vmcnt(1)
	v_mul_f32_e64 v15, v5, -v14
	v_fmac_f32_e32 v15, v13, v4
.LBB32_52:                              ;   Parent Loop BB32_46 Depth=1
                                        ; =>  This Inner Loop Header: Depth=2
	s_waitcnt vmcnt(0)
	v_add_f32_e32 v6, v7, v15
	global_atomic_cmpswap v6, v[2:3], v[6:7], off glc
	s_waitcnt vmcnt(0)
	v_cmp_eq_u32_e32 vcc, v6, v7
	s_or_b64 s[10:11], vcc, s[10:11]
	v_mov_b32_e32 v7, v6
	s_andn2_b64 exec, exec, s[10:11]
	s_cbranch_execnz .LBB32_52
; %bb.53:                               ;   in Loop: Header=BB32_46 Depth=1
	s_or_b64 exec, exec, s[10:11]
	global_load_dword v7, v[2:3], off offset:4
	v_mul_f32_e32 v5, v5, v13
	v_fmac_f32_e32 v5, v14, v4
	s_mov_b64 s[10:11], 0
.LBB32_54:                              ;   Parent Loop BB32_46 Depth=1
                                        ; =>  This Inner Loop Header: Depth=2
	s_waitcnt vmcnt(0)
	v_add_f32_e32 v6, v7, v5
	global_atomic_cmpswap v4, v[2:3], v[6:7], off offset:4 glc
	s_waitcnt vmcnt(0)
	v_cmp_eq_u32_e32 vcc, v4, v7
	s_or_b64 s[10:11], vcc, s[10:11]
	v_mov_b32_e32 v7, v4
	s_andn2_b64 exec, exec, s[10:11]
	s_cbranch_execnz .LBB32_54
	s_branch .LBB32_45
.LBB32_55:
	s_endpgm
	.section	.rodata,"a",@progbits
	.p2align	6, 0x0
	.amdhsa_kernel _ZL33csrmvn_symm_large_adaptive_kernelIll21rocsparse_complex_numIfES1_S1_S1_EvbT_PKS2_N9rocsparse24const_host_device_scalarIT4_EES4_PKT0_PKT1_PKT2_S8_PT3_21rocsparse_index_base_b
		.amdhsa_group_segment_fixed_size 8192
		.amdhsa_private_segment_fixed_size 0
		.amdhsa_kernarg_size 88
		.amdhsa_user_sgpr_count 6
		.amdhsa_user_sgpr_private_segment_buffer 1
		.amdhsa_user_sgpr_dispatch_ptr 0
		.amdhsa_user_sgpr_queue_ptr 0
		.amdhsa_user_sgpr_kernarg_segment_ptr 1
		.amdhsa_user_sgpr_dispatch_id 0
		.amdhsa_user_sgpr_flat_scratch_init 0
		.amdhsa_user_sgpr_kernarg_preload_length 0
		.amdhsa_user_sgpr_kernarg_preload_offset 0
		.amdhsa_user_sgpr_private_segment_size 0
		.amdhsa_uses_dynamic_stack 0
		.amdhsa_system_sgpr_private_segment_wavefront_offset 0
		.amdhsa_system_sgpr_workgroup_id_x 1
		.amdhsa_system_sgpr_workgroup_id_y 0
		.amdhsa_system_sgpr_workgroup_id_z 0
		.amdhsa_system_sgpr_workgroup_info 0
		.amdhsa_system_vgpr_workitem_id 0
		.amdhsa_next_free_vgpr 22
		.amdhsa_next_free_sgpr 50
		.amdhsa_accum_offset 24
		.amdhsa_reserve_vcc 1
		.amdhsa_reserve_flat_scratch 0
		.amdhsa_float_round_mode_32 0
		.amdhsa_float_round_mode_16_64 0
		.amdhsa_float_denorm_mode_32 3
		.amdhsa_float_denorm_mode_16_64 3
		.amdhsa_dx10_clamp 1
		.amdhsa_ieee_mode 1
		.amdhsa_fp16_overflow 0
		.amdhsa_tg_split 0
		.amdhsa_exception_fp_ieee_invalid_op 0
		.amdhsa_exception_fp_denorm_src 0
		.amdhsa_exception_fp_ieee_div_zero 0
		.amdhsa_exception_fp_ieee_overflow 0
		.amdhsa_exception_fp_ieee_underflow 0
		.amdhsa_exception_fp_ieee_inexact 0
		.amdhsa_exception_int_div_zero 0
	.end_amdhsa_kernel
	.section	.text._ZL33csrmvn_symm_large_adaptive_kernelIll21rocsparse_complex_numIfES1_S1_S1_EvbT_PKS2_N9rocsparse24const_host_device_scalarIT4_EES4_PKT0_PKT1_PKT2_S8_PT3_21rocsparse_index_base_b,"axG",@progbits,_ZL33csrmvn_symm_large_adaptive_kernelIll21rocsparse_complex_numIfES1_S1_S1_EvbT_PKS2_N9rocsparse24const_host_device_scalarIT4_EES4_PKT0_PKT1_PKT2_S8_PT3_21rocsparse_index_base_b,comdat
.Lfunc_end32:
	.size	_ZL33csrmvn_symm_large_adaptive_kernelIll21rocsparse_complex_numIfES1_S1_S1_EvbT_PKS2_N9rocsparse24const_host_device_scalarIT4_EES4_PKT0_PKT1_PKT2_S8_PT3_21rocsparse_index_base_b, .Lfunc_end32-_ZL33csrmvn_symm_large_adaptive_kernelIll21rocsparse_complex_numIfES1_S1_S1_EvbT_PKS2_N9rocsparse24const_host_device_scalarIT4_EES4_PKT0_PKT1_PKT2_S8_PT3_21rocsparse_index_base_b
                                        ; -- End function
	.section	.AMDGPU.csdata,"",@progbits
; Kernel info:
; codeLenInByte = 2240
; NumSgprs: 54
; NumVgprs: 22
; NumAgprs: 0
; TotalNumVgprs: 22
; ScratchSize: 0
; MemoryBound: 0
; FloatMode: 240
; IeeeMode: 1
; LDSByteSize: 8192 bytes/workgroup (compile time only)
; SGPRBlocks: 6
; VGPRBlocks: 2
; NumSGPRsForWavesPerEU: 54
; NumVGPRsForWavesPerEU: 22
; AccumOffset: 24
; Occupancy: 8
; WaveLimiterHint : 1
; COMPUTE_PGM_RSRC2:SCRATCH_EN: 0
; COMPUTE_PGM_RSRC2:USER_SGPR: 6
; COMPUTE_PGM_RSRC2:TRAP_HANDLER: 0
; COMPUTE_PGM_RSRC2:TGID_X_EN: 1
; COMPUTE_PGM_RSRC2:TGID_Y_EN: 0
; COMPUTE_PGM_RSRC2:TGID_Z_EN: 0
; COMPUTE_PGM_RSRC2:TIDIG_COMP_CNT: 0
; COMPUTE_PGM_RSRC3_GFX90A:ACCUM_OFFSET: 5
; COMPUTE_PGM_RSRC3_GFX90A:TG_SPLIT: 0
	.section	.text._ZN9rocsparseL22csrmvn_adaptive_kernelIii21rocsparse_complex_numIdES2_S2_S2_EEvbT_PKS3_PjPKT0_NS_24const_host_device_scalarIT4_EES5_S9_PKT1_PKT2_SC_PT3_21rocsparse_index_base_b,"axG",@progbits,_ZN9rocsparseL22csrmvn_adaptive_kernelIii21rocsparse_complex_numIdES2_S2_S2_EEvbT_PKS3_PjPKT0_NS_24const_host_device_scalarIT4_EES5_S9_PKT1_PKT2_SC_PT3_21rocsparse_index_base_b,comdat
	.globl	_ZN9rocsparseL22csrmvn_adaptive_kernelIii21rocsparse_complex_numIdES2_S2_S2_EEvbT_PKS3_PjPKT0_NS_24const_host_device_scalarIT4_EES5_S9_PKT1_PKT2_SC_PT3_21rocsparse_index_base_b ; -- Begin function _ZN9rocsparseL22csrmvn_adaptive_kernelIii21rocsparse_complex_numIdES2_S2_S2_EEvbT_PKS3_PjPKT0_NS_24const_host_device_scalarIT4_EES5_S9_PKT1_PKT2_SC_PT3_21rocsparse_index_base_b
	.p2align	8
	.type	_ZN9rocsparseL22csrmvn_adaptive_kernelIii21rocsparse_complex_numIdES2_S2_S2_EEvbT_PKS3_PjPKT0_NS_24const_host_device_scalarIT4_EES5_S9_PKT1_PKT2_SC_PT3_21rocsparse_index_base_b,@function
_ZN9rocsparseL22csrmvn_adaptive_kernelIii21rocsparse_complex_numIdES2_S2_S2_EEvbT_PKS3_PjPKT0_NS_24const_host_device_scalarIT4_EES5_S9_PKT1_PKT2_SC_PT3_21rocsparse_index_base_b: ; @_ZN9rocsparseL22csrmvn_adaptive_kernelIii21rocsparse_complex_numIdES2_S2_S2_EEvbT_PKS3_PjPKT0_NS_24const_host_device_scalarIT4_EES5_S9_PKT1_PKT2_SC_PT3_21rocsparse_index_base_b
; %bb.0:
	s_add_u32 flat_scratch_lo, s6, s9
	s_load_dwordx2 s[46:47], s[4:5], 0x68
	s_load_dwordx4 s[16:19], s[4:5], 0x20
	s_addc_u32 flat_scratch_hi, s7, 0
	s_add_u32 s0, s0, s9
	s_load_dwordx4 s[12:15], s[4:5], 0x50
	s_addc_u32 s1, s1, 0
	s_waitcnt lgkmcnt(0)
	s_bitcmp1_b32 s47, 0
	v_mov_b32_e32 v1, 0
	v_mov_b32_e32 v3, s16
	s_cselect_b64 s[6:7], -1, 0
	v_cndmask_b32_e64 v2, v3, v1, s[6:7]
	v_mov_b32_e32 v1, s17
	s_mov_b64 s[10:11], src_private_base
	s_and_b64 vcc, s[6:7], exec
	buffer_store_dword v1, off, s[0:3], 0 offset:4
	buffer_store_dword v3, off, s[0:3], 0
	v_mov_b32_e32 v1, s13
	s_cselect_b32 s9, s11, s17
	buffer_store_dword v1, off, s[0:3], 0 offset:12
	v_mov_b32_e32 v1, s12
	buffer_store_dword v1, off, s[0:3], 0 offset:8
	v_mov_b32_e32 v3, s9
	flat_load_dwordx2 v[14:15], v[2:3]
	s_xor_b64 s[20:21], s[6:7], -1
	v_pk_mov_b32 v[16:17], s[18:19], s[18:19] op_sel:[0,1]
	s_cbranch_vccnz .LBB33_2
; %bb.1:
	v_pk_mov_b32 v[2:3], s[16:17], s[16:17] op_sel:[0,1]
	flat_load_dwordx2 v[16:17], v[2:3] offset:8
.LBB33_2:
	s_and_b64 s[16:17], s[6:7], exec
	s_cselect_b32 s9, s11, s13
	v_mov_b32_e32 v1, 8
	v_mov_b32_e32 v2, s12
	v_cndmask_b32_e64 v2, v2, v1, s[6:7]
	v_mov_b32_e32 v3, s9
	flat_load_dwordx2 v[10:11], v[2:3]
	s_andn2_b64 vcc, exec, s[20:21]
	v_pk_mov_b32 v[12:13], s[14:15], s[14:15] op_sel:[0,1]
	s_cbranch_vccnz .LBB33_4
; %bb.3:
	v_pk_mov_b32 v[2:3], s[12:13], s[12:13] op_sel:[0,1]
	flat_load_dwordx2 v[12:13], v[2:3] offset:8
.LBB33_4:
	s_waitcnt vmcnt(0) lgkmcnt(0)
	v_cmp_eq_f64_e32 vcc, 0, v[14:15]
	v_cmp_eq_f64_e64 s[6:7], 0, v[16:17]
	s_and_b64 s[12:13], vcc, s[6:7]
	s_mov_b64 s[6:7], -1
	s_and_saveexec_b64 s[10:11], s[12:13]
; %bb.5:
	v_cmp_neq_f64_e32 vcc, 1.0, v[10:11]
	v_cmp_neq_f64_e64 s[6:7], 0, v[12:13]
	s_or_b64 s[6:7], vcc, s[6:7]
	s_orn2_b64 s[6:7], s[6:7], exec
; %bb.6:
	s_or_b64 exec, exec, s[10:11]
	s_and_saveexec_b64 s[10:11], s[6:7]
	s_cbranch_execz .LBB33_121
; %bb.7:
	s_load_dwordx4 s[28:31], s[4:5], 0x0
	s_load_dwordx2 s[10:11], s[4:5], 0x18
	s_waitcnt lgkmcnt(0)
	s_bitcmp1_b32 s28, 0
	s_cselect_b64 s[6:7], -1, 0
	s_ashr_i32 s9, s8, 31
	s_lshl_b64 s[50:51], s[8:9], 2
	s_add_u32 s12, s30, s50
	s_addc_u32 s13, s31, s51
	s_load_dwordx2 s[34:35], s[12:13], 0x0
	s_load_dwordx2 s[30:31], s[4:5], 0x60
	s_load_dwordx8 s[36:43], s[4:5], 0x30
	s_waitcnt lgkmcnt(0)
	s_sub_i32 s9, s35, s34
	s_add_u32 s10, s10, s50
	s_mov_b32 s48, s34
	s_addc_u32 s11, s11, s51
	s_ashr_i32 s49, s34, 31
	s_load_dword s28, s[10:11], 0x0
	s_lshl_b64 s[10:11], s[48:49], 2
	s_add_u32 s44, s36, s10
	s_addc_u32 s45, s37, s11
	s_load_dword s33, s[44:45], 0x0
	s_cmp_lt_i32 s9, 2
	s_mov_b64 s[10:11], -1
	s_cbranch_scc0 .LBB33_77
; %bb.8:
	s_cmp_lg_u32 s9, 1
	s_cselect_b64 s[10:11], -1, 0
	s_waitcnt lgkmcnt(0)
	s_cmp_lg_u32 s28, 0
	s_cselect_b64 s[12:13], -1, 0
	s_or_b64 s[12:13], s[10:11], s[12:13]
	s_mov_b64 s[10:11], -1
	s_and_b64 vcc, exec, s[12:13]
	s_cbranch_vccnz .LBB33_37
; %bb.9:
	s_cmp_le_i32 s35, s34
	s_cbranch_scc1 .LBB33_36
; %bb.10:
	v_cmp_neq_f64_e32 vcc, 0, v[10:11]
	v_cmp_neq_f64_e64 s[26:27], 0, v[12:13]
	s_movk_i32 s9, 0x80
	s_or_b64 s[52:53], vcc, s[26:27]
	v_cmp_gt_u32_e64 s[10:11], s9, v0
	s_add_u32 s9, s36, 4
	s_addc_u32 s47, s37, 0
	s_add_u32 s60, s40, 8
	v_subrev_u32_e32 v1, s46, v0
	v_lshlrev_b32_e32 v20, 4, v0
	v_cmp_gt_u32_e64 s[12:13], 64, v0
	v_cmp_gt_u32_e64 s[14:15], 32, v0
	;; [unrolled: 1-line block ×6, first 2 shown]
	v_cmp_eq_u32_e64 s[24:25], 0, v0
	s_addc_u32 s61, s41, 0
	v_mov_b32_e32 v21, s43
	v_mov_b32_e32 v22, 0
	s_mov_b32 s62, s33
	s_mov_b32 s54, s34
	s_branch .LBB33_13
.LBB33_11:                              ;   in Loop: Header=BB33_13 Depth=1
	s_or_b64 exec, exec, s[56:57]
	s_lshl_b64 s[56:57], s[54:55], 4
	s_add_u32 s56, s30, s56
	s_addc_u32 s57, s31, s57
	s_waitcnt lgkmcnt(0)
	global_store_dwordx4 v22, v[2:5], s[56:57]
.LBB33_12:                              ;   in Loop: Header=BB33_13 Depth=1
	s_or_b64 exec, exec, s[26:27]
	s_add_i32 s54, s54, 1
	s_cmp_ge_i32 s54, s35
	s_cbranch_scc1 .LBB33_36
.LBB33_13:                              ; =>This Loop Header: Depth=1
                                        ;     Child Loop BB33_15 Depth 2
	s_ashr_i32 s55, s54, 31
	s_lshl_b64 s[26:27], s[54:55], 2
	s_add_u32 s26, s9, s26
	s_addc_u32 s27, s47, s27
	s_mov_b32 s56, s62
	s_load_dword s62, s[26:27], 0x0
	v_pk_mov_b32 v[4:5], 0, 0
	v_add_u32_e32 v6, s56, v1
	v_pk_mov_b32 v[2:3], v[4:5], v[4:5] op_sel:[0,1]
	s_waitcnt lgkmcnt(0)
	s_sub_i32 s63, s62, s46
	v_cmp_gt_i32_e32 vcc, s63, v6
	s_and_saveexec_b64 s[56:57], vcc
	s_cbranch_execz .LBB33_17
; %bb.14:                               ;   in Loop: Header=BB33_13 Depth=1
	v_ashrrev_i32_e32 v7, 31, v6
	v_lshlrev_b64 v[2:3], 4, v[6:7]
	v_mov_b32_e32 v4, s61
	v_add_co_u32_e32 v8, vcc, s60, v2
	v_addc_co_u32_e32 v9, vcc, v4, v3, vcc
	v_lshlrev_b64 v[2:3], 2, v[6:7]
	v_mov_b32_e32 v4, s39
	v_add_co_u32_e32 v18, vcc, s38, v2
	v_addc_co_u32_e32 v19, vcc, v4, v3, vcc
	v_pk_mov_b32 v[4:5], 0, 0
	s_mov_b64 s[58:59], 0
	v_pk_mov_b32 v[2:3], v[4:5], v[4:5] op_sel:[0,1]
.LBB33_15:                              ;   Parent Loop BB33_13 Depth=1
                                        ; =>  This Inner Loop Header: Depth=2
	global_load_dword v7, v[18:19], off
	global_load_dwordx4 v[24:27], v[8:9], off offset:-8
	v_add_u32_e32 v6, 0x100, v6
	v_cmp_le_i32_e64 s[26:27], s63, v6
	s_or_b64 s[58:59], s[26:27], s[58:59]
	s_waitcnt vmcnt(1)
	v_subrev_u32_e32 v28, s46, v7
	v_ashrrev_i32_e32 v29, 31, v28
	v_lshlrev_b64 v[28:29], 4, v[28:29]
	v_add_co_u32_e32 v28, vcc, s42, v28
	v_addc_co_u32_e32 v29, vcc, v21, v29, vcc
	global_load_dwordx4 v[28:31], v[28:29], off
	s_waitcnt vmcnt(1)
	v_xor_b32_e32 v7, 0x80000000, v27
	v_cndmask_b32_e64 v27, v27, v7, s[6:7]
	v_add_co_u32_e32 v8, vcc, 0x1000, v8
	v_mul_f64 v[32:33], v[26:27], -v[16:17]
	v_mul_f64 v[26:27], v[14:15], v[26:27]
	v_addc_co_u32_e32 v9, vcc, 0, v9, vcc
	v_fmac_f64_e32 v[32:33], v[14:15], v[24:25]
	v_fmac_f64_e32 v[26:27], v[16:17], v[24:25]
	v_add_co_u32_e32 v18, vcc, 0x400, v18
	v_addc_co_u32_e32 v19, vcc, 0, v19, vcc
	s_waitcnt vmcnt(0)
	v_fmac_f64_e32 v[2:3], v[32:33], v[28:29]
	v_fmac_f64_e32 v[4:5], v[26:27], v[28:29]
	v_fma_f64 v[2:3], -v[26:27], v[30:31], v[2:3]
	v_fmac_f64_e32 v[4:5], v[32:33], v[30:31]
	s_andn2_b64 exec, exec, s[58:59]
	s_cbranch_execnz .LBB33_15
; %bb.16:                               ;   in Loop: Header=BB33_13 Depth=1
	s_or_b64 exec, exec, s[58:59]
.LBB33_17:                              ;   in Loop: Header=BB33_13 Depth=1
	s_or_b64 exec, exec, s[56:57]
	ds_write_b128 v20, v[2:5]
	s_waitcnt lgkmcnt(0)
	s_barrier
	s_and_saveexec_b64 s[26:27], s[10:11]
	s_cbranch_execz .LBB33_19
; %bb.18:                               ;   in Loop: Header=BB33_13 Depth=1
	ds_read_b128 v[2:5], v20 offset:2048
	ds_read_b128 v[6:9], v20
	s_waitcnt lgkmcnt(0)
	v_add_f64 v[2:3], v[2:3], v[6:7]
	v_add_f64 v[4:5], v[4:5], v[8:9]
	ds_write_b128 v20, v[2:5]
.LBB33_19:                              ;   in Loop: Header=BB33_13 Depth=1
	s_or_b64 exec, exec, s[26:27]
	s_waitcnt lgkmcnt(0)
	s_barrier
	s_and_saveexec_b64 s[26:27], s[12:13]
	s_cbranch_execz .LBB33_21
; %bb.20:                               ;   in Loop: Header=BB33_13 Depth=1
	ds_read_b128 v[2:5], v20 offset:1024
	ds_read_b128 v[6:9], v20
	s_waitcnt lgkmcnt(0)
	v_add_f64 v[2:3], v[2:3], v[6:7]
	v_add_f64 v[4:5], v[4:5], v[8:9]
	ds_write_b128 v20, v[2:5]
.LBB33_21:                              ;   in Loop: Header=BB33_13 Depth=1
	s_or_b64 exec, exec, s[26:27]
	;; [unrolled: 13-line block ×6, first 2 shown]
	s_waitcnt lgkmcnt(0)
	s_barrier
	s_and_saveexec_b64 s[26:27], s[22:23]
	s_cbranch_execz .LBB33_31
; %bb.30:                               ;   in Loop: Header=BB33_13 Depth=1
	ds_read_b128 v[2:5], v20
	ds_read_b128 v[6:9], v20 offset:32
	s_waitcnt lgkmcnt(0)
	v_add_f64 v[2:3], v[6:7], v[2:3]
	v_add_f64 v[4:5], v[8:9], v[4:5]
	ds_write_b128 v20, v[2:5]
.LBB33_31:                              ;   in Loop: Header=BB33_13 Depth=1
	s_or_b64 exec, exec, s[26:27]
	s_waitcnt lgkmcnt(0)
	s_barrier
	s_and_saveexec_b64 s[26:27], s[24:25]
	s_cbranch_execz .LBB33_33
; %bb.32:                               ;   in Loop: Header=BB33_13 Depth=1
	ds_read_b128 v[2:5], v22
	ds_read_b128 v[6:9], v22 offset:16
	s_waitcnt lgkmcnt(0)
	v_add_f64 v[2:3], v[6:7], v[2:3]
	v_add_f64 v[4:5], v[8:9], v[4:5]
	ds_write_b128 v22, v[2:5]
.LBB33_33:                              ;   in Loop: Header=BB33_13 Depth=1
	s_or_b64 exec, exec, s[26:27]
	s_waitcnt lgkmcnt(0)
	s_barrier
	s_and_saveexec_b64 s[26:27], s[24:25]
	s_cbranch_execz .LBB33_12
; %bb.34:                               ;   in Loop: Header=BB33_13 Depth=1
	ds_read_b128 v[2:5], v22
	s_and_saveexec_b64 s[56:57], s[52:53]
	s_cbranch_execz .LBB33_11
; %bb.35:                               ;   in Loop: Header=BB33_13 Depth=1
	s_lshl_b64 s[58:59], s[54:55], 4
	s_add_u32 s58, s30, s58
	s_addc_u32 s59, s31, s59
	global_load_dwordx4 v[6:9], v22, s[58:59]
	s_waitcnt vmcnt(0) lgkmcnt(0)
	v_fmac_f64_e32 v[2:3], v[10:11], v[6:7]
	v_fmac_f64_e32 v[4:5], v[12:13], v[6:7]
	v_fma_f64 v[2:3], -v[12:13], v[8:9], v[2:3]
	v_fmac_f64_e32 v[4:5], v[10:11], v[8:9]
	s_branch .LBB33_11
.LBB33_36:
	s_mov_b64 s[10:11], 0
.LBB33_37:
	s_andn2_b64 vcc, exec, s[10:11]
	s_cbranch_vccnz .LBB33_76
; %bb.38:
	s_load_dwordx2 s[10:11], s[4:5], 0x10
	s_sub_i32 s12, s8, s28
	v_or_b32_e32 v1, s28, v0
	v_pk_mov_b32 v[2:3], 0, 0
	v_cmp_eq_u32_e32 vcc, 0, v1
	s_waitcnt lgkmcnt(0)
	s_add_u32 s8, s10, s50
	s_addc_u32 s9, s11, s51
	s_load_dword s18, s[8:9], 0x0
	v_pk_mov_b32 v[4:5], v[2:3], v[2:3] op_sel:[0,1]
	s_and_saveexec_b64 s[4:5], vcc
	s_cbranch_execz .LBB33_42
; %bb.39:
	s_lshl_b64 s[16:17], s[48:49], 4
	s_add_u32 s16, s30, s16
	s_addc_u32 s17, s31, s17
	v_mov_b32_e32 v1, 0
	global_load_dwordx4 v[6:9], v1, s[16:17]
	s_mov_b64 s[14:15], exec
	v_mbcnt_lo_u32_b32 v2, s14, 0
	v_add_f64 v[18:19], v[10:11], -1.0
	v_mbcnt_hi_u32_b32 v20, s15, v2
	v_cmp_eq_u32_e32 vcc, 0, v20
	s_waitcnt vmcnt(0) expcnt(0) lgkmcnt(0)
	v_mul_f64 v[2:3], v[8:9], -v[12:13]
	v_mul_f64 v[4:5], v[18:19], v[8:9]
	s_and_saveexec_b64 s[16:17], vcc
	s_cbranch_execz .LBB33_41
; %bb.40:
	s_ashr_i32 s13, s12, 31
	s_lshl_b64 s[20:21], s[12:13], 2
	s_add_u32 s20, s10, s20
	s_addc_u32 s21, s11, s21
	s_bcnt1_i32_b64 s13, s[14:15]
	s_and_b32 s13, s13, 1
	v_mov_b32_e32 v8, s13
	global_atomic_xor v1, v8, s[20:21]
.LBB33_41:
	s_or_b64 exec, exec, s[16:17]
	v_fmac_f64_e32 v[2:3], v[18:19], v[6:7]
	v_fmac_f64_e32 v[4:5], v[12:13], v[6:7]
.LBB33_42:
	s_or_b64 exec, exec, s[4:5]
	s_load_dword s5, s[44:45], 0x4
	s_mul_i32 s4, s28, 0xc00
	s_sub_i32 s13, s33, s46
	s_add_i32 s4, s13, s4
	v_add_u32_e32 v6, s4, v0
	s_waitcnt lgkmcnt(0)
	s_sub_i32 s5, s5, s46
	v_cmp_gt_i32_e32 vcc, s5, v6
	s_and_saveexec_b64 s[14:15], vcc
	s_cbranch_execz .LBB33_46
; %bb.43:
	v_ashrrev_i32_e32 v7, 31, v6
	v_lshlrev_b64 v[8:9], 4, v[6:7]
	v_mov_b32_e32 v1, s41
	v_add_co_u32_e32 v8, vcc, s40, v8
	v_addc_co_u32_e32 v1, vcc, v9, v1, vcc
	v_add_co_u32_e32 v8, vcc, 8, v8
	v_addc_co_u32_e32 v9, vcc, 0, v1, vcc
	v_lshlrev_b64 v[18:19], 2, v[6:7]
	s_addk_i32 s4, 0xc00
	v_mov_b32_e32 v1, s39
	v_add_co_u32_e32 v18, vcc, s38, v18
	s_min_i32 s13, s4, s5
	v_addc_co_u32_e32 v19, vcc, v1, v19, vcc
	s_mov_b64 s[16:17], 0
	v_mov_b32_e32 v1, s43
.LBB33_44:                              ; =>This Inner Loop Header: Depth=1
	global_load_dword v7, v[18:19], off
	global_load_dwordx4 v[20:23], v[8:9], off offset:-8
	v_add_u32_e32 v6, 0x100, v6
	v_cmp_le_i32_e64 s[4:5], s13, v6
	s_or_b64 s[16:17], s[4:5], s[16:17]
	s_waitcnt vmcnt(1)
	v_subrev_u32_e32 v24, s46, v7
	v_ashrrev_i32_e32 v25, 31, v24
	v_lshlrev_b64 v[24:25], 4, v[24:25]
	v_add_co_u32_e32 v24, vcc, s42, v24
	v_addc_co_u32_e32 v25, vcc, v1, v25, vcc
	global_load_dwordx4 v[24:27], v[24:25], off
	s_waitcnt vmcnt(1)
	v_xor_b32_e32 v7, 0x80000000, v23
	v_cndmask_b32_e64 v23, v23, v7, s[6:7]
	v_add_co_u32_e32 v8, vcc, 0x1000, v8
	v_mul_f64 v[28:29], v[22:23], -v[16:17]
	v_mul_f64 v[22:23], v[14:15], v[22:23]
	v_addc_co_u32_e32 v9, vcc, 0, v9, vcc
	v_fmac_f64_e32 v[28:29], v[14:15], v[20:21]
	v_fmac_f64_e32 v[22:23], v[16:17], v[20:21]
	v_add_co_u32_e32 v18, vcc, 0x400, v18
	v_addc_co_u32_e32 v19, vcc, 0, v19, vcc
	s_waitcnt vmcnt(0)
	v_fmac_f64_e32 v[2:3], v[28:29], v[24:25]
	v_fmac_f64_e32 v[4:5], v[22:23], v[24:25]
	v_fma_f64 v[2:3], -v[22:23], v[26:27], v[2:3]
	v_fmac_f64_e32 v[4:5], v[28:29], v[26:27]
	s_andn2_b64 exec, exec, s[16:17]
	s_cbranch_execnz .LBB33_44
; %bb.45:
	s_or_b64 exec, exec, s[16:17]
.LBB33_46:
	s_or_b64 exec, exec, s[14:15]
	s_movk_i32 s4, 0x80
	v_lshlrev_b32_e32 v1, 4, v0
	v_cmp_gt_u32_e32 vcc, s4, v0
	ds_write_b128 v1, v[2:5]
	s_waitcnt lgkmcnt(0)
	s_barrier
	s_and_saveexec_b64 s[4:5], vcc
	s_cbranch_execz .LBB33_48
; %bb.47:
	ds_read_b128 v[2:5], v1 offset:2048
	ds_read_b128 v[6:9], v1
	s_waitcnt lgkmcnt(0)
	v_add_f64 v[2:3], v[2:3], v[6:7]
	v_add_f64 v[4:5], v[4:5], v[8:9]
	ds_write_b128 v1, v[2:5]
.LBB33_48:
	s_or_b64 exec, exec, s[4:5]
	v_cmp_gt_u32_e32 vcc, 64, v0
	s_waitcnt lgkmcnt(0)
	s_barrier
	s_and_saveexec_b64 s[4:5], vcc
	s_cbranch_execz .LBB33_50
; %bb.49:
	ds_read_b128 v[2:5], v1 offset:1024
	ds_read_b128 v[6:9], v1
	s_waitcnt lgkmcnt(0)
	v_add_f64 v[2:3], v[2:3], v[6:7]
	v_add_f64 v[4:5], v[4:5], v[8:9]
	ds_write_b128 v1, v[2:5]
.LBB33_50:
	s_or_b64 exec, exec, s[4:5]
	v_cmp_gt_u32_e32 vcc, 32, v0
	s_waitcnt lgkmcnt(0)
	s_barrier
	s_and_saveexec_b64 s[4:5], vcc
	s_cbranch_execz .LBB33_52
; %bb.51:
	ds_read_b128 v[2:5], v1 offset:512
	ds_read_b128 v[6:9], v1
	s_waitcnt lgkmcnt(0)
	v_add_f64 v[2:3], v[2:3], v[6:7]
	v_add_f64 v[4:5], v[4:5], v[8:9]
	ds_write_b128 v1, v[2:5]
.LBB33_52:
	s_or_b64 exec, exec, s[4:5]
	v_cmp_gt_u32_e32 vcc, 16, v0
	s_waitcnt lgkmcnt(0)
	s_barrier
	s_and_saveexec_b64 s[4:5], vcc
	s_cbranch_execz .LBB33_54
; %bb.53:
	ds_read_b128 v[2:5], v1 offset:256
	ds_read_b128 v[6:9], v1
	s_waitcnt lgkmcnt(0)
	v_add_f64 v[2:3], v[2:3], v[6:7]
	v_add_f64 v[4:5], v[4:5], v[8:9]
	ds_write_b128 v1, v[2:5]
.LBB33_54:
	s_or_b64 exec, exec, s[4:5]
	v_cmp_gt_u32_e32 vcc, 8, v0
	s_waitcnt lgkmcnt(0)
	s_barrier
	s_and_saveexec_b64 s[4:5], vcc
	s_cbranch_execz .LBB33_56
; %bb.55:
	ds_read_b128 v[2:5], v1 offset:128
	ds_read_b128 v[6:9], v1
	s_waitcnt lgkmcnt(0)
	v_add_f64 v[2:3], v[2:3], v[6:7]
	v_add_f64 v[4:5], v[4:5], v[8:9]
	ds_write_b128 v1, v[2:5]
.LBB33_56:
	s_or_b64 exec, exec, s[4:5]
	v_cmp_gt_u32_e32 vcc, 4, v0
	s_waitcnt lgkmcnt(0)
	s_barrier
	s_and_saveexec_b64 s[4:5], vcc
	s_cbranch_execz .LBB33_58
; %bb.57:
	ds_read_b128 v[2:5], v1 offset:64
	ds_read_b128 v[6:9], v1
	s_waitcnt lgkmcnt(0)
	v_add_f64 v[2:3], v[2:3], v[6:7]
	v_add_f64 v[4:5], v[4:5], v[8:9]
	ds_write_b128 v1, v[2:5]
.LBB33_58:
	s_or_b64 exec, exec, s[4:5]
	v_cmp_gt_u32_e32 vcc, 2, v0
	s_waitcnt lgkmcnt(0)
	s_barrier
	s_and_saveexec_b64 s[4:5], vcc
	s_cbranch_execz .LBB33_60
; %bb.59:
	ds_read_b128 v[2:5], v1
	ds_read_b128 v[6:9], v1 offset:32
	s_waitcnt lgkmcnt(0)
	v_add_f64 v[2:3], v[6:7], v[2:3]
	v_add_f64 v[4:5], v[8:9], v[4:5]
	ds_write_b128 v1, v[2:5]
.LBB33_60:
	s_or_b64 exec, exec, s[4:5]
	v_cmp_eq_u32_e32 vcc, 0, v0
	s_waitcnt lgkmcnt(0)
	s_barrier
	s_and_saveexec_b64 s[4:5], vcc
	s_cbranch_execz .LBB33_62
; %bb.61:
	v_mov_b32_e32 v1, 0
	ds_read_b128 v[2:5], v1
	ds_read_b128 v[6:9], v1 offset:16
	s_waitcnt lgkmcnt(0)
	v_add_f64 v[2:3], v[6:7], v[2:3]
	v_add_f64 v[4:5], v[8:9], v[4:5]
	ds_write_b128 v1, v[2:5]
.LBB33_62:
	s_or_b64 exec, exec, s[4:5]
	s_waitcnt lgkmcnt(0)
	s_barrier
	s_and_saveexec_b64 s[4:5], vcc
	s_cbranch_execz .LBB33_75
; %bb.63:
	s_cmp_eq_u32 s28, 0
	s_cbranch_scc1 .LBB33_69
; %bb.64:
	s_ashr_i32 s13, s12, 31
	s_lshl_b64 s[12:13], s[12:13], 2
	s_add_u32 s10, s10, s12
	s_addc_u32 s11, s11, s13
	v_mov_b32_e32 v1, 0
	s_branch .LBB33_66
.LBB33_65:                              ;   in Loop: Header=BB33_66 Depth=1
	s_or_b64 exec, exec, s[12:13]
	s_waitcnt vmcnt(0)
	v_readfirstlane_b32 s12, v2
	s_cmp_eq_u32 s12, s18
	s_cbranch_scc0 .LBB33_68
.LBB33_66:                              ; =>This Inner Loop Header: Depth=1
	v_mbcnt_lo_u32_b32 v2, exec_lo, 0
	v_mbcnt_hi_u32_b32 v2, exec_hi, v2
	v_cmp_eq_u32_e32 vcc, 0, v2
                                        ; implicit-def: $vgpr2
	s_and_saveexec_b64 s[12:13], vcc
	s_cbranch_execz .LBB33_65
; %bb.67:                               ;   in Loop: Header=BB33_66 Depth=1
	global_load_dword v2, v1, s[10:11] glc
	s_branch .LBB33_65
.LBB33_68:
	v_mov_b32_e32 v1, 0
	global_load_dword v2, v1, s[8:9]
	s_waitcnt vmcnt(0)
	v_xor_b32_e32 v2, 1, v2
	global_store_dword v1, v2, s[8:9]
.LBB33_69:
	v_mov_b32_e32 v1, 0
	ds_read_b128 v[2:5], v1
	s_mov_b64 s[12:13], exec
	s_lshl_b64 s[8:9], s[48:49], 4
	v_mbcnt_lo_u32_b32 v6, s12, 0
	s_add_u32 s8, s30, s8
	v_mbcnt_hi_u32_b32 v6, s13, v6
	s_addc_u32 s9, s31, s9
	v_cmp_eq_u32_e32 vcc, 0, v6
	s_and_saveexec_b64 s[10:11], vcc
	s_cbranch_execz .LBB33_72
; %bb.70:
	global_load_dwordx2 v[8:9], v1, s[8:9]
	s_bcnt1_i32_b64 s12, s[12:13]
	v_cvt_f64_u32_e32 v[6:7], s12
	s_waitcnt lgkmcnt(0)
	v_mul_f64 v[2:3], v[2:3], v[6:7]
	s_mov_b64 s[12:13], 0
.LBB33_71:                              ; =>This Inner Loop Header: Depth=1
	s_waitcnt vmcnt(0)
	v_add_f64 v[6:7], v[8:9], v[2:3]
	global_atomic_cmpswap_x2 v[6:7], v1, v[6:9], s[8:9] glc
	s_waitcnt vmcnt(0)
	v_cmp_eq_u64_e32 vcc, v[6:7], v[8:9]
	s_or_b64 s[12:13], vcc, s[12:13]
	v_pk_mov_b32 v[8:9], v[6:7], v[6:7] op_sel:[0,1]
	s_andn2_b64 exec, exec, s[12:13]
	s_cbranch_execnz .LBB33_71
.LBB33_72:
	s_or_b64 exec, exec, s[10:11]
	s_mov_b64 s[10:11], exec
	v_mbcnt_lo_u32_b32 v1, s10, 0
	v_mbcnt_hi_u32_b32 v1, s11, v1
	v_cmp_eq_u32_e32 vcc, 0, v1
	s_and_b64 s[12:13], exec, vcc
	s_mov_b64 exec, s[12:13]
	s_cbranch_execz .LBB33_75
; %bb.73:
	v_mov_b32_e32 v1, 0
	global_load_dwordx2 v[6:7], v1, s[8:9] offset:8
	s_bcnt1_i32_b64 s10, s[10:11]
	s_waitcnt lgkmcnt(0)
	v_cvt_f64_u32_e32 v[2:3], s10
	v_mul_f64 v[2:3], v[4:5], v[2:3]
	s_mov_b64 s[10:11], 0
.LBB33_74:                              ; =>This Inner Loop Header: Depth=1
	s_waitcnt vmcnt(0)
	v_add_f64 v[4:5], v[6:7], v[2:3]
	global_atomic_cmpswap_x2 v[4:5], v1, v[4:7], s[8:9] offset:8 glc
	s_waitcnt vmcnt(0)
	v_cmp_eq_u64_e32 vcc, v[4:5], v[6:7]
	s_or_b64 s[10:11], vcc, s[10:11]
	v_pk_mov_b32 v[6:7], v[4:5], v[4:5] op_sel:[0,1]
	s_andn2_b64 exec, exec, s[10:11]
	s_cbranch_execnz .LBB33_74
.LBB33_75:
	s_or_b64 exec, exec, s[4:5]
.LBB33_76:
	s_mov_b64 s[10:11], 0
.LBB33_77:
	s_andn2_b64 vcc, exec, s[10:11]
	s_cbranch_vccnz .LBB33_121
; %bb.78:
	v_subrev_u32_e32 v1, s46, v0
	s_waitcnt lgkmcnt(0)
	v_add_u32_e32 v2, s33, v1
	v_add_u32_e32 v1, 0x300, v2
	v_cmp_le_i32_e32 vcc, s29, v1
	s_and_saveexec_b64 s[4:5], vcc
	s_xor_b64 s[4:5], exec, s[4:5]
	s_cbranch_execz .LBB33_83
; %bb.79:
	s_ashr_i32 s9, s35, 31
	s_mov_b32 s8, s35
	s_lshl_b64 s[8:9], s[8:9], 2
	s_add_u32 s8, s36, s8
	s_addc_u32 s9, s37, s9
	s_load_dword s8, s[8:9], 0x0
	s_waitcnt lgkmcnt(0)
	s_sub_i32 s12, s8, s46
	v_cmp_gt_i32_e32 vcc, s12, v2
	s_and_saveexec_b64 s[8:9], vcc
	s_cbranch_execz .LBB33_82
; %bb.80:
	v_lshlrev_b32_e32 v1, 4, v0
	s_mov_b64 s[10:11], 0
	v_mov_b32_e32 v4, s41
	v_mov_b32_e32 v5, s39
	;; [unrolled: 1-line block ×3, first 2 shown]
.LBB33_81:                              ; =>This Inner Loop Header: Depth=1
	v_ashrrev_i32_e32 v3, 31, v2
	v_lshlrev_b64 v[8:9], 2, v[2:3]
	v_add_co_u32_e32 v8, vcc, s38, v8
	v_addc_co_u32_e32 v9, vcc, v5, v9, vcc
	global_load_dword v7, v[8:9], off
	v_lshlrev_b64 v[8:9], 4, v[2:3]
	v_add_co_u32_e32 v8, vcc, s40, v8
	v_addc_co_u32_e32 v9, vcc, v4, v9, vcc
	global_load_dwordx4 v[18:21], v[8:9], off
	v_add_u32_e32 v2, 0x100, v2
	s_waitcnt vmcnt(1)
	v_subrev_u32_e32 v8, s46, v7
	v_ashrrev_i32_e32 v9, 31, v8
	v_lshlrev_b64 v[8:9], 4, v[8:9]
	v_add_co_u32_e32 v8, vcc, s42, v8
	v_addc_co_u32_e32 v9, vcc, v6, v9, vcc
	global_load_dwordx4 v[22:25], v[8:9], off
	s_waitcnt vmcnt(1)
	v_xor_b32_e32 v3, 0x80000000, v21
	v_cndmask_b32_e64 v21, v21, v3, s[6:7]
	v_mul_f64 v[8:9], v[20:21], -v[16:17]
	v_mul_f64 v[26:27], v[14:15], v[20:21]
	v_fmac_f64_e32 v[8:9], v[14:15], v[18:19]
	v_fmac_f64_e32 v[26:27], v[16:17], v[18:19]
	v_cmp_le_i32_e32 vcc, s12, v2
	s_or_b64 s[10:11], vcc, s[10:11]
	s_waitcnt vmcnt(0)
	v_mul_f64 v[18:19], v[24:25], -v[26:27]
	v_mul_f64 v[20:21], v[8:9], v[24:25]
	v_fmac_f64_e32 v[18:19], v[8:9], v[22:23]
	v_fmac_f64_e32 v[20:21], v[26:27], v[22:23]
	ds_write_b128 v1, v[18:21]
	v_add_u32_e32 v1, 0x1000, v1
	s_andn2_b64 exec, exec, s[10:11]
	s_cbranch_execnz .LBB33_81
.LBB33_82:
	s_or_b64 exec, exec, s[8:9]
                                        ; implicit-def: $vgpr2
                                        ; implicit-def: $vgpr16_vgpr17
                                        ; implicit-def: $vgpr14_vgpr15
.LBB33_83:
	s_or_saveexec_b64 s[4:5], s[4:5]
	v_lshlrev_b32_e32 v18, 4, v0
	s_xor_b64 exec, exec, s[4:5]
	s_cbranch_execz .LBB33_85
; %bb.84:
	v_ashrrev_i32_e32 v3, 31, v2
	v_lshlrev_b64 v[4:5], 2, v[2:3]
	v_mov_b32_e32 v1, s39
	v_add_co_u32_e32 v4, vcc, s38, v4
	v_addc_co_u32_e32 v5, vcc, v1, v5, vcc
	global_load_dword v1, v[4:5], off
	global_load_dword v19, v[4:5], off offset:1024
	global_load_dword v32, v[4:5], off offset:2048
	;; [unrolled: 1-line block ×3, first 2 shown]
	v_lshlrev_b64 v[2:3], 4, v[2:3]
	v_mov_b32_e32 v4, s41
	v_add_co_u32_e32 v6, vcc, s40, v2
	s_movk_i32 s8, 0x2000
	v_addc_co_u32_e32 v7, vcc, v4, v3, vcc
	v_add_co_u32_e32 v28, vcc, s8, v6
	s_movk_i32 s9, 0x3000
	v_addc_co_u32_e32 v29, vcc, 0, v7, vcc
	v_add_co_u32_e32 v30, vcc, s9, v6
	global_load_dwordx4 v[2:5], v[6:7], off
	v_addc_co_u32_e32 v31, vcc, 0, v7, vcc
	global_load_dwordx4 v[6:9], v[28:29], off offset:-4096
	global_load_dwordx4 v[20:23], v[28:29], off
	global_load_dwordx4 v[24:27], v[30:31], off
	v_mov_b32_e32 v48, s43
	s_waitcnt vmcnt(7)
	v_subrev_u32_e32 v28, s46, v1
	v_ashrrev_i32_e32 v29, 31, v28
	s_waitcnt vmcnt(6)
	v_subrev_u32_e32 v30, s46, v19
	v_lshlrev_b64 v[28:29], 4, v[28:29]
	v_ashrrev_i32_e32 v31, 31, v30
	v_add_co_u32_e32 v42, vcc, s42, v28
	s_waitcnt vmcnt(5)
	v_subrev_u32_e32 v32, s46, v32
	v_lshlrev_b64 v[30:31], 4, v[30:31]
	v_addc_co_u32_e32 v43, vcc, v48, v29, vcc
	s_waitcnt vmcnt(4)
	v_subrev_u32_e32 v34, s46, v33
	v_ashrrev_i32_e32 v33, 31, v32
	v_add_co_u32_e32 v44, vcc, s42, v30
	v_lshlrev_b64 v[32:33], 4, v[32:33]
	v_addc_co_u32_e32 v45, vcc, v48, v31, vcc
	v_ashrrev_i32_e32 v35, 31, v34
	v_add_co_u32_e32 v46, vcc, s42, v32
	v_lshlrev_b64 v[40:41], 4, v[34:35]
	v_addc_co_u32_e32 v47, vcc, v48, v33, vcc
	v_add_co_u32_e32 v40, vcc, s42, v40
	v_addc_co_u32_e32 v41, vcc, v48, v41, vcc
	global_load_dwordx4 v[28:31], v[42:43], off
	global_load_dwordx4 v[32:35], v[44:45], off
	;; [unrolled: 1-line block ×3, first 2 shown]
	s_waitcnt vmcnt(6)
	v_xor_b32_e32 v1, 0x80000000, v5
	global_load_dwordx4 v[40:43], v[40:41], off
	v_cndmask_b32_e64 v5, v5, v1, s[6:7]
	s_waitcnt vmcnt(6)
	v_xor_b32_e32 v1, 0x80000000, v9
	s_waitcnt vmcnt(5)
	v_xor_b32_e32 v19, 0x80000000, v23
	s_waitcnt vmcnt(4)
	v_xor_b32_e32 v48, 0x80000000, v27
	v_mul_f64 v[44:45], v[4:5], -v[16:17]
	v_mul_f64 v[46:47], v[14:15], v[4:5]
	v_cndmask_b32_e64 v9, v9, v1, s[6:7]
	v_cndmask_b32_e64 v23, v23, v19, s[6:7]
	;; [unrolled: 1-line block ×3, first 2 shown]
	v_fmac_f64_e32 v[44:45], v[14:15], v[2:3]
	v_fmac_f64_e32 v[46:47], v[16:17], v[2:3]
	v_mul_f64 v[48:49], v[8:9], -v[16:17]
	v_mul_f64 v[50:51], v[14:15], v[8:9]
	v_mul_f64 v[52:53], v[22:23], -v[16:17]
	v_mul_f64 v[54:55], v[14:15], v[22:23]
	;; [unrolled: 2-line block ×3, first 2 shown]
	v_fmac_f64_e32 v[48:49], v[14:15], v[6:7]
	v_fmac_f64_e32 v[50:51], v[16:17], v[6:7]
	;; [unrolled: 1-line block ×6, first 2 shown]
	s_waitcnt vmcnt(3)
	v_mul_f64 v[2:3], v[30:31], -v[46:47]
	v_mul_f64 v[4:5], v[44:45], v[30:31]
	s_waitcnt vmcnt(2)
	v_mul_f64 v[6:7], v[34:35], -v[50:51]
	v_mul_f64 v[8:9], v[48:49], v[34:35]
	s_waitcnt vmcnt(1)
	v_mul_f64 v[14:15], v[38:39], -v[54:55]
	v_mul_f64 v[16:17], v[52:53], v[38:39]
	s_waitcnt vmcnt(0)
	v_mul_f64 v[20:21], v[42:43], -v[26:27]
	v_mul_f64 v[22:23], v[56:57], v[42:43]
	v_fmac_f64_e32 v[2:3], v[44:45], v[28:29]
	v_fmac_f64_e32 v[4:5], v[46:47], v[28:29]
	;; [unrolled: 1-line block ×8, first 2 shown]
	ds_write_b128 v18, v[2:5]
	ds_write_b128 v18, v[6:9] offset:4096
	ds_write_b128 v18, v[14:17] offset:8192
	;; [unrolled: 1-line block ×3, first 2 shown]
.LBB33_85:
	s_or_b64 exec, exec, s[4:5]
	s_cmp_lt_i32 s28, 2
	s_mov_b64 s[4:5], -1
	s_waitcnt lgkmcnt(0)
	s_barrier
	s_cbranch_scc0 .LBB33_96
; %bb.86:
	v_add_u32_e32 v6, s34, v0
	v_cmp_gt_i32_e32 vcc, s35, v6
	s_and_saveexec_b64 s[6:7], vcc
	s_cbranch_execz .LBB33_95
; %bb.87:
	v_cmp_neq_f64_e32 vcc, 0, v[10:11]
	v_cmp_neq_f64_e64 s[4:5], 0, v[12:13]
	s_lshl_b32 s10, s33, 4
	s_mov_b64 s[8:9], 0
	s_or_b64 s[4:5], vcc, s[4:5]
	s_sub_i32 s14, 0, s10
	v_mov_b32_e32 v1, s37
	v_mov_b32_e32 v14, s31
	s_branch .LBB33_89
.LBB33_88:                              ;   in Loop: Header=BB33_89 Depth=1
	s_or_b64 exec, exec, s[10:11]
	v_add_co_u32_e32 v8, vcc, s30, v8
	v_addc_co_u32_e32 v9, vcc, v14, v9, vcc
	v_add_u32_e32 v6, 0x100, v6
	v_cmp_le_i32_e32 vcc, s35, v6
	s_or_b64 s[8:9], vcc, s[8:9]
	global_store_dwordx4 v[8:9], v[2:5], off
	s_andn2_b64 exec, exec, s[8:9]
	s_cbranch_execz .LBB33_95
.LBB33_89:                              ; =>This Loop Header: Depth=1
                                        ;     Child Loop BB33_91 Depth 2
	v_ashrrev_i32_e32 v7, 31, v6
	v_lshlrev_b64 v[2:3], 2, v[6:7]
	v_add_co_u32_e32 v2, vcc, s36, v2
	v_addc_co_u32_e32 v3, vcc, v1, v3, vcc
	global_load_dwordx2 v[8:9], v[2:3], off
	v_pk_mov_b32 v[4:5], 0, 0
	v_pk_mov_b32 v[2:3], v[4:5], v[4:5] op_sel:[0,1]
	s_waitcnt vmcnt(0)
	v_cmp_lt_i32_e32 vcc, v8, v9
	s_and_saveexec_b64 s[10:11], vcc
	s_cbranch_execz .LBB33_93
; %bb.90:                               ;   in Loop: Header=BB33_89 Depth=1
	v_pk_mov_b32 v[4:5], 0, 0
	v_subrev_u32_e32 v9, s33, v9
	v_subrev_u32_e32 v15, s33, v8
	v_lshl_add_u32 v8, v8, 4, s14
	s_mov_b64 s[12:13], 0
	v_pk_mov_b32 v[2:3], v[4:5], v[4:5] op_sel:[0,1]
.LBB33_91:                              ;   Parent Loop BB33_89 Depth=1
                                        ; =>  This Inner Loop Header: Depth=2
	ds_read_b128 v[20:23], v8
	v_add_u32_e32 v15, 1, v15
	v_cmp_ge_i32_e32 vcc, v15, v9
	v_add_u32_e32 v8, 16, v8
	s_or_b64 s[12:13], vcc, s[12:13]
	s_waitcnt lgkmcnt(0)
	v_add_f64 v[2:3], v[2:3], v[20:21]
	v_add_f64 v[4:5], v[4:5], v[22:23]
	s_andn2_b64 exec, exec, s[12:13]
	s_cbranch_execnz .LBB33_91
; %bb.92:                               ;   in Loop: Header=BB33_89 Depth=1
	s_or_b64 exec, exec, s[12:13]
.LBB33_93:                              ;   in Loop: Header=BB33_89 Depth=1
	s_or_b64 exec, exec, s[10:11]
	v_lshlrev_b64 v[8:9], 4, v[6:7]
	s_and_saveexec_b64 s[10:11], s[4:5]
	s_cbranch_execz .LBB33_88
; %bb.94:                               ;   in Loop: Header=BB33_89 Depth=1
	v_mov_b32_e32 v7, s31
	v_add_co_u32_e32 v16, vcc, s30, v8
	v_addc_co_u32_e32 v17, vcc, v7, v9, vcc
	global_load_dwordx4 v[20:23], v[16:17], off
	s_waitcnt vmcnt(0)
	v_fmac_f64_e32 v[2:3], v[10:11], v[20:21]
	v_fmac_f64_e32 v[4:5], v[12:13], v[20:21]
	v_fma_f64 v[2:3], -v[12:13], v[22:23], v[2:3]
	v_fmac_f64_e32 v[4:5], v[10:11], v[22:23]
	s_branch .LBB33_88
.LBB33_95:
	s_or_b64 exec, exec, s[6:7]
	s_mov_b64 s[4:5], 0
.LBB33_96:
	s_andn2_b64 vcc, exec, s[4:5]
	s_cbranch_vccnz .LBB33_121
; %bb.97:
	s_flbit_i32_b32 s4, s28
	s_xor_b32 s4, s4, 31
	v_lshrrev_b32_e32 v6, s4, v0
	s_add_i32 s4, s28, -1
	v_add_u32_e32 v4, s34, v6
	v_and_b32_e32 v5, s4, v0
	v_pk_mov_b32 v[0:1], 0, 0
	v_cmp_le_i32_e32 vcc, s35, v4
	v_cmp_gt_i32_e64 s[4:5], s35, v4
	v_pk_mov_b32 v[2:3], v[0:1], v[0:1] op_sel:[0,1]
	s_and_saveexec_b64 s[6:7], s[4:5]
	s_cbranch_execz .LBB33_103
; %bb.98:
	v_lshlrev_b32_e32 v0, 2, v6
	global_load_dwordx2 v[0:1], v0, s[44:45]
	v_subrev_u32_e32 v7, s33, v5
	v_pk_mov_b32 v[2:3], 0, 0
	s_waitcnt vmcnt(0)
	v_subrev_u32_e32 v6, s33, v1
	v_add_u32_e32 v7, v0, v7
	v_cmp_lt_i32_e64 s[4:5], v7, v6
	v_pk_mov_b32 v[0:1], v[2:3], v[2:3] op_sel:[0,1]
	s_and_saveexec_b64 s[8:9], s[4:5]
	s_cbranch_execz .LBB33_102
; %bb.99:
	v_pk_mov_b32 v[2:3], 0, 0
	v_lshlrev_b32_e32 v8, 4, v7
	s_lshl_b32 s12, s28, 4
	s_mov_b64 s[10:11], 0
	v_pk_mov_b32 v[0:1], v[2:3], v[2:3] op_sel:[0,1]
.LBB33_100:                             ; =>This Inner Loop Header: Depth=1
	ds_read_b128 v[14:17], v8
	v_add_u32_e32 v7, s28, v7
	v_cmp_ge_i32_e64 s[4:5], v7, v6
	v_add_u32_e32 v8, s12, v8
	s_or_b64 s[10:11], s[4:5], s[10:11]
	s_waitcnt lgkmcnt(0)
	v_add_f64 v[0:1], v[0:1], v[14:15]
	v_add_f64 v[2:3], v[2:3], v[16:17]
	s_andn2_b64 exec, exec, s[10:11]
	s_cbranch_execnz .LBB33_100
; %bb.101:
	s_or_b64 exec, exec, s[10:11]
.LBB33_102:
	s_or_b64 exec, exec, s[8:9]
.LBB33_103:
	s_or_b64 exec, exec, s[6:7]
	s_cmpk_lt_i32 s28, 0x81
	s_barrier
	ds_write_b128 v18, v[0:3]
	s_waitcnt lgkmcnt(0)
	s_barrier
	s_cbranch_scc1 .LBB33_105
; %bb.104:
	ds_read_b128 v[6:9], v18 offset:2048
	s_waitcnt lgkmcnt(0)
	s_barrier
	v_add_f64 v[0:1], v[0:1], v[6:7]
	v_add_f64 v[2:3], v[2:3], v[8:9]
	ds_write_b128 v18, v[0:3]
.LBB33_105:
	s_cmpk_lt_i32 s28, 0x41
	s_waitcnt lgkmcnt(0)
	s_barrier
	s_cbranch_scc1 .LBB33_107
; %bb.106:
	ds_read_b128 v[6:9], v18 offset:1024
	s_waitcnt lgkmcnt(0)
	s_barrier
	v_add_f64 v[0:1], v[0:1], v[6:7]
	v_add_f64 v[2:3], v[2:3], v[8:9]
	ds_write_b128 v18, v[0:3]
.LBB33_107:
	s_cmp_lt_i32 s28, 33
	s_waitcnt lgkmcnt(0)
	s_barrier
	s_cbranch_scc1 .LBB33_109
; %bb.108:
	ds_read_b128 v[6:9], v18 offset:512
	s_waitcnt lgkmcnt(0)
	s_barrier
	v_add_f64 v[0:1], v[0:1], v[6:7]
	v_add_f64 v[2:3], v[2:3], v[8:9]
	ds_write_b128 v18, v[0:3]
.LBB33_109:
	s_cmp_lt_i32 s28, 17
	;; [unrolled: 12-line block ×4, first 2 shown]
	s_waitcnt lgkmcnt(0)
	s_barrier
	s_cbranch_scc1 .LBB33_115
; %bb.114:
	ds_read_b128 v[6:9], v18 offset:64
	s_waitcnt lgkmcnt(0)
	s_barrier
	v_add_f64 v[0:1], v[0:1], v[6:7]
	v_add_f64 v[2:3], v[2:3], v[8:9]
	ds_write_b128 v18, v[0:3]
.LBB33_115:
	s_cmp_eq_u32 s28, 2
	s_waitcnt lgkmcnt(0)
	s_barrier
	s_cbranch_scc1 .LBB33_117
; %bb.116:
	ds_read_b128 v[6:9], v18 offset:32
	s_waitcnt lgkmcnt(0)
	s_barrier
	v_add_f64 v[0:1], v[0:1], v[6:7]
	v_add_f64 v[2:3], v[2:3], v[8:9]
	ds_write_b128 v18, v[0:3]
.LBB33_117:
	s_waitcnt lgkmcnt(0)
	s_barrier
	ds_read_b128 v[6:9], v18 offset:16
	v_cmp_eq_u32_e64 s[4:5], 0, v5
	s_xor_b64 s[6:7], vcc, -1
	s_and_b64 s[4:5], s[4:5], s[6:7]
	s_waitcnt lgkmcnt(0)
	v_add_f64 v[0:1], v[0:1], v[6:7]
	v_add_f64 v[2:3], v[2:3], v[8:9]
	s_barrier
	ds_write_b128 v18, v[0:3]
	s_and_b64 exec, exec, s[4:5]
	s_cbranch_execz .LBB33_121
; %bb.118:
	v_ashrrev_i32_e32 v5, 31, v4
	v_cmp_neq_f64_e32 vcc, 0, v[10:11]
	v_cmp_neq_f64_e64 s[4:5], 0, v[12:13]
	s_or_b64 s[6:7], vcc, s[4:5]
	v_lshlrev_b64 v[4:5], 4, v[4:5]
	s_and_saveexec_b64 s[4:5], s[6:7]
	s_cbranch_execz .LBB33_120
; %bb.119:
	v_mov_b32_e32 v7, s31
	v_add_co_u32_e32 v6, vcc, s30, v4
	v_addc_co_u32_e32 v7, vcc, v7, v5, vcc
	global_load_dwordx4 v[6:9], v[6:7], off
	s_waitcnt vmcnt(0)
	v_fmac_f64_e32 v[0:1], v[10:11], v[6:7]
	v_fmac_f64_e32 v[2:3], v[12:13], v[6:7]
	v_fma_f64 v[0:1], -v[12:13], v[8:9], v[0:1]
	v_fmac_f64_e32 v[2:3], v[10:11], v[8:9]
.LBB33_120:
	s_or_b64 exec, exec, s[4:5]
	v_mov_b32_e32 v6, s31
	v_add_co_u32_e32 v4, vcc, s30, v4
	v_addc_co_u32_e32 v5, vcc, v6, v5, vcc
	global_store_dwordx4 v[4:5], v[0:3], off
.LBB33_121:
	s_endpgm
	.section	.rodata,"a",@progbits
	.p2align	6, 0x0
	.amdhsa_kernel _ZN9rocsparseL22csrmvn_adaptive_kernelIii21rocsparse_complex_numIdES2_S2_S2_EEvbT_PKS3_PjPKT0_NS_24const_host_device_scalarIT4_EES5_S9_PKT1_PKT2_SC_PT3_21rocsparse_index_base_b
		.amdhsa_group_segment_fixed_size 16384
		.amdhsa_private_segment_fixed_size 24
		.amdhsa_kernarg_size 112
		.amdhsa_user_sgpr_count 8
		.amdhsa_user_sgpr_private_segment_buffer 1
		.amdhsa_user_sgpr_dispatch_ptr 0
		.amdhsa_user_sgpr_queue_ptr 0
		.amdhsa_user_sgpr_kernarg_segment_ptr 1
		.amdhsa_user_sgpr_dispatch_id 0
		.amdhsa_user_sgpr_flat_scratch_init 1
		.amdhsa_user_sgpr_kernarg_preload_length 0
		.amdhsa_user_sgpr_kernarg_preload_offset 0
		.amdhsa_user_sgpr_private_segment_size 0
		.amdhsa_uses_dynamic_stack 0
		.amdhsa_system_sgpr_private_segment_wavefront_offset 1
		.amdhsa_system_sgpr_workgroup_id_x 1
		.amdhsa_system_sgpr_workgroup_id_y 0
		.amdhsa_system_sgpr_workgroup_id_z 0
		.amdhsa_system_sgpr_workgroup_info 0
		.amdhsa_system_vgpr_workitem_id 0
		.amdhsa_next_free_vgpr 58
		.amdhsa_next_free_sgpr 64
		.amdhsa_accum_offset 60
		.amdhsa_reserve_vcc 1
		.amdhsa_reserve_flat_scratch 1
		.amdhsa_float_round_mode_32 0
		.amdhsa_float_round_mode_16_64 0
		.amdhsa_float_denorm_mode_32 3
		.amdhsa_float_denorm_mode_16_64 3
		.amdhsa_dx10_clamp 1
		.amdhsa_ieee_mode 1
		.amdhsa_fp16_overflow 0
		.amdhsa_tg_split 0
		.amdhsa_exception_fp_ieee_invalid_op 0
		.amdhsa_exception_fp_denorm_src 0
		.amdhsa_exception_fp_ieee_div_zero 0
		.amdhsa_exception_fp_ieee_overflow 0
		.amdhsa_exception_fp_ieee_underflow 0
		.amdhsa_exception_fp_ieee_inexact 0
		.amdhsa_exception_int_div_zero 0
	.end_amdhsa_kernel
	.section	.text._ZN9rocsparseL22csrmvn_adaptive_kernelIii21rocsparse_complex_numIdES2_S2_S2_EEvbT_PKS3_PjPKT0_NS_24const_host_device_scalarIT4_EES5_S9_PKT1_PKT2_SC_PT3_21rocsparse_index_base_b,"axG",@progbits,_ZN9rocsparseL22csrmvn_adaptive_kernelIii21rocsparse_complex_numIdES2_S2_S2_EEvbT_PKS3_PjPKT0_NS_24const_host_device_scalarIT4_EES5_S9_PKT1_PKT2_SC_PT3_21rocsparse_index_base_b,comdat
.Lfunc_end33:
	.size	_ZN9rocsparseL22csrmvn_adaptive_kernelIii21rocsparse_complex_numIdES2_S2_S2_EEvbT_PKS3_PjPKT0_NS_24const_host_device_scalarIT4_EES5_S9_PKT1_PKT2_SC_PT3_21rocsparse_index_base_b, .Lfunc_end33-_ZN9rocsparseL22csrmvn_adaptive_kernelIii21rocsparse_complex_numIdES2_S2_S2_EEvbT_PKS3_PjPKT0_NS_24const_host_device_scalarIT4_EES5_S9_PKT1_PKT2_SC_PT3_21rocsparse_index_base_b
                                        ; -- End function
	.section	.AMDGPU.csdata,"",@progbits
; Kernel info:
; codeLenInByte = 5124
; NumSgprs: 70
; NumVgprs: 58
; NumAgprs: 0
; TotalNumVgprs: 58
; ScratchSize: 24
; MemoryBound: 0
; FloatMode: 240
; IeeeMode: 1
; LDSByteSize: 16384 bytes/workgroup (compile time only)
; SGPRBlocks: 8
; VGPRBlocks: 7
; NumSGPRsForWavesPerEU: 70
; NumVGPRsForWavesPerEU: 58
; AccumOffset: 60
; Occupancy: 4
; WaveLimiterHint : 1
; COMPUTE_PGM_RSRC2:SCRATCH_EN: 1
; COMPUTE_PGM_RSRC2:USER_SGPR: 8
; COMPUTE_PGM_RSRC2:TRAP_HANDLER: 0
; COMPUTE_PGM_RSRC2:TGID_X_EN: 1
; COMPUTE_PGM_RSRC2:TGID_Y_EN: 0
; COMPUTE_PGM_RSRC2:TGID_Z_EN: 0
; COMPUTE_PGM_RSRC2:TIDIG_COMP_CNT: 0
; COMPUTE_PGM_RSRC3_GFX90A:ACCUM_OFFSET: 14
; COMPUTE_PGM_RSRC3_GFX90A:TG_SPLIT: 0
	.section	.text._ZN9rocsparseL22partial_scale_y_kernelIi21rocsparse_complex_numIdES2_EEvT_S3_S3_NS_24const_host_device_scalarIT1_EEPT0_b,"axG",@progbits,_ZN9rocsparseL22partial_scale_y_kernelIi21rocsparse_complex_numIdES2_EEvT_S3_S3_NS_24const_host_device_scalarIT1_EEPT0_b,comdat
	.globl	_ZN9rocsparseL22partial_scale_y_kernelIi21rocsparse_complex_numIdES2_EEvT_S3_S3_NS_24const_host_device_scalarIT1_EEPT0_b ; -- Begin function _ZN9rocsparseL22partial_scale_y_kernelIi21rocsparse_complex_numIdES2_EEvT_S3_S3_NS_24const_host_device_scalarIT1_EEPT0_b
	.p2align	8
	.type	_ZN9rocsparseL22partial_scale_y_kernelIi21rocsparse_complex_numIdES2_EEvT_S3_S3_NS_24const_host_device_scalarIT1_EEPT0_b,@function
_ZN9rocsparseL22partial_scale_y_kernelIi21rocsparse_complex_numIdES2_EEvT_S3_S3_NS_24const_host_device_scalarIT1_EEPT0_b: ; @_ZN9rocsparseL22partial_scale_y_kernelIi21rocsparse_complex_numIdES2_EEvT_S3_S3_NS_24const_host_device_scalarIT1_EEPT0_b
; %bb.0:
	s_load_dword s9, s[6:7], 0x28
	s_load_dwordx2 s[10:11], s[4:5], 0x4
	s_load_dwordx4 s[0:3], s[6:7], 0x10
	v_and_b32_e32 v4, 0x3ff, v0
	v_bfe_u32 v2, v0, 10, 10
	s_waitcnt lgkmcnt(0)
	s_and_b32 s4, 1, s9
	s_lshr_b32 s5, s10, 16
	s_mul_i32 s5, s5, s11
	v_mul_lo_u32 v1, s5, v4
	s_cmp_eq_u32 s4, 1
	v_mad_u32_u24 v1, v2, s11, v1
	v_bfe_u32 v0, v0, 20, 10
	v_add_lshl_u32 v2, v1, v0, 3
	v_pk_mov_b32 v[0:1], s[0:1], s[0:1] op_sel:[0,1]
	s_cselect_b64 vcc, -1, 0
	ds_write_b64 v2, v[0:1]
	s_mov_b64 s[4:5], src_shared_base
	v_cndmask_b32_e32 v0, v0, v2, vcc
	s_and_b64 vcc, vcc, exec
	s_cselect_b32 s4, s5, s1
	v_mov_b32_e32 v1, s4
	flat_load_dwordx2 v[0:1], v[0:1]
	v_pk_mov_b32 v[2:3], s[2:3], s[2:3] op_sel:[0,1]
	s_cbranch_vccnz .LBB34_2
; %bb.1:
	v_pk_mov_b32 v[2:3], s[0:1], s[0:1] op_sel:[0,1]
	flat_load_dwordx2 v[2:3], v[2:3] offset:8
.LBB34_2:
	s_waitcnt vmcnt(0) lgkmcnt(0)
	v_cmp_neq_f64_e32 vcc, 1.0, v[0:1]
	v_cmp_neq_f64_e64 s[0:1], 0, v[2:3]
	s_or_b64 s[0:1], vcc, s[0:1]
	s_and_saveexec_b64 s[2:3], s[0:1]
	s_cbranch_execz .LBB34_15
; %bb.3:
	s_load_dwordx4 s[12:15], s[6:7], 0x0
	v_lshl_or_b32 v4, s8, 8, v4
	s_waitcnt lgkmcnt(0)
	s_add_i32 s0, s13, s12
	s_sub_i32 s0, s0, s14
	v_cmp_gt_i32_e32 vcc, s0, v4
	s_and_b64 exec, exec, vcc
	s_cbranch_execz .LBB34_15
; %bb.4:
	s_load_dwordx2 s[4:5], s[6:7], 0x20
	v_cmp_neq_f64_e64 s[0:1], 0, v[0:1]
	v_cmp_neq_f64_e64 s[2:3], 0, v[2:3]
	v_cmp_le_i32_e32 vcc, s13, v4
	s_or_b64 s[0:1], s[0:1], s[2:3]
	s_and_saveexec_b64 s[2:3], vcc
	s_xor_b64 s[2:3], exec, s[2:3]
	s_cbranch_execz .LBB34_10
; %bb.5:
	v_subrev_u32_e32 v4, s13, v4
	v_add_u32_e32 v4, s14, v4
	v_ashrrev_i32_e32 v5, 31, v4
	v_lshlrev_b64 v[4:5], 4, v[4:5]
	s_waitcnt lgkmcnt(0)
	v_mov_b32_e32 v6, s5
	v_add_co_u32_e32 v4, vcc, s4, v4
	v_addc_co_u32_e32 v5, vcc, v6, v5, vcc
	s_and_saveexec_b64 s[6:7], s[0:1]
	s_xor_b64 s[6:7], exec, s[6:7]
	s_cbranch_execz .LBB34_7
; %bb.6:
	global_load_dwordx4 v[6:9], v[4:5], off
	s_waitcnt vmcnt(0)
	v_mul_f64 v[10:11], v[2:3], -v[8:9]
	v_mul_f64 v[12:13], v[2:3], v[6:7]
	v_fmac_f64_e32 v[10:11], v[6:7], v[0:1]
	v_fmac_f64_e32 v[12:13], v[8:9], v[0:1]
	global_store_dwordx4 v[4:5], v[10:13], off
                                        ; implicit-def: $vgpr4_vgpr5
.LBB34_7:
	s_andn2_saveexec_b64 s[6:7], s[6:7]
	s_cbranch_execz .LBB34_9
; %bb.8:
	v_mov_b32_e32 v0, 0
	v_mov_b32_e32 v1, v0
	v_mov_b32_e32 v2, v0
	v_mov_b32_e32 v3, v0
	global_store_dwordx4 v[4:5], v[0:3], off
.LBB34_9:
	s_or_b64 exec, exec, s[6:7]
                                        ; implicit-def: $vgpr4
                                        ; implicit-def: $vgpr2_vgpr3
                                        ; implicit-def: $vgpr0_vgpr1
.LBB34_10:
	s_andn2_saveexec_b64 s[2:3], s[2:3]
	s_cbranch_execz .LBB34_15
; %bb.11:
	v_ashrrev_i32_e32 v5, 31, v4
	v_lshlrev_b64 v[4:5], 4, v[4:5]
	s_waitcnt lgkmcnt(0)
	v_mov_b32_e32 v6, s5
	v_add_co_u32_e32 v4, vcc, s4, v4
	v_addc_co_u32_e32 v5, vcc, v6, v5, vcc
	s_and_saveexec_b64 s[2:3], s[0:1]
	s_xor_b64 s[0:1], exec, s[2:3]
	s_cbranch_execz .LBB34_13
; %bb.12:
	global_load_dwordx4 v[6:9], v[4:5], off
	s_waitcnt vmcnt(0)
	v_mul_f64 v[10:11], v[2:3], -v[8:9]
	v_mul_f64 v[12:13], v[2:3], v[6:7]
	v_fmac_f64_e32 v[10:11], v[6:7], v[0:1]
	v_fmac_f64_e32 v[12:13], v[8:9], v[0:1]
	global_store_dwordx4 v[4:5], v[10:13], off
                                        ; implicit-def: $vgpr4_vgpr5
.LBB34_13:
	s_andn2_saveexec_b64 s[0:1], s[0:1]
	s_cbranch_execz .LBB34_15
; %bb.14:
	v_mov_b32_e32 v0, 0
	v_mov_b32_e32 v1, v0
	;; [unrolled: 1-line block ×4, first 2 shown]
	global_store_dwordx4 v[4:5], v[0:3], off
.LBB34_15:
	s_endpgm
	.section	.rodata,"a",@progbits
	.p2align	6, 0x0
	.amdhsa_kernel _ZN9rocsparseL22partial_scale_y_kernelIi21rocsparse_complex_numIdES2_EEvT_S3_S3_NS_24const_host_device_scalarIT1_EEPT0_b
		.amdhsa_group_segment_fixed_size 2048
		.amdhsa_private_segment_fixed_size 0
		.amdhsa_kernarg_size 44
		.amdhsa_user_sgpr_count 8
		.amdhsa_user_sgpr_private_segment_buffer 1
		.amdhsa_user_sgpr_dispatch_ptr 1
		.amdhsa_user_sgpr_queue_ptr 0
		.amdhsa_user_sgpr_kernarg_segment_ptr 1
		.amdhsa_user_sgpr_dispatch_id 0
		.amdhsa_user_sgpr_flat_scratch_init 0
		.amdhsa_user_sgpr_kernarg_preload_length 0
		.amdhsa_user_sgpr_kernarg_preload_offset 0
		.amdhsa_user_sgpr_private_segment_size 0
		.amdhsa_uses_dynamic_stack 0
		.amdhsa_system_sgpr_private_segment_wavefront_offset 0
		.amdhsa_system_sgpr_workgroup_id_x 1
		.amdhsa_system_sgpr_workgroup_id_y 0
		.amdhsa_system_sgpr_workgroup_id_z 0
		.amdhsa_system_sgpr_workgroup_info 0
		.amdhsa_system_vgpr_workitem_id 2
		.amdhsa_next_free_vgpr 14
		.amdhsa_next_free_sgpr 16
		.amdhsa_accum_offset 16
		.amdhsa_reserve_vcc 1
		.amdhsa_reserve_flat_scratch 0
		.amdhsa_float_round_mode_32 0
		.amdhsa_float_round_mode_16_64 0
		.amdhsa_float_denorm_mode_32 3
		.amdhsa_float_denorm_mode_16_64 3
		.amdhsa_dx10_clamp 1
		.amdhsa_ieee_mode 1
		.amdhsa_fp16_overflow 0
		.amdhsa_tg_split 0
		.amdhsa_exception_fp_ieee_invalid_op 0
		.amdhsa_exception_fp_denorm_src 0
		.amdhsa_exception_fp_ieee_div_zero 0
		.amdhsa_exception_fp_ieee_overflow 0
		.amdhsa_exception_fp_ieee_underflow 0
		.amdhsa_exception_fp_ieee_inexact 0
		.amdhsa_exception_int_div_zero 0
	.end_amdhsa_kernel
	.section	.text._ZN9rocsparseL22partial_scale_y_kernelIi21rocsparse_complex_numIdES2_EEvT_S3_S3_NS_24const_host_device_scalarIT1_EEPT0_b,"axG",@progbits,_ZN9rocsparseL22partial_scale_y_kernelIi21rocsparse_complex_numIdES2_EEvT_S3_S3_NS_24const_host_device_scalarIT1_EEPT0_b,comdat
.Lfunc_end34:
	.size	_ZN9rocsparseL22partial_scale_y_kernelIi21rocsparse_complex_numIdES2_EEvT_S3_S3_NS_24const_host_device_scalarIT1_EEPT0_b, .Lfunc_end34-_ZN9rocsparseL22partial_scale_y_kernelIi21rocsparse_complex_numIdES2_EEvT_S3_S3_NS_24const_host_device_scalarIT1_EEPT0_b
                                        ; -- End function
	.section	.AMDGPU.csdata,"",@progbits
; Kernel info:
; codeLenInByte = 536
; NumSgprs: 20
; NumVgprs: 14
; NumAgprs: 0
; TotalNumVgprs: 14
; ScratchSize: 0
; MemoryBound: 0
; FloatMode: 240
; IeeeMode: 1
; LDSByteSize: 2048 bytes/workgroup (compile time only)
; SGPRBlocks: 2
; VGPRBlocks: 1
; NumSGPRsForWavesPerEU: 20
; NumVGPRsForWavesPerEU: 14
; AccumOffset: 16
; Occupancy: 8
; WaveLimiterHint : 0
; COMPUTE_PGM_RSRC2:SCRATCH_EN: 0
; COMPUTE_PGM_RSRC2:USER_SGPR: 8
; COMPUTE_PGM_RSRC2:TRAP_HANDLER: 0
; COMPUTE_PGM_RSRC2:TGID_X_EN: 1
; COMPUTE_PGM_RSRC2:TGID_Y_EN: 0
; COMPUTE_PGM_RSRC2:TGID_Z_EN: 0
; COMPUTE_PGM_RSRC2:TIDIG_COMP_CNT: 2
; COMPUTE_PGM_RSRC3_GFX90A:ACCUM_OFFSET: 3
; COMPUTE_PGM_RSRC3_GFX90A:TG_SPLIT: 0
	.section	.text._ZN9rocsparseL27csrmvn_symm_adaptive_kernelIii21rocsparse_complex_numIdES2_S2_S2_EEvbT_S3_PKS3_NS_24const_host_device_scalarIT4_EES5_PKT0_PKT1_PKT2_S8_PT3_21rocsparse_index_base_b,"axG",@progbits,_ZN9rocsparseL27csrmvn_symm_adaptive_kernelIii21rocsparse_complex_numIdES2_S2_S2_EEvbT_S3_PKS3_NS_24const_host_device_scalarIT4_EES5_PKT0_PKT1_PKT2_S8_PT3_21rocsparse_index_base_b,comdat
	.globl	_ZN9rocsparseL27csrmvn_symm_adaptive_kernelIii21rocsparse_complex_numIdES2_S2_S2_EEvbT_S3_PKS3_NS_24const_host_device_scalarIT4_EES5_PKT0_PKT1_PKT2_S8_PT3_21rocsparse_index_base_b ; -- Begin function _ZN9rocsparseL27csrmvn_symm_adaptive_kernelIii21rocsparse_complex_numIdES2_S2_S2_EEvbT_S3_PKS3_NS_24const_host_device_scalarIT4_EES5_PKT0_PKT1_PKT2_S8_PT3_21rocsparse_index_base_b
	.p2align	8
	.type	_ZN9rocsparseL27csrmvn_symm_adaptive_kernelIii21rocsparse_complex_numIdES2_S2_S2_EEvbT_S3_PKS3_NS_24const_host_device_scalarIT4_EES5_PKT0_PKT1_PKT2_S8_PT3_21rocsparse_index_base_b,@function
_ZN9rocsparseL27csrmvn_symm_adaptive_kernelIii21rocsparse_complex_numIdES2_S2_S2_EEvbT_S3_PKS3_NS_24const_host_device_scalarIT4_EES5_PKT0_PKT1_PKT2_S8_PT3_21rocsparse_index_base_b: ; @_ZN9rocsparseL27csrmvn_symm_adaptive_kernelIii21rocsparse_complex_numIdES2_S2_S2_EEvbT_S3_PKS3_NS_24const_host_device_scalarIT4_EES5_PKT0_PKT1_PKT2_S8_PT3_21rocsparse_index_base_b
; %bb.0:
	s_add_u32 flat_scratch_lo, s6, s9
	s_addc_u32 flat_scratch_hi, s7, 0
	s_load_dwordx2 s[38:39], s[4:5], 0x60
	s_load_dwordx4 s[16:19], s[4:5], 0x18
	s_load_dwordx4 s[12:15], s[4:5], 0x48
	s_add_u32 s0, s0, s9
	s_addc_u32 s1, s1, 0
	s_waitcnt lgkmcnt(0)
	s_bitcmp1_b32 s39, 0
	v_mov_b32_e32 v1, 0
	v_mov_b32_e32 v3, s16
	s_cselect_b64 s[6:7], -1, 0
	v_cndmask_b32_e64 v2, v3, v1, s[6:7]
	v_mov_b32_e32 v1, s17
	s_mov_b64 s[10:11], src_private_base
	s_and_b64 vcc, s[6:7], exec
	buffer_store_dword v1, off, s[0:3], 0 offset:4
	buffer_store_dword v3, off, s[0:3], 0
	v_mov_b32_e32 v1, s13
	s_cselect_b32 s9, s11, s17
	buffer_store_dword v1, off, s[0:3], 0 offset:12
	v_mov_b32_e32 v1, s12
	buffer_store_dword v1, off, s[0:3], 0 offset:8
	v_mov_b32_e32 v3, s9
	flat_load_dwordx2 v[12:13], v[2:3]
	s_xor_b64 s[20:21], s[6:7], -1
	v_pk_mov_b32 v[14:15], s[18:19], s[18:19] op_sel:[0,1]
	s_cbranch_vccnz .LBB35_2
; %bb.1:
	v_pk_mov_b32 v[2:3], s[16:17], s[16:17] op_sel:[0,1]
	flat_load_dwordx2 v[14:15], v[2:3] offset:8
.LBB35_2:
	s_and_b64 s[16:17], s[6:7], exec
	s_cselect_b32 s9, s11, s13
	v_mov_b32_e32 v1, 8
	v_mov_b32_e32 v2, s12
	v_cndmask_b32_e64 v2, v2, v1, s[6:7]
	v_mov_b32_e32 v3, s9
	flat_load_dwordx2 v[2:3], v[2:3]
	s_andn2_b64 vcc, exec, s[20:21]
	v_pk_mov_b32 v[4:5], s[14:15], s[14:15] op_sel:[0,1]
	s_cbranch_vccnz .LBB35_4
; %bb.3:
	v_pk_mov_b32 v[4:5], s[12:13], s[12:13] op_sel:[0,1]
	flat_load_dwordx2 v[4:5], v[4:5] offset:8
.LBB35_4:
	s_waitcnt vmcnt(0) lgkmcnt(0)
	v_cmp_eq_f64_e32 vcc, 0, v[12:13]
	v_cmp_eq_f64_e64 s[6:7], 0, v[14:15]
	s_and_b64 s[12:13], vcc, s[6:7]
	s_mov_b64 s[6:7], -1
	s_and_saveexec_b64 s[10:11], s[12:13]
; %bb.5:
	v_cmp_neq_f64_e32 vcc, 1.0, v[2:3]
	v_cmp_neq_f64_e64 s[6:7], 0, v[4:5]
	s_or_b64 s[6:7], vcc, s[6:7]
	s_orn2_b64 s[6:7], s[6:7], exec
; %bb.6:
	s_or_b64 exec, exec, s[10:11]
	s_and_saveexec_b64 s[10:11], s[6:7]
	s_cbranch_execz .LBB35_206
; %bb.7:
	s_load_dwordx4 s[28:31], s[4:5], 0x0
	s_load_dwordx2 s[10:11], s[4:5], 0x10
	s_mov_b32 s12, 0
	s_mov_b32 s13, s12
	;; [unrolled: 1-line block ×3, first 2 shown]
	s_waitcnt lgkmcnt(0)
	s_bitcmp1_b32 s28, 0
	s_cselect_b64 s[6:7], -1, 0
	s_ashr_i32 s9, s8, 31
	s_lshl_b64 s[8:9], s[8:9], 2
	s_mov_b32 s15, s12
	v_pk_mov_b32 v[2:3], s[12:13], s[12:13] op_sel:[0,1]
	s_add_u32 s8, s10, s8
	v_lshlrev_b32_e32 v1, 4, v0
	v_pk_mov_b32 v[4:5], s[14:15], s[14:15] op_sel:[0,1]
	s_addc_u32 s9, s11, s9
	ds_write_b128 v1, v[2:5]
	ds_write_b128 v1, v[2:5] offset:4096
	ds_write_b128 v1, v[2:5] offset:8192
	;; [unrolled: 1-line block ×3, first 2 shown]
	s_waitcnt lgkmcnt(0)
	s_barrier
	s_load_dwordx2 s[36:37], s[8:9], 0x0
	s_load_dwordx2 s[34:35], s[4:5], 0x58
	s_load_dwordx8 s[20:27], s[4:5], 0x28
	s_mov_b64 s[8:9], -1
	v_subrev_u32_e32 v24, s38, v0
	s_waitcnt lgkmcnt(0)
	s_sub_i32 s28, s37, s36
	s_cmp_gt_i32 s28, 2
	s_cbranch_scc1 .LBB35_53
; %bb.8:
	s_cmp_gt_i32 s37, s36
	s_cbranch_scc1 .LBB35_10
; %bb.9:
	s_ashr_i32 s9, s36, 31
	s_mov_b32 s8, s36
	s_lshl_b64 s[8:9], s[8:9], 2
	s_add_u32 s8, s20, s8
	s_addc_u32 s9, s21, s9
	s_load_dword s31, s[8:9], 0x0
	s_cbranch_execz .LBB35_11
	s_branch .LBB35_40
.LBB35_10:
                                        ; implicit-def: $sgpr31
	s_andn2_b64 vcc, exec, s[8:9]
	s_cbranch_vccnz .LBB35_40
.LBB35_11:
	s_ashr_i32 s19, s36, 31
	s_mov_b32 s18, s36
	s_lshl_b64 s[18:19], s[18:19], 2
	s_add_u32 s18, s20, s18
	s_addc_u32 s19, s21, s19
	s_waitcnt lgkmcnt(0)
	s_load_dword s31, s[18:19], 0x0
	s_add_u32 s33, s20, 4
	s_addc_u32 s39, s21, 0
	s_movk_i32 s8, 0x100
	s_add_u32 s48, s24, 8
	v_cmp_gt_u32_e64 s[8:9], s8, v0
	v_cmp_gt_u32_e64 s[10:11], 64, v0
	v_cmp_gt_u32_e64 s[12:13], 16, v0
	v_cmp_gt_u32_e64 s[14:15], 4, v0
	v_cmp_eq_u32_e64 s[16:17], 0, v0
	s_addc_u32 s49, s25, 0
	v_mov_b32_e32 v16, s27
	v_mov_b32_e32 v17, 0
	s_waitcnt lgkmcnt(0)
	s_mov_b32 s50, s31
	s_mov_b32 s40, s36
	s_branch .LBB35_13
.LBB35_12:                              ;   in Loop: Header=BB35_13 Depth=1
	s_or_b64 exec, exec, s[18:19]
	s_add_i32 s40, s40, 1
	s_cmp_ge_i32 s40, s37
	s_cbranch_scc1 .LBB35_40
.LBB35_13:                              ; =>This Loop Header: Depth=1
                                        ;     Child Loop BB35_15 Depth 2
                                        ;     Child Loop BB35_29 Depth 2
	;; [unrolled: 1-line block ×5, first 2 shown]
	s_ashr_i32 s41, s40, 31
	s_lshl_b64 s[18:19], s[40:41], 2
	s_add_u32 s18, s33, s18
	s_addc_u32 s19, s39, s19
	s_mov_b32 s42, s50
	s_load_dword s50, s[18:19], 0x0
	v_pk_mov_b32 v[4:5], 0, 0
	v_add_u32_e32 v6, s42, v24
	v_pk_mov_b32 v[2:3], v[4:5], v[4:5] op_sel:[0,1]
	s_waitcnt lgkmcnt(0)
	s_sub_i32 s46, s50, s38
	v_cmp_gt_i32_e32 vcc, s46, v6
	s_and_saveexec_b64 s[42:43], vcc
	s_cbranch_execz .LBB35_17
; %bb.14:                               ;   in Loop: Header=BB35_13 Depth=1
	v_ashrrev_i32_e32 v7, 31, v6
	v_lshlrev_b64 v[2:3], 2, v[6:7]
	v_mov_b32_e32 v4, s23
	v_add_co_u32_e32 v8, vcc, s22, v2
	v_addc_co_u32_e32 v9, vcc, v4, v3, vcc
	v_lshlrev_b64 v[2:3], 4, v[6:7]
	v_mov_b32_e32 v4, s49
	v_add_co_u32_e32 v10, vcc, s48, v2
	v_addc_co_u32_e32 v11, vcc, v4, v3, vcc
	v_pk_mov_b32 v[4:5], 0, 0
	s_mov_b64 s[44:45], 0
	v_pk_mov_b32 v[2:3], v[4:5], v[4:5] op_sel:[0,1]
.LBB35_15:                              ;   Parent Loop BB35_13 Depth=1
                                        ; =>  This Inner Loop Header: Depth=2
	global_load_dword v7, v[8:9], off
	global_load_dwordx4 v[18:21], v[10:11], off offset:-8
	v_add_u32_e32 v6, 0x100, v6
	v_cmp_le_i32_e64 s[18:19], s46, v6
	s_or_b64 s[44:45], s[18:19], s[44:45]
	s_waitcnt vmcnt(1)
	v_subrev_u32_e32 v22, s38, v7
	v_ashrrev_i32_e32 v23, 31, v22
	v_lshlrev_b64 v[22:23], 4, v[22:23]
	v_add_co_u32_e32 v22, vcc, s26, v22
	v_addc_co_u32_e32 v23, vcc, v16, v23, vcc
	global_load_dwordx4 v[26:29], v[22:23], off
	v_add_co_u32_e32 v8, vcc, 0x400, v8
	s_waitcnt vmcnt(1)
	v_xor_b32_e32 v7, 0x80000000, v21
	v_addc_co_u32_e32 v9, vcc, 0, v9, vcc
	v_cndmask_b32_e64 v21, v21, v7, s[6:7]
	v_add_co_u32_e32 v10, vcc, 0x1000, v10
	v_addc_co_u32_e32 v11, vcc, 0, v11, vcc
	s_waitcnt vmcnt(0)
	v_fmac_f64_e32 v[2:3], v[18:19], v[26:27]
	v_fmac_f64_e32 v[4:5], v[20:21], v[26:27]
	v_fma_f64 v[2:3], -v[20:21], v[28:29], v[2:3]
	v_fmac_f64_e32 v[4:5], v[18:19], v[28:29]
	s_andn2_b64 exec, exec, s[44:45]
	s_cbranch_execnz .LBB35_15
; %bb.16:                               ;   in Loop: Header=BB35_13 Depth=1
	s_or_b64 exec, exec, s[44:45]
.LBB35_17:                              ;   in Loop: Header=BB35_13 Depth=1
	s_or_b64 exec, exec, s[42:43]
	ds_write_b128 v1, v[2:5]
	s_waitcnt lgkmcnt(0)
	s_barrier
	s_and_saveexec_b64 s[18:19], s[8:9]
	s_cbranch_execz .LBB35_19
; %bb.18:                               ;   in Loop: Header=BB35_13 Depth=1
	ds_read_b128 v[2:5], v1 offset:4096
	ds_read_b128 v[6:9], v1 offset:8192
	ds_read_b128 v[18:21], v1 offset:12288
	ds_read_b128 v[26:29], v1
	s_waitcnt lgkmcnt(2)
	v_add_f64 v[2:3], v[6:7], v[2:3]
	v_add_f64 v[4:5], v[8:9], v[4:5]
	s_waitcnt lgkmcnt(1)
	v_add_f64 v[2:3], v[2:3], v[18:19]
	v_add_f64 v[4:5], v[4:5], v[20:21]
	s_waitcnt lgkmcnt(0)
	v_add_f64 v[2:3], v[2:3], v[26:27]
	v_add_f64 v[4:5], v[4:5], v[28:29]
	ds_write_b128 v1, v[2:5]
.LBB35_19:                              ;   in Loop: Header=BB35_13 Depth=1
	s_or_b64 exec, exec, s[18:19]
	s_waitcnt lgkmcnt(0)
	s_barrier
	s_and_saveexec_b64 s[18:19], s[10:11]
	s_cbranch_execz .LBB35_21
; %bb.20:                               ;   in Loop: Header=BB35_13 Depth=1
	ds_read_b128 v[2:5], v1 offset:1024
	ds_read_b128 v[6:9], v1 offset:2048
	ds_read_b128 v[18:21], v1 offset:3072
	ds_read_b128 v[26:29], v1
	s_waitcnt lgkmcnt(2)
	v_add_f64 v[2:3], v[6:7], v[2:3]
	v_add_f64 v[4:5], v[8:9], v[4:5]
	s_waitcnt lgkmcnt(1)
	v_add_f64 v[2:3], v[2:3], v[18:19]
	v_add_f64 v[4:5], v[4:5], v[20:21]
	s_waitcnt lgkmcnt(0)
	v_add_f64 v[2:3], v[2:3], v[26:27]
	v_add_f64 v[4:5], v[4:5], v[28:29]
	ds_write_b128 v1, v[2:5]
.LBB35_21:                              ;   in Loop: Header=BB35_13 Depth=1
	s_or_b64 exec, exec, s[18:19]
	;; [unrolled: 21-line block ×5, first 2 shown]
	s_waitcnt lgkmcnt(0)
	s_barrier
	s_and_saveexec_b64 s[18:19], s[16:17]
	s_cbranch_execz .LBB35_12
; %bb.28:                               ;   in Loop: Header=BB35_13 Depth=1
	ds_read_b128 v[2:5], v17
	v_mov_b32_e32 v10, 0
	s_mov_b64 s[42:43], exec
	v_bfrev_b32_e32 v11, 1
	s_waitcnt lgkmcnt(0)
	v_mul_f64 v[6:7], v[4:5], -v[14:15]
	v_fmac_f64_e32 v[6:7], v[12:13], v[2:3]
.LBB35_29:                              ;   Parent Loop BB35_13 Depth=1
                                        ; =>  This Inner Loop Header: Depth=2
	s_ff1_i32_b64 s46, s[42:43]
	v_readlane_b32 s45, v7, s46
	v_readlane_b32 s44, v6, s46
	s_lshl_b64 s[46:47], 1, s46
	s_andn2_b64 s[42:43], s[42:43], s[46:47]
	s_cmp_lg_u64 s[42:43], 0
	v_add_f64 v[10:11], v[10:11], s[44:45]
	s_cbranch_scc1 .LBB35_29
; %bb.30:                               ;   in Loop: Header=BB35_13 Depth=1
	s_lshl_b64 s[42:43], s[40:41], 4
	v_mbcnt_lo_u32_b32 v6, exec_lo, 0
	s_add_u32 s42, s34, s42
	v_mbcnt_hi_u32_b32 v6, exec_hi, v6
	s_addc_u32 s43, s35, s43
	v_cmp_eq_u32_e32 vcc, 0, v6
	s_and_saveexec_b64 s[44:45], vcc
	s_xor_b64 s[44:45], exec, s[44:45]
	s_cbranch_execz .LBB35_34
; %bb.31:                               ;   in Loop: Header=BB35_13 Depth=1
	global_load_dwordx2 v[8:9], v17, s[42:43]
	s_mov_b64 s[46:47], 0
.LBB35_32:                              ;   Parent Loop BB35_13 Depth=1
                                        ; =>  This Inner Loop Header: Depth=2
	s_waitcnt vmcnt(0)
	v_add_f64 v[6:7], v[8:9], v[10:11]
	global_atomic_cmpswap_x2 v[6:7], v17, v[6:9], s[42:43] glc
	s_waitcnt vmcnt(0)
	v_cmp_eq_u64_e32 vcc, v[6:7], v[8:9]
	s_or_b64 s[46:47], vcc, s[46:47]
	v_pk_mov_b32 v[8:9], v[6:7], v[6:7] op_sel:[0,1]
	s_andn2_b64 exec, exec, s[46:47]
	s_cbranch_execnz .LBB35_32
; %bb.33:                               ;   in Loop: Header=BB35_13 Depth=1
	s_or_b64 exec, exec, s[46:47]
.LBB35_34:                              ;   in Loop: Header=BB35_13 Depth=1
	s_or_b64 exec, exec, s[44:45]
	v_mul_f64 v[4:5], v[12:13], v[4:5]
	v_mov_b32_e32 v6, 0
	s_mov_b64 s[44:45], exec
	v_fmac_f64_e32 v[4:5], v[14:15], v[2:3]
	v_bfrev_b32_e32 v7, 1
.LBB35_35:                              ;   Parent Loop BB35_13 Depth=1
                                        ; =>  This Inner Loop Header: Depth=2
	s_ff1_i32_b64 s41, s[44:45]
	s_lshl_b64 s[52:53], 1, s41
	v_readlane_b32 s47, v5, s41
	v_readlane_b32 s46, v4, s41
	s_andn2_b64 s[44:45], s[44:45], s[52:53]
	s_cmp_lg_u64 s[44:45], 0
	v_add_f64 v[6:7], v[6:7], s[46:47]
	s_cbranch_scc1 .LBB35_35
; %bb.36:                               ;   in Loop: Header=BB35_13 Depth=1
	v_mbcnt_lo_u32_b32 v2, exec_lo, 0
	v_mbcnt_hi_u32_b32 v2, exec_hi, v2
	v_cmp_eq_u32_e32 vcc, 0, v2
	s_and_saveexec_b64 s[44:45], vcc
	s_xor_b64 s[44:45], exec, s[44:45]
	s_cbranch_execz .LBB35_12
; %bb.37:                               ;   in Loop: Header=BB35_13 Depth=1
	global_load_dwordx2 v[4:5], v17, s[42:43] offset:8
	s_mov_b64 s[44:45], 0
.LBB35_38:                              ;   Parent Loop BB35_13 Depth=1
                                        ; =>  This Inner Loop Header: Depth=2
	s_waitcnt vmcnt(0)
	v_add_f64 v[2:3], v[4:5], v[6:7]
	global_atomic_cmpswap_x2 v[2:3], v17, v[2:5], s[42:43] offset:8 glc
	s_waitcnt vmcnt(0)
	v_cmp_eq_u64_e32 vcc, v[2:3], v[4:5]
	s_or_b64 s[44:45], vcc, s[44:45]
	v_pk_mov_b32 v[4:5], v[2:3], v[2:3] op_sel:[0,1]
	s_andn2_b64 exec, exec, s[44:45]
	s_cbranch_execnz .LBB35_38
; %bb.39:                               ;   in Loop: Header=BB35_13 Depth=1
	s_or_b64 exec, exec, s[44:45]
	s_branch .LBB35_12
.LBB35_40:
	s_ashr_i32 s9, s37, 31
	s_mov_b32 s8, s37
	s_lshl_b64 s[8:9], s[8:9], 2
	s_add_u32 s8, s20, s8
	s_addc_u32 s9, s21, s9
	s_load_dword s8, s[8:9], 0x0
	s_waitcnt lgkmcnt(0)
	v_add_u32_e32 v10, s31, v24
	s_sub_i32 s18, s8, s38
	v_cmp_gt_i32_e32 vcc, s18, v10
	s_and_saveexec_b64 s[12:13], vcc
	s_cbranch_execz .LBB35_52
; %bb.41:
	s_add_i32 s19, s37, -1
	s_cmp_gt_i32 s19, s36
	s_cselect_b64 s[8:9], -1, 0
	s_add_i32 s10, s37, -2
	s_cmp_lg_u32 s10, s36
	s_cselect_b64 s[10:11], -1, 0
	s_and_b64 s[8:9], s[8:9], s[10:11]
	v_cndmask_b32_e64 v2, 0, 1, s[8:9]
	s_mov_b64 s[14:15], 0
	v_cmp_ne_u32_e64 s[8:9], 1, v2
	v_mov_b32_e32 v25, s21
	v_mov_b32_e32 v26, s23
	s_branch .LBB35_43
.LBB35_42:                              ;   in Loop: Header=BB35_43 Depth=1
	s_or_b64 exec, exec, s[10:11]
	v_add_u32_e32 v10, 0x100, v10
	v_cmp_le_i32_e32 vcc, s18, v10
	s_or_b64 s[14:15], vcc, s[14:15]
	s_andn2_b64 exec, exec, s[14:15]
	s_cbranch_execz .LBB35_52
.LBB35_43:                              ; =>This Loop Header: Depth=1
                                        ;     Child Loop BB35_45 Depth 2
                                        ;     Child Loop BB35_49 Depth 2
	;; [unrolled: 1-line block ×3, first 2 shown]
	s_and_b64 vcc, exec, s[8:9]
	v_mov_b32_e32 v4, s36
	v_mov_b32_e32 v2, s19
	s_cbranch_vccnz .LBB35_47
; %bb.44:                               ;   in Loop: Header=BB35_43 Depth=1
	s_mov_b64 s[16:17], 0
	v_mov_b32_e32 v4, s36
	v_mov_b32_e32 v2, s19
.LBB35_45:                              ;   Parent Loop BB35_43 Depth=1
                                        ; =>  This Inner Loop Header: Depth=2
	v_add_u32_e32 v3, v2, v4
	v_lshrrev_b32_e32 v6, 31, v3
	v_add_u32_e32 v3, v3, v6
	v_ashrrev_i32_e32 v6, 1, v3
	v_ashrrev_i32_e32 v7, 31, v6
	v_lshlrev_b64 v[8:9], 2, v[6:7]
	v_mov_b32_e32 v5, s21
	v_add_co_u32_e32 v8, vcc, s20, v8
	v_addc_co_u32_e32 v9, vcc, v5, v9, vcc
	global_load_dword v3, v[8:9], off
	s_waitcnt vmcnt(0)
	v_subrev_u32_e32 v3, s38, v3
	v_cmp_gt_i32_e32 vcc, v3, v10
	v_cndmask_b32_e32 v2, v2, v6, vcc
	v_cndmask_b32_e32 v4, v6, v4, vcc
	v_add_u32_e32 v3, -1, v2
	v_cmp_ge_i32_e32 vcc, v4, v2
	v_cmp_eq_u32_e64 s[10:11], v4, v3
	s_or_b64 s[10:11], vcc, s[10:11]
	s_and_b64 s[10:11], exec, s[10:11]
	s_or_b64 s[16:17], s[10:11], s[16:17]
	s_andn2_b64 exec, exec, s[16:17]
	s_cbranch_execnz .LBB35_45
; %bb.46:                               ;   in Loop: Header=BB35_43 Depth=1
	s_or_b64 exec, exec, s[16:17]
.LBB35_47:                              ;   in Loop: Header=BB35_43 Depth=1
	v_ashrrev_i32_e32 v3, 31, v2
	v_lshlrev_b64 v[6:7], 2, v[2:3]
	v_add_co_u32_e32 v6, vcc, s20, v6
	v_addc_co_u32_e32 v7, vcc, v25, v7, vcc
	v_ashrrev_i32_e32 v11, 31, v10
	global_load_dword v3, v[6:7], off
	v_lshlrev_b64 v[6:7], 2, v[10:11]
	v_add_co_u32_e32 v6, vcc, s22, v6
	v_addc_co_u32_e32 v7, vcc, v26, v7, vcc
	global_load_dword v5, v[6:7], off
	s_waitcnt vmcnt(1)
	v_subrev_u32_e32 v3, s38, v3
	v_cmp_gt_i32_e32 vcc, v3, v10
	v_cndmask_b32_e32 v2, v2, v4, vcc
	s_waitcnt vmcnt(0)
	v_subrev_u32_e32 v4, s38, v5
	v_cmp_ne_u32_e32 vcc, v4, v2
	s_and_saveexec_b64 s[10:11], vcc
	s_cbranch_execz .LBB35_42
; %bb.48:                               ;   in Loop: Header=BB35_43 Depth=1
	v_ashrrev_i32_e32 v5, 31, v4
	v_lshlrev_b64 v[6:7], 4, v[4:5]
	v_lshlrev_b64 v[4:5], 4, v[10:11]
	v_mov_b32_e32 v3, s25
	v_add_co_u32_e32 v4, vcc, s24, v4
	v_addc_co_u32_e32 v5, vcc, v3, v5, vcc
	global_load_dwordx4 v[28:31], v[4:5], off
	v_ashrrev_i32_e32 v3, 31, v2
	v_lshlrev_b64 v[2:3], 4, v[2:3]
	v_mov_b32_e32 v4, s27
	v_add_co_u32_e32 v2, vcc, s26, v2
	v_addc_co_u32_e32 v3, vcc, v4, v3, vcc
	v_mov_b32_e32 v8, s35
	global_load_dwordx4 v[2:5], v[2:3], off
	v_add_co_u32_e32 v16, vcc, s34, v6
	v_addc_co_u32_e32 v17, vcc, v8, v7, vcc
	global_load_dwordx2 v[8:9], v[16:17], off
	s_mov_b64 s[16:17], 0
	s_waitcnt vmcnt(2)
	v_xor_b32_e32 v6, 0x80000000, v31
	v_cndmask_b32_e64 v31, v31, v6, s[6:7]
	v_mul_f64 v[20:21], v[12:13], v[30:31]
	v_mul_f64 v[18:19], v[30:31], -v[14:15]
	v_fmac_f64_e32 v[20:21], v[14:15], v[28:29]
	v_fmac_f64_e32 v[18:19], v[12:13], v[28:29]
	s_waitcnt vmcnt(1)
	v_mul_f64 v[22:23], v[4:5], -v[20:21]
	v_fmac_f64_e32 v[22:23], v[18:19], v[2:3]
.LBB35_49:                              ;   Parent Loop BB35_43 Depth=1
                                        ; =>  This Inner Loop Header: Depth=2
	s_waitcnt vmcnt(0)
	v_add_f64 v[6:7], v[8:9], v[22:23]
	global_atomic_cmpswap_x2 v[6:7], v[16:17], v[6:9], off glc
	s_waitcnt vmcnt(0)
	v_cmp_eq_u64_e32 vcc, v[6:7], v[8:9]
	s_or_b64 s[16:17], vcc, s[16:17]
	v_pk_mov_b32 v[8:9], v[6:7], v[6:7] op_sel:[0,1]
	s_andn2_b64 exec, exec, s[16:17]
	s_cbranch_execnz .LBB35_49
; %bb.50:                               ;   in Loop: Header=BB35_43 Depth=1
	s_or_b64 exec, exec, s[16:17]
	global_load_dwordx2 v[6:7], v[16:17], off offset:8
	v_mul_f64 v[8:9], v[4:5], v[18:19]
	v_fmac_f64_e32 v[8:9], v[20:21], v[2:3]
	s_mov_b64 s[16:17], 0
.LBB35_51:                              ;   Parent Loop BB35_43 Depth=1
                                        ; =>  This Inner Loop Header: Depth=2
	s_waitcnt vmcnt(0)
	v_add_f64 v[4:5], v[6:7], v[8:9]
	global_atomic_cmpswap_x2 v[2:3], v[16:17], v[4:7], off offset:8 glc
	s_waitcnt vmcnt(0)
	v_cmp_eq_u64_e32 vcc, v[2:3], v[6:7]
	s_or_b64 s[16:17], vcc, s[16:17]
	v_pk_mov_b32 v[6:7], v[2:3], v[2:3] op_sel:[0,1]
	s_andn2_b64 exec, exec, s[16:17]
	s_cbranch_execnz .LBB35_51
	s_branch .LBB35_42
.LBB35_52:
	s_or_b64 exec, exec, s[12:13]
	s_mov_b64 s[8:9], 0
.LBB35_53:
	s_and_b64 vcc, exec, s[8:9]
	s_cbranch_vccz .LBB35_206
; %bb.54:
	v_cvt_f32_u32_e32 v2, s28
	s_ashr_i32 s9, s36, 31
	s_mov_b32 s8, s36
	s_sub_i32 s10, 0, s28
	v_rcp_iflag_f32_e32 v2, v2
	s_lshl_b64 s[8:9], s[8:9], 2
	s_add_u32 s8, s20, s8
	s_addc_u32 s9, s21, s9
	s_load_dword s31, s[8:9], 0x0
	v_mul_f32_e32 v2, 0x4f7ffffe, v2
	v_cvt_u32_f32_e32 v2, v2
	s_load_dword s16, s[4:5], 0x74
	s_waitcnt lgkmcnt(0)
	v_add_u32_e32 v10, s31, v24
	v_readfirstlane_b32 s17, v2
	s_mul_i32 s10, s10, s17
	v_add_u32_e32 v22, 0x300, v10
	s_mul_hi_u32 s18, s17, s10
	v_cmp_le_i32_e32 vcc, s29, v22
	s_and_saveexec_b64 s[4:5], vcc
	s_xor_b64 s[10:11], exec, s[4:5]
	s_cbranch_execz .LBB35_59
; %bb.55:
	s_ashr_i32 s5, s37, 31
	s_mov_b32 s4, s37
	s_lshl_b64 s[4:5], s[4:5], 2
	s_add_u32 s4, s20, s4
	s_addc_u32 s5, s21, s5
	s_load_dword s4, s[4:5], 0x0
	s_waitcnt lgkmcnt(0)
	s_sub_i32 s19, s4, s31
	v_cmp_gt_i32_e64 s[4:5], s19, v0
	s_and_saveexec_b64 s[12:13], s[4:5]
	s_cbranch_execz .LBB35_58
; %bb.56:
	s_sub_i32 s29, s31, s38
	s_mov_b64 s[14:15], 0
	v_mov_b32_e32 v2, s25
	v_mov_b32_e32 v3, v0
	v_mov_b32_e32 v4, v1
.LBB35_57:                              ; =>This Inner Loop Header: Depth=1
	v_add_u32_e32 v6, s29, v3
	v_ashrrev_i32_e32 v7, 31, v6
	v_lshlrev_b64 v[6:7], 4, v[6:7]
	v_add_co_u32_e64 v6, s[4:5], s24, v6
	v_addc_co_u32_e64 v7, s[4:5], v2, v7, s[4:5]
	global_load_dwordx4 v[6:9], v[6:7], off
	v_add_u32_e32 v3, 0x100, v3
	v_cmp_le_i32_e64 s[4:5], s19, v3
	s_or_b64 s[14:15], s[4:5], s[14:15]
	s_waitcnt vmcnt(0)
	v_xor_b32_e32 v5, 0x80000000, v9
	v_cndmask_b32_e64 v9, v9, v5, s[6:7]
	v_mul_f64 v[16:17], v[8:9], -v[14:15]
	v_mul_f64 v[18:19], v[12:13], v[8:9]
	v_fmac_f64_e32 v[16:17], v[12:13], v[6:7]
	v_fmac_f64_e32 v[18:19], v[14:15], v[6:7]
	ds_write_b128 v4, v[16:19]
	v_add_u32_e32 v4, 0x1000, v4
	s_andn2_b64 exec, exec, s[14:15]
	s_cbranch_execnz .LBB35_57
.LBB35_58:
	s_or_b64 exec, exec, s[12:13]
                                        ; implicit-def: $vgpr14_vgpr15
                                        ; implicit-def: $vgpr12_vgpr13
.LBB35_59:
	s_or_saveexec_b64 s[10:11], s[10:11]
	s_and_b32 s29, s16, 0xffff
	s_add_i32 s12, s17, s18
	v_ashrrev_i32_e32 v11, 31, v10
	s_xor_b64 exec, exec, s[10:11]
	s_cbranch_execz .LBB35_61
; %bb.60:
	v_lshlrev_b64 v[2:3], 4, v[10:11]
	v_mov_b32_e32 v4, s25
	v_add_co_u32_e64 v20, s[4:5], s24, v2
	v_addc_co_u32_e64 v21, s[4:5], v4, v3, s[4:5]
	s_movk_i32 s4, 0x2000
	v_add_co_u32_e64 v24, s[4:5], s4, v20
	v_addc_co_u32_e64 v25, s[4:5], 0, v21, s[4:5]
	s_movk_i32 s4, 0x3000
	global_load_dwordx4 v[2:5], v[20:21], off
	v_add_co_u32_e64 v20, s[4:5], s4, v20
	v_addc_co_u32_e64 v21, s[4:5], 0, v21, s[4:5]
	global_load_dwordx4 v[6:9], v[24:25], off offset:-4096
	global_load_dwordx4 v[16:19], v[24:25], off
	s_nop 0
	global_load_dwordx4 v[24:27], v[20:21], off
	s_waitcnt vmcnt(3)
	v_xor_b32_e32 v20, 0x80000000, v5
	v_cndmask_b32_e64 v5, v5, v20, s[6:7]
	v_mul_f64 v[28:29], v[4:5], -v[14:15]
	v_mul_f64 v[30:31], v[12:13], v[4:5]
	s_waitcnt vmcnt(2)
	v_xor_b32_e32 v20, 0x80000000, v9
	s_waitcnt vmcnt(1)
	v_xor_b32_e32 v21, 0x80000000, v19
	v_cndmask_b32_e64 v9, v9, v20, s[6:7]
	s_waitcnt vmcnt(0)
	v_xor_b32_e32 v23, 0x80000000, v27
	v_cndmask_b32_e64 v19, v19, v21, s[6:7]
	v_cndmask_b32_e64 v27, v27, v23, s[6:7]
	v_fmac_f64_e32 v[28:29], v[12:13], v[2:3]
	v_fmac_f64_e32 v[30:31], v[14:15], v[2:3]
	v_mul_f64 v[2:3], v[8:9], -v[14:15]
	v_mul_f64 v[4:5], v[12:13], v[8:9]
	v_mul_f64 v[32:33], v[18:19], -v[14:15]
	v_mul_f64 v[34:35], v[12:13], v[18:19]
	v_mul_f64 v[18:19], v[26:27], -v[14:15]
	v_mul_f64 v[20:21], v[12:13], v[26:27]
	v_fmac_f64_e32 v[2:3], v[12:13], v[6:7]
	v_fmac_f64_e32 v[4:5], v[14:15], v[6:7]
	ds_write_b128 v1, v[28:31]
	v_fmac_f64_e32 v[32:33], v[12:13], v[16:17]
	v_fmac_f64_e32 v[34:35], v[14:15], v[16:17]
	;; [unrolled: 1-line block ×4, first 2 shown]
	ds_write_b128 v1, v[2:5] offset:4096
	ds_write_b128 v1, v[32:35] offset:8192
	;; [unrolled: 1-line block ×3, first 2 shown]
.LBB35_61:
	s_or_b64 exec, exec, s[10:11]
	s_mul_hi_u32 s24, s29, s12
	v_cmp_gt_i32_e64 s[4:5], s30, v0
	s_and_saveexec_b64 s[6:7], s[4:5]
	s_cbranch_execz .LBB35_64
; %bb.62:
	s_mov_b32 s4, 0
	v_mov_b32_e32 v2, 0x4000
	s_mov_b32 s5, s4
	s_mov_b32 s12, s4
	;; [unrolled: 1-line block ×3, first 2 shown]
	v_lshl_add_u32 v6, v0, 4, v2
	s_mov_b64 s[10:11], 0
	v_pk_mov_b32 v[2:3], s[4:5], s[4:5] op_sel:[0,1]
	v_pk_mov_b32 v[4:5], s[12:13], s[12:13] op_sel:[0,1]
	v_mov_b32_e32 v7, v0
.LBB35_63:                              ; =>This Inner Loop Header: Depth=1
	v_add_u32_e32 v7, 0x100, v7
	v_cmp_le_i32_e64 s[4:5], s30, v7
	ds_write2_b64 v6, v[2:3], v[4:5] offset1:1
	s_or_b64 s[10:11], s[4:5], s[10:11]
	v_add_u32_e32 v6, 0x1000, v6
	s_andn2_b64 exec, exec, s[10:11]
	s_cbranch_execnz .LBB35_63
.LBB35_64:
	s_or_b64 exec, exec, s[6:7]
	s_sub_i32 s4, s37, s30
	s_cmp_ge_i32 s37, s30
	s_cselect_b32 s25, s4, 0
	s_waitcnt lgkmcnt(0)
	s_barrier
	s_and_saveexec_b64 s[4:5], vcc
	s_xor_b64 s[10:11], exec, s[4:5]
	s_cbranch_execz .LBB35_85
; %bb.65:
	s_ashr_i32 s5, s37, 31
	s_mov_b32 s4, s37
	s_lshl_b64 s[4:5], s[4:5], 2
	s_add_u32 s4, s20, s4
	s_addc_u32 s5, s21, s5
	s_load_dword s4, s[4:5], 0x0
	s_waitcnt lgkmcnt(0)
	s_sub_i32 s33, s4, s31
	v_cmp_gt_i32_e32 vcc, s33, v0
	s_and_saveexec_b64 s[12:13], vcc
	s_cbranch_execz .LBB35_84
; %bb.66:
	s_add_i32 s39, s37, -1
	s_cmp_gt_i32 s39, s36
	s_cselect_b64 s[6:7], -1, 0
	s_add_i32 s5, s37, -2
	s_cmp_lg_u32 s5, s36
	s_cselect_b64 s[16:17], -1, 0
	s_sub_i32 s40, s4, s38
	s_and_b64 s[4:5], s[6:7], s[16:17]
	v_cndmask_b32_e64 v2, 0, 1, s[4:5]
	s_mov_b32 s41, 0
	s_mov_b64 s[14:15], 0
	v_cmp_ne_u32_e64 s[4:5], 1, v2
	v_mov_b32_e32 v11, s21
	v_mov_b32_e32 v22, s23
	;; [unrolled: 1-line block ×3, first 2 shown]
	s_branch .LBB35_69
.LBB35_67:                              ;   in Loop: Header=BB35_69 Depth=1
	s_or_b64 exec, exec, s[6:7]
.LBB35_68:                              ;   in Loop: Header=BB35_69 Depth=1
	s_or_b64 exec, exec, s[16:17]
	v_ashrrev_i32_e32 v13, 31, v12
	v_lshlrev_b64 v[6:7], 4, v[12:13]
	v_mov_b32_e32 v8, s27
	v_add_co_u32_e32 v6, vcc, s26, v6
	v_addc_co_u32_e32 v7, vcc, v8, v7, vcc
	global_load_dwordx4 v[6:9], v[6:7], off
	s_addk_i32 s41, 0x100
	v_add_u32_e32 v12, s41, v0
	v_cmp_le_i32_e32 vcc, s33, v12
	s_or_b64 s[14:15], vcc, s[14:15]
	s_waitcnt vmcnt(0)
	v_mul_f64 v[12:13], v[8:9], v[14:15]
	v_mul_f64 v[14:15], v[8:9], v[2:3]
	v_fmac_f64_e32 v[12:13], v[2:3], v[6:7]
	v_fmac_f64_e32 v[14:15], v[4:5], v[6:7]
	ds_write_b128 v24, v[12:15]
	s_andn2_b64 exec, exec, s[14:15]
	s_cbranch_execz .LBB35_84
.LBB35_69:                              ; =>This Loop Header: Depth=1
                                        ;     Child Loop BB35_71 Depth 2
                                        ;     Child Loop BB35_78 Depth 2
	;; [unrolled: 1-line block ×3, first 2 shown]
	v_add_u32_e32 v2, s41, v10
	s_and_b64 vcc, exec, s[4:5]
	v_mov_b32_e32 v6, s36
	v_mov_b32_e32 v4, s39
	s_cbranch_vccnz .LBB35_73
; %bb.70:                               ;   in Loop: Header=BB35_69 Depth=1
	s_mov_b64 s[16:17], 0
	v_mov_b32_e32 v6, s36
	v_mov_b32_e32 v4, s39
.LBB35_71:                              ;   Parent Loop BB35_69 Depth=1
                                        ; =>  This Inner Loop Header: Depth=2
	v_add_u32_e32 v3, v4, v6
	v_lshrrev_b32_e32 v7, 31, v3
	v_add_u32_e32 v3, v3, v7
	v_ashrrev_i32_e32 v8, 1, v3
	v_ashrrev_i32_e32 v9, 31, v8
	v_lshlrev_b64 v[12:13], 2, v[8:9]
	v_mov_b32_e32 v5, s21
	v_add_co_u32_e32 v12, vcc, s20, v12
	v_addc_co_u32_e32 v13, vcc, v5, v13, vcc
	global_load_dword v3, v[12:13], off
	s_waitcnt vmcnt(0)
	v_subrev_u32_e32 v3, s38, v3
	v_cmp_gt_i32_e32 vcc, v3, v2
	v_cndmask_b32_e32 v4, v4, v8, vcc
	v_cndmask_b32_e32 v6, v8, v6, vcc
	v_add_u32_e32 v3, -1, v4
	v_cmp_ge_i32_e32 vcc, v6, v4
	v_cmp_eq_u32_e64 s[6:7], v6, v3
	s_or_b64 s[6:7], vcc, s[6:7]
	s_and_b64 s[6:7], exec, s[6:7]
	s_or_b64 s[16:17], s[6:7], s[16:17]
	s_andn2_b64 exec, exec, s[16:17]
	s_cbranch_execnz .LBB35_71
; %bb.72:                               ;   in Loop: Header=BB35_69 Depth=1
	s_or_b64 exec, exec, s[16:17]
.LBB35_73:                              ;   in Loop: Header=BB35_69 Depth=1
	v_ashrrev_i32_e32 v5, 31, v4
	v_lshlrev_b64 v[8:9], 2, v[4:5]
	v_add_co_u32_e32 v8, vcc, s20, v8
	v_addc_co_u32_e32 v9, vcc, v11, v9, vcc
	v_ashrrev_i32_e32 v3, 31, v2
	global_load_dword v5, v[8:9], off
	v_lshlrev_b64 v[8:9], 2, v[2:3]
	v_add_co_u32_e32 v8, vcc, s22, v8
	v_addc_co_u32_e32 v9, vcc, v22, v9, vcc
	global_load_dword v3, v[8:9], off
	v_cmp_le_i32_e32 vcc, s40, v2
	v_lshl_add_u32 v24, s41, 4, v1
                                        ; implicit-def: $vgpr14_vgpr15
	s_waitcnt vmcnt(1)
	v_subrev_u32_e32 v5, s38, v5
	v_cmp_gt_i32_e64 s[6:7], v5, v2
	v_cndmask_b32_e64 v6, v4, v6, s[6:7]
	s_waitcnt vmcnt(0)
	v_subrev_u32_e32 v12, s38, v3
	v_cmp_eq_u32_e64 s[6:7], v12, v6
	s_or_b64 s[6:7], s[6:7], vcc
                                        ; implicit-def: $vgpr2_vgpr3
	s_and_saveexec_b64 s[16:17], s[6:7]
	s_xor_b64 s[6:7], exec, s[16:17]
	s_cbranch_execz .LBB35_75
; %bb.74:                               ;   in Loop: Header=BB35_69 Depth=1
	ds_read_b128 v[2:5], v24
                                        ; implicit-def: $vgpr6
	s_waitcnt lgkmcnt(0)
	v_xor_b32_e32 v15, 0x80000000, v5
	v_mov_b32_e32 v14, v4
.LBB35_75:                              ;   in Loop: Header=BB35_69 Depth=1
	s_andn2_saveexec_b64 s[16:17], s[6:7]
	s_cbranch_execz .LBB35_68
; %bb.76:                               ;   in Loop: Header=BB35_69 Depth=1
	v_ashrrev_i32_e32 v7, 31, v6
	v_lshlrev_b64 v[2:3], 4, v[6:7]
	v_mov_b32_e32 v4, s27
	v_add_co_u32_e32 v2, vcc, s26, v2
	v_addc_co_u32_e32 v3, vcc, v4, v3, vcc
	global_load_dwordx4 v[6:9], v[2:3], off
	ds_read_b128 v[2:5], v24
	v_cmp_gt_i32_e32 vcc, s25, v12
	v_cmp_le_i32_e64 s[6:7], s37, v12
	s_or_b64 s[6:7], vcc, s[6:7]
	s_waitcnt lgkmcnt(0)
	v_xor_b32_e32 v15, 0x80000000, v5
	v_mov_b32_e32 v14, v4
	s_waitcnt vmcnt(0)
	v_mul_f64 v[18:19], v[8:9], -v[4:5]
	v_mul_f64 v[16:17], v[8:9], v[2:3]
	v_fmac_f64_e32 v[18:19], v[2:3], v[6:7]
	v_fmac_f64_e32 v[16:17], v[4:5], v[6:7]
	s_and_saveexec_b64 s[18:19], s[6:7]
	s_xor_b64 s[6:7], exec, s[18:19]
	s_cbranch_execz .LBB35_82
; %bb.77:                               ;   in Loop: Header=BB35_69 Depth=1
	v_ashrrev_i32_e32 v13, 31, v12
	v_lshlrev_b64 v[6:7], 4, v[12:13]
	v_mov_b32_e32 v8, s35
	v_add_co_u32_e32 v20, vcc, s34, v6
	v_addc_co_u32_e32 v21, vcc, v8, v7, vcc
	global_load_dwordx2 v[8:9], v[20:21], off
	s_mov_b64 s[18:19], 0
.LBB35_78:                              ;   Parent Loop BB35_69 Depth=1
                                        ; =>  This Inner Loop Header: Depth=2
	s_waitcnt vmcnt(0)
	v_add_f64 v[6:7], v[8:9], v[18:19]
	global_atomic_cmpswap_x2 v[6:7], v[20:21], v[6:9], off glc
	s_waitcnt vmcnt(0)
	v_cmp_eq_u64_e32 vcc, v[6:7], v[8:9]
	s_or_b64 s[18:19], vcc, s[18:19]
	v_pk_mov_b32 v[8:9], v[6:7], v[6:7] op_sel:[0,1]
	s_andn2_b64 exec, exec, s[18:19]
	s_cbranch_execnz .LBB35_78
; %bb.79:                               ;   in Loop: Header=BB35_69 Depth=1
	s_or_b64 exec, exec, s[18:19]
	global_load_dwordx2 v[8:9], v[20:21], off offset:8
	s_mov_b64 s[18:19], 0
.LBB35_80:                              ;   Parent Loop BB35_69 Depth=1
                                        ; =>  This Inner Loop Header: Depth=2
	s_waitcnt vmcnt(0)
	v_add_f64 v[6:7], v[8:9], v[16:17]
	global_atomic_cmpswap_x2 v[6:7], v[20:21], v[6:9], off offset:8 glc
	s_waitcnt vmcnt(0)
	v_cmp_eq_u64_e32 vcc, v[6:7], v[8:9]
	s_or_b64 s[18:19], vcc, s[18:19]
	v_pk_mov_b32 v[8:9], v[6:7], v[6:7] op_sel:[0,1]
	s_andn2_b64 exec, exec, s[18:19]
	s_cbranch_execnz .LBB35_80
; %bb.81:                               ;   in Loop: Header=BB35_69 Depth=1
	s_or_b64 exec, exec, s[18:19]
                                        ; implicit-def: $vgpr18_vgpr19
                                        ; implicit-def: $vgpr16_vgpr17
.LBB35_82:                              ;   in Loop: Header=BB35_69 Depth=1
	s_andn2_saveexec_b64 s[6:7], s[6:7]
	s_cbranch_execz .LBB35_67
; %bb.83:                               ;   in Loop: Header=BB35_69 Depth=1
	v_subrev_u32_e32 v6, s25, v12
	v_lshl_add_u32 v6, v6, 4, v23
	ds_add_f64 v6, v[18:19]
	ds_add_f64 v6, v[16:17] offset:8
	s_branch .LBB35_67
.LBB35_84:
	s_or_b64 exec, exec, s[12:13]
                                        ; implicit-def: $vgpr22
                                        ; implicit-def: $vgpr10
.LBB35_85:
	s_andn2_saveexec_b64 s[10:11], s[10:11]
	s_cbranch_execz .LBB35_159
; %bb.86:
	s_add_i32 s33, s37, -1
	s_cmp_le_i32 s33, s36
	s_cselect_b64 s[4:5], -1, 0
	s_add_i32 s6, s37, -2
	s_cmp_eq_u32 s6, s36
	s_cselect_b64 s[6:7], -1, 0
	s_or_b64 s[6:7], s[4:5], s[6:7]
	s_and_b64 vcc, exec, s[6:7]
	v_mov_b32_e32 v4, s36
	v_mov_b32_e32 v2, s33
	s_cbranch_vccnz .LBB35_90
; %bb.87:
	s_mov_b64 s[12:13], 0
	v_mov_b32_e32 v4, s36
	v_mov_b32_e32 v2, s33
	;; [unrolled: 1-line block ×3, first 2 shown]
.LBB35_88:                              ; =>This Inner Loop Header: Depth=1
	v_add_u32_e32 v5, v2, v4
	v_lshrrev_b32_e32 v6, 31, v5
	v_add_u32_e32 v5, v5, v6
	v_ashrrev_i32_e32 v6, 1, v5
	v_ashrrev_i32_e32 v7, 31, v6
	v_lshlrev_b64 v[8:9], 2, v[6:7]
	v_add_co_u32_e32 v8, vcc, s20, v8
	v_addc_co_u32_e32 v9, vcc, v3, v9, vcc
	global_load_dword v5, v[8:9], off
	s_waitcnt vmcnt(0)
	v_subrev_u32_e32 v5, s38, v5
	v_cmp_gt_i32_e32 vcc, v5, v10
	v_cndmask_b32_e32 v2, v2, v6, vcc
	v_cndmask_b32_e32 v4, v6, v4, vcc
	v_add_u32_e32 v5, -1, v2
	v_cmp_ge_i32_e32 vcc, v4, v2
	v_cmp_eq_u32_e64 s[4:5], v4, v5
	s_or_b64 s[4:5], vcc, s[4:5]
	s_and_b64 s[4:5], exec, s[4:5]
	s_or_b64 s[12:13], s[4:5], s[12:13]
	s_andn2_b64 exec, exec, s[12:13]
	s_cbranch_execnz .LBB35_88
; %bb.89:
	s_or_b64 exec, exec, s[12:13]
.LBB35_90:
	v_ashrrev_i32_e32 v3, 31, v2
	v_lshlrev_b64 v[6:7], 2, v[2:3]
	v_mov_b32_e32 v3, s21
	v_add_co_u32_e32 v6, vcc, s20, v6
	v_addc_co_u32_e32 v7, vcc, v3, v7, vcc
	global_load_dword v3, v[6:7], off
	v_lshlrev_b64 v[6:7], 2, v[10:11]
	v_mov_b32_e32 v5, s23
	v_add_co_u32_e32 v12, vcc, s22, v6
	v_addc_co_u32_e32 v13, vcc, v5, v7, vcc
	global_load_dword v5, v[12:13], off
	s_ashr_i32 s5, s37, 31
	s_mov_b32 s4, s37
	s_xor_b64 s[6:7], s[6:7], -1
	s_lshl_b64 s[4:5], s[4:5], 2
	s_add_u32 s12, s20, s4
	s_addc_u32 s13, s21, s5
	s_waitcnt vmcnt(1)
	v_subrev_u32_e32 v3, s38, v3
	v_cmp_gt_i32_e32 vcc, v3, v10
	v_cndmask_b32_e32 v6, v2, v4, vcc
                                        ; implicit-def: $vgpr2_vgpr3
	s_waitcnt vmcnt(0)
	v_subrev_u32_e32 v14, s38, v5
	v_cmp_ne_u32_e32 vcc, v14, v6
	s_and_saveexec_b64 s[4:5], vcc
	s_xor_b64 s[14:15], exec, s[4:5]
	s_cbranch_execz .LBB35_102
; %bb.91:
	s_load_dword s4, s[12:13], 0x0
	ds_read_b128 v[2:5], v1
	s_waitcnt lgkmcnt(0)
	s_sub_i32 s4, s4, s38
	v_cmp_gt_i32_e32 vcc, s4, v10
	s_and_saveexec_b64 s[16:17], vcc
	s_cbranch_execz .LBB35_101
; %bb.92:
	v_ashrrev_i32_e32 v7, 31, v6
	v_lshlrev_b64 v[6:7], 4, v[6:7]
	v_mov_b32_e32 v8, s27
	v_add_co_u32_e32 v6, vcc, s26, v6
	v_addc_co_u32_e32 v7, vcc, v8, v7, vcc
	global_load_dwordx4 v[6:9], v[6:7], off
	v_cmp_gt_i32_e32 vcc, s25, v14
	v_cmp_le_i32_e64 s[4:5], s37, v14
	s_or_b64 s[4:5], vcc, s[4:5]
	s_waitcnt vmcnt(0)
	v_mul_f64 v[18:19], v[8:9], -v[4:5]
	v_mul_f64 v[16:17], v[8:9], v[2:3]
	v_fmac_f64_e32 v[18:19], v[2:3], v[6:7]
	v_fmac_f64_e32 v[16:17], v[4:5], v[6:7]
	s_and_saveexec_b64 s[18:19], s[4:5]
	s_xor_b64 s[4:5], exec, s[18:19]
	s_cbranch_execz .LBB35_98
; %bb.93:
	v_ashrrev_i32_e32 v15, 31, v14
	v_lshlrev_b64 v[6:7], 4, v[14:15]
	v_mov_b32_e32 v8, s35
	v_add_co_u32_e32 v20, vcc, s34, v6
	v_addc_co_u32_e32 v21, vcc, v8, v7, vcc
	global_load_dwordx2 v[8:9], v[20:21], off
	s_mov_b64 s[18:19], 0
.LBB35_94:                              ; =>This Inner Loop Header: Depth=1
	s_waitcnt vmcnt(0)
	v_add_f64 v[6:7], v[8:9], v[18:19]
	global_atomic_cmpswap_x2 v[6:7], v[20:21], v[6:9], off glc
	s_waitcnt vmcnt(0)
	v_cmp_eq_u64_e32 vcc, v[6:7], v[8:9]
	s_or_b64 s[18:19], vcc, s[18:19]
	v_pk_mov_b32 v[8:9], v[6:7], v[6:7] op_sel:[0,1]
	s_andn2_b64 exec, exec, s[18:19]
	s_cbranch_execnz .LBB35_94
; %bb.95:
	s_or_b64 exec, exec, s[18:19]
	global_load_dwordx2 v[8:9], v[20:21], off offset:8
	s_mov_b64 s[18:19], 0
.LBB35_96:                              ; =>This Inner Loop Header: Depth=1
	s_waitcnt vmcnt(0)
	v_add_f64 v[6:7], v[8:9], v[16:17]
	global_atomic_cmpswap_x2 v[6:7], v[20:21], v[6:9], off offset:8 glc
	s_waitcnt vmcnt(0)
	v_cmp_eq_u64_e32 vcc, v[6:7], v[8:9]
	s_or_b64 s[18:19], vcc, s[18:19]
	v_pk_mov_b32 v[8:9], v[6:7], v[6:7] op_sel:[0,1]
	s_andn2_b64 exec, exec, s[18:19]
	s_cbranch_execnz .LBB35_96
; %bb.97:
	s_or_b64 exec, exec, s[18:19]
                                        ; implicit-def: $vgpr18_vgpr19
                                        ; implicit-def: $vgpr16_vgpr17
.LBB35_98:
	s_andn2_saveexec_b64 s[4:5], s[4:5]
	s_cbranch_execz .LBB35_100
; %bb.99:
	v_subrev_u32_e32 v6, s25, v14
	v_mov_b32_e32 v7, 0x4000
	v_lshl_add_u32 v6, v6, 4, v7
	ds_add_f64 v6, v[18:19]
	ds_add_f64 v6, v[16:17] offset:8
.LBB35_100:
	s_or_b64 exec, exec, s[4:5]
.LBB35_101:
	s_or_b64 exec, exec, s[16:17]
.LBB35_102:
	s_andn2_saveexec_b64 s[4:5], s[14:15]
	s_cbranch_execz .LBB35_104
; %bb.103:
	ds_read_b128 v[2:5], v1
.LBB35_104:
	s_or_b64 exec, exec, s[4:5]
	v_ashrrev_i32_e32 v15, 31, v14
	v_lshlrev_b64 v[6:7], 4, v[14:15]
	v_mov_b32_e32 v8, s27
	v_add_co_u32_e32 v6, vcc, s26, v6
	v_addc_co_u32_e32 v7, vcc, v8, v7, vcc
	global_load_dwordx4 v[14:17], v[6:7], off
	v_cndmask_b32_e64 v8, 0, 1, s[6:7]
	v_add_u32_e32 v7, 0x100, v10
	v_mov_b32_e32 v6, s36
	v_cmp_ne_u32_e64 s[4:5], 1, v8
	s_andn2_b64 vcc, exec, s[6:7]
	s_waitcnt vmcnt(0) lgkmcnt(0)
	v_mul_f64 v[18:19], v[16:17], -v[4:5]
	v_mul_f64 v[20:21], v[16:17], v[2:3]
	v_fmac_f64_e32 v[18:19], v[2:3], v[14:15]
	v_fmac_f64_e32 v[20:21], v[4:5], v[14:15]
	v_mov_b32_e32 v2, s33
	ds_write_b128 v1, v[18:21]
	s_cbranch_vccnz .LBB35_108
; %bb.105:
	s_mov_b64 s[14:15], 0
	v_mov_b32_e32 v6, s36
	v_mov_b32_e32 v2, s33
	;; [unrolled: 1-line block ×3, first 2 shown]
.LBB35_106:                             ; =>This Inner Loop Header: Depth=1
	v_add_u32_e32 v4, v2, v6
	v_lshrrev_b32_e32 v5, 31, v4
	v_add_u32_e32 v4, v4, v5
	v_ashrrev_i32_e32 v4, 1, v4
	v_ashrrev_i32_e32 v5, 31, v4
	v_lshlrev_b64 v[8:9], 2, v[4:5]
	v_add_co_u32_e32 v8, vcc, s20, v8
	v_addc_co_u32_e32 v9, vcc, v3, v9, vcc
	global_load_dword v5, v[8:9], off
	s_waitcnt vmcnt(0)
	v_subrev_u32_e32 v5, s38, v5
	v_cmp_gt_i32_e32 vcc, v5, v7
	v_cndmask_b32_e32 v2, v2, v4, vcc
	v_cndmask_b32_e32 v6, v4, v6, vcc
	v_add_u32_e32 v4, -1, v2
	v_cmp_ge_i32_e32 vcc, v6, v2
	v_cmp_eq_u32_e64 s[6:7], v6, v4
	s_or_b64 s[6:7], vcc, s[6:7]
	s_and_b64 s[6:7], exec, s[6:7]
	s_or_b64 s[14:15], s[6:7], s[14:15]
	s_andn2_b64 exec, exec, s[14:15]
	s_cbranch_execnz .LBB35_106
; %bb.107:
	s_or_b64 exec, exec, s[14:15]
.LBB35_108:
	v_ashrrev_i32_e32 v3, 31, v2
	v_lshlrev_b64 v[4:5], 2, v[2:3]
	v_mov_b32_e32 v3, s21
	v_add_co_u32_e32 v4, vcc, s20, v4
	v_addc_co_u32_e32 v5, vcc, v3, v5, vcc
	global_load_dword v3, v[4:5], off
	global_load_dword v8, v[12:13], off offset:1024
	s_waitcnt vmcnt(1)
	v_subrev_u32_e32 v3, s38, v3
	v_cmp_gt_i32_e32 vcc, v3, v7
	v_cndmask_b32_e32 v6, v2, v6, vcc
	s_waitcnt vmcnt(0)
	v_subrev_u32_e32 v14, s38, v8
	v_cmp_ne_u32_e32 vcc, v14, v6
                                        ; implicit-def: $vgpr2_vgpr3
	s_and_saveexec_b64 s[6:7], vcc
	s_xor_b64 s[14:15], exec, s[6:7]
	s_cbranch_execz .LBB35_120
; %bb.109:
	s_load_dword s6, s[12:13], 0x0
	ds_read_b128 v[2:5], v1 offset:4096
	s_waitcnt lgkmcnt(0)
	s_sub_i32 s6, s6, s38
	v_cmp_gt_i32_e32 vcc, s6, v7
	s_and_saveexec_b64 s[16:17], vcc
	s_cbranch_execz .LBB35_119
; %bb.110:
	v_ashrrev_i32_e32 v7, 31, v6
	v_lshlrev_b64 v[6:7], 4, v[6:7]
	v_mov_b32_e32 v8, s27
	v_add_co_u32_e32 v6, vcc, s26, v6
	v_addc_co_u32_e32 v7, vcc, v8, v7, vcc
	global_load_dwordx4 v[6:9], v[6:7], off
	v_cmp_gt_i32_e32 vcc, s25, v14
	v_cmp_le_i32_e64 s[6:7], s37, v14
	s_or_b64 s[6:7], vcc, s[6:7]
	s_waitcnt vmcnt(0)
	v_mul_f64 v[18:19], v[8:9], -v[4:5]
	v_mul_f64 v[16:17], v[8:9], v[2:3]
	v_fmac_f64_e32 v[18:19], v[2:3], v[6:7]
	v_fmac_f64_e32 v[16:17], v[4:5], v[6:7]
	s_and_saveexec_b64 s[18:19], s[6:7]
	s_xor_b64 s[6:7], exec, s[18:19]
	s_cbranch_execz .LBB35_116
; %bb.111:
	v_ashrrev_i32_e32 v15, 31, v14
	v_lshlrev_b64 v[6:7], 4, v[14:15]
	v_mov_b32_e32 v8, s35
	v_add_co_u32_e32 v20, vcc, s34, v6
	v_addc_co_u32_e32 v21, vcc, v8, v7, vcc
	global_load_dwordx2 v[8:9], v[20:21], off
	s_mov_b64 s[18:19], 0
.LBB35_112:                             ; =>This Inner Loop Header: Depth=1
	s_waitcnt vmcnt(0)
	v_add_f64 v[6:7], v[8:9], v[18:19]
	global_atomic_cmpswap_x2 v[6:7], v[20:21], v[6:9], off glc
	s_waitcnt vmcnt(0)
	v_cmp_eq_u64_e32 vcc, v[6:7], v[8:9]
	s_or_b64 s[18:19], vcc, s[18:19]
	v_pk_mov_b32 v[8:9], v[6:7], v[6:7] op_sel:[0,1]
	s_andn2_b64 exec, exec, s[18:19]
	s_cbranch_execnz .LBB35_112
; %bb.113:
	s_or_b64 exec, exec, s[18:19]
	global_load_dwordx2 v[8:9], v[20:21], off offset:8
	s_mov_b64 s[18:19], 0
.LBB35_114:                             ; =>This Inner Loop Header: Depth=1
	s_waitcnt vmcnt(0)
	v_add_f64 v[6:7], v[8:9], v[16:17]
	global_atomic_cmpswap_x2 v[6:7], v[20:21], v[6:9], off offset:8 glc
	s_waitcnt vmcnt(0)
	v_cmp_eq_u64_e32 vcc, v[6:7], v[8:9]
	s_or_b64 s[18:19], vcc, s[18:19]
	v_pk_mov_b32 v[8:9], v[6:7], v[6:7] op_sel:[0,1]
	s_andn2_b64 exec, exec, s[18:19]
	s_cbranch_execnz .LBB35_114
; %bb.115:
	s_or_b64 exec, exec, s[18:19]
                                        ; implicit-def: $vgpr18_vgpr19
                                        ; implicit-def: $vgpr16_vgpr17
.LBB35_116:
	s_andn2_saveexec_b64 s[6:7], s[6:7]
	s_cbranch_execz .LBB35_118
; %bb.117:
	v_subrev_u32_e32 v6, s25, v14
	v_mov_b32_e32 v7, 0x4000
	v_lshl_add_u32 v6, v6, 4, v7
	ds_add_f64 v6, v[18:19]
	ds_add_f64 v6, v[16:17] offset:8
.LBB35_118:
	s_or_b64 exec, exec, s[6:7]
.LBB35_119:
	s_or_b64 exec, exec, s[16:17]
.LBB35_120:
	s_andn2_saveexec_b64 s[6:7], s[14:15]
	s_cbranch_execz .LBB35_122
; %bb.121:
	ds_read_b128 v[2:5], v1 offset:4096
.LBB35_122:
	s_or_b64 exec, exec, s[6:7]
	v_ashrrev_i32_e32 v15, 31, v14
	v_lshlrev_b64 v[6:7], 4, v[14:15]
	v_mov_b32_e32 v8, s27
	v_add_co_u32_e32 v6, vcc, s26, v6
	v_addc_co_u32_e32 v7, vcc, v8, v7, vcc
	global_load_dwordx4 v[14:17], v[6:7], off
	v_add_u32_e32 v7, 0x200, v10
	s_and_b64 vcc, exec, s[4:5]
	v_mov_b32_e32 v6, s36
	s_waitcnt vmcnt(0) lgkmcnt(0)
	v_mul_f64 v[8:9], v[16:17], -v[4:5]
	v_mul_f64 v[10:11], v[16:17], v[2:3]
	v_fmac_f64_e32 v[8:9], v[2:3], v[14:15]
	v_fmac_f64_e32 v[10:11], v[4:5], v[14:15]
	v_mov_b32_e32 v2, s33
	ds_write_b128 v1, v[8:11] offset:4096
	s_cbranch_vccnz .LBB35_126
; %bb.123:
	s_mov_b64 s[14:15], 0
	v_mov_b32_e32 v6, s36
	v_mov_b32_e32 v2, s33
	;; [unrolled: 1-line block ×3, first 2 shown]
.LBB35_124:                             ; =>This Inner Loop Header: Depth=1
	v_add_u32_e32 v4, v2, v6
	v_lshrrev_b32_e32 v5, 31, v4
	v_add_u32_e32 v4, v4, v5
	v_ashrrev_i32_e32 v4, 1, v4
	v_ashrrev_i32_e32 v5, 31, v4
	v_lshlrev_b64 v[8:9], 2, v[4:5]
	v_add_co_u32_e32 v8, vcc, s20, v8
	v_addc_co_u32_e32 v9, vcc, v3, v9, vcc
	global_load_dword v5, v[8:9], off
	s_waitcnt vmcnt(0)
	v_subrev_u32_e32 v5, s38, v5
	v_cmp_gt_i32_e32 vcc, v5, v7
	v_cndmask_b32_e32 v2, v2, v4, vcc
	v_cndmask_b32_e32 v6, v4, v6, vcc
	v_add_u32_e32 v4, -1, v2
	v_cmp_ge_i32_e32 vcc, v6, v2
	v_cmp_eq_u32_e64 s[6:7], v6, v4
	s_or_b64 s[6:7], vcc, s[6:7]
	s_and_b64 s[6:7], exec, s[6:7]
	s_or_b64 s[14:15], s[6:7], s[14:15]
	s_andn2_b64 exec, exec, s[14:15]
	s_cbranch_execnz .LBB35_124
; %bb.125:
	s_or_b64 exec, exec, s[14:15]
.LBB35_126:
	v_ashrrev_i32_e32 v3, 31, v2
	v_lshlrev_b64 v[4:5], 2, v[2:3]
	v_mov_b32_e32 v3, s21
	v_add_co_u32_e32 v4, vcc, s20, v4
	v_addc_co_u32_e32 v5, vcc, v3, v5, vcc
	global_load_dword v3, v[4:5], off
	global_load_dword v8, v[12:13], off offset:2048
	s_waitcnt vmcnt(1)
	v_subrev_u32_e32 v3, s38, v3
	v_cmp_gt_i32_e32 vcc, v3, v7
	v_cndmask_b32_e32 v6, v2, v6, vcc
	s_waitcnt vmcnt(0)
	v_subrev_u32_e32 v10, s38, v8
	v_cmp_ne_u32_e32 vcc, v10, v6
                                        ; implicit-def: $vgpr2_vgpr3
	s_and_saveexec_b64 s[6:7], vcc
	s_xor_b64 s[14:15], exec, s[6:7]
	s_cbranch_execz .LBB35_138
; %bb.127:
	s_load_dword s6, s[12:13], 0x0
	ds_read_b128 v[2:5], v1 offset:8192
	s_waitcnt lgkmcnt(0)
	s_sub_i32 s6, s6, s38
	v_cmp_gt_i32_e32 vcc, s6, v7
	s_and_saveexec_b64 s[16:17], vcc
	s_cbranch_execz .LBB35_137
; %bb.128:
	v_ashrrev_i32_e32 v7, 31, v6
	v_lshlrev_b64 v[6:7], 4, v[6:7]
	v_mov_b32_e32 v8, s27
	v_add_co_u32_e32 v6, vcc, s26, v6
	v_addc_co_u32_e32 v7, vcc, v8, v7, vcc
	global_load_dwordx4 v[6:9], v[6:7], off
	v_cmp_gt_i32_e32 vcc, s25, v10
	v_cmp_le_i32_e64 s[6:7], s37, v10
	s_or_b64 s[6:7], vcc, s[6:7]
	s_waitcnt vmcnt(0)
	v_mul_f64 v[16:17], v[8:9], -v[4:5]
	v_mul_f64 v[14:15], v[8:9], v[2:3]
	v_fmac_f64_e32 v[16:17], v[2:3], v[6:7]
	v_fmac_f64_e32 v[14:15], v[4:5], v[6:7]
	s_and_saveexec_b64 s[18:19], s[6:7]
	s_xor_b64 s[6:7], exec, s[18:19]
	s_cbranch_execz .LBB35_134
; %bb.129:
	v_ashrrev_i32_e32 v11, 31, v10
	v_lshlrev_b64 v[6:7], 4, v[10:11]
	v_mov_b32_e32 v8, s35
	v_add_co_u32_e32 v18, vcc, s34, v6
	v_addc_co_u32_e32 v19, vcc, v8, v7, vcc
	global_load_dwordx2 v[8:9], v[18:19], off
	s_mov_b64 s[18:19], 0
.LBB35_130:                             ; =>This Inner Loop Header: Depth=1
	s_waitcnt vmcnt(0)
	v_add_f64 v[6:7], v[8:9], v[16:17]
	global_atomic_cmpswap_x2 v[6:7], v[18:19], v[6:9], off glc
	s_waitcnt vmcnt(0)
	v_cmp_eq_u64_e32 vcc, v[6:7], v[8:9]
	s_or_b64 s[18:19], vcc, s[18:19]
	v_pk_mov_b32 v[8:9], v[6:7], v[6:7] op_sel:[0,1]
	s_andn2_b64 exec, exec, s[18:19]
	s_cbranch_execnz .LBB35_130
; %bb.131:
	s_or_b64 exec, exec, s[18:19]
	global_load_dwordx2 v[8:9], v[18:19], off offset:8
	s_mov_b64 s[18:19], 0
.LBB35_132:                             ; =>This Inner Loop Header: Depth=1
	s_waitcnt vmcnt(0)
	v_add_f64 v[6:7], v[8:9], v[14:15]
	global_atomic_cmpswap_x2 v[6:7], v[18:19], v[6:9], off offset:8 glc
	s_waitcnt vmcnt(0)
	v_cmp_eq_u64_e32 vcc, v[6:7], v[8:9]
	s_or_b64 s[18:19], vcc, s[18:19]
	v_pk_mov_b32 v[8:9], v[6:7], v[6:7] op_sel:[0,1]
	s_andn2_b64 exec, exec, s[18:19]
	s_cbranch_execnz .LBB35_132
; %bb.133:
	s_or_b64 exec, exec, s[18:19]
                                        ; implicit-def: $vgpr16_vgpr17
                                        ; implicit-def: $vgpr14_vgpr15
.LBB35_134:
	s_andn2_saveexec_b64 s[6:7], s[6:7]
	s_cbranch_execz .LBB35_136
; %bb.135:
	v_subrev_u32_e32 v6, s25, v10
	v_mov_b32_e32 v7, 0x4000
	v_lshl_add_u32 v6, v6, 4, v7
	ds_add_f64 v6, v[16:17]
	ds_add_f64 v6, v[14:15] offset:8
.LBB35_136:
	s_or_b64 exec, exec, s[6:7]
.LBB35_137:
	s_or_b64 exec, exec, s[16:17]
.LBB35_138:
	s_andn2_saveexec_b64 s[6:7], s[14:15]
	s_cbranch_execz .LBB35_140
; %bb.139:
	ds_read_b128 v[2:5], v1 offset:8192
.LBB35_140:
	s_or_b64 exec, exec, s[6:7]
	v_ashrrev_i32_e32 v11, 31, v10
	v_lshlrev_b64 v[6:7], 4, v[10:11]
	v_mov_b32_e32 v8, s27
	v_add_co_u32_e32 v6, vcc, s26, v6
	v_addc_co_u32_e32 v7, vcc, v8, v7, vcc
	global_load_dwordx4 v[8:11], v[6:7], off
	s_and_b64 vcc, exec, s[4:5]
	v_mov_b32_e32 v6, s36
	s_waitcnt vmcnt(0) lgkmcnt(0)
	v_mul_f64 v[14:15], v[10:11], -v[4:5]
	v_mul_f64 v[16:17], v[10:11], v[2:3]
	v_fmac_f64_e32 v[14:15], v[2:3], v[8:9]
	v_fmac_f64_e32 v[16:17], v[4:5], v[8:9]
	v_mov_b32_e32 v2, s33
	ds_write_b128 v1, v[14:17] offset:8192
	s_cbranch_vccnz .LBB35_144
; %bb.141:
	s_mov_b64 s[6:7], 0
	v_mov_b32_e32 v6, s36
	v_mov_b32_e32 v2, s33
	v_mov_b32_e32 v3, s21
.LBB35_142:                             ; =>This Inner Loop Header: Depth=1
	v_add_u32_e32 v4, v2, v6
	v_lshrrev_b32_e32 v5, 31, v4
	v_add_u32_e32 v4, v4, v5
	v_ashrrev_i32_e32 v4, 1, v4
	v_ashrrev_i32_e32 v5, 31, v4
	v_lshlrev_b64 v[8:9], 2, v[4:5]
	v_add_co_u32_e32 v8, vcc, s20, v8
	v_addc_co_u32_e32 v9, vcc, v3, v9, vcc
	global_load_dword v5, v[8:9], off
	s_waitcnt vmcnt(0)
	v_subrev_u32_e32 v5, s38, v5
	v_cmp_gt_i32_e32 vcc, v5, v22
	v_cndmask_b32_e32 v2, v2, v4, vcc
	v_cndmask_b32_e32 v6, v4, v6, vcc
	v_add_u32_e32 v4, -1, v2
	v_cmp_ge_i32_e32 vcc, v6, v2
	v_cmp_eq_u32_e64 s[4:5], v6, v4
	s_or_b64 s[4:5], vcc, s[4:5]
	s_and_b64 s[4:5], exec, s[4:5]
	s_or_b64 s[6:7], s[4:5], s[6:7]
	s_andn2_b64 exec, exec, s[6:7]
	s_cbranch_execnz .LBB35_142
; %bb.143:
	s_or_b64 exec, exec, s[6:7]
.LBB35_144:
	v_ashrrev_i32_e32 v3, 31, v2
	v_lshlrev_b64 v[4:5], 2, v[2:3]
	v_mov_b32_e32 v3, s21
	v_add_co_u32_e32 v4, vcc, s20, v4
	v_addc_co_u32_e32 v5, vcc, v3, v5, vcc
	global_load_dword v3, v[4:5], off
	global_load_dword v7, v[12:13], off offset:3072
	s_waitcnt vmcnt(1)
	v_subrev_u32_e32 v3, s38, v3
	v_cmp_gt_i32_e32 vcc, v3, v22
	v_cndmask_b32_e32 v6, v2, v6, vcc
	s_waitcnt vmcnt(0)
	v_subrev_u32_e32 v10, s38, v7
	v_cmp_ne_u32_e32 vcc, v10, v6
                                        ; implicit-def: $vgpr2_vgpr3
	s_and_saveexec_b64 s[4:5], vcc
	s_xor_b64 s[6:7], exec, s[4:5]
	s_cbranch_execz .LBB35_156
; %bb.145:
	s_load_dword s4, s[12:13], 0x0
	ds_read_b128 v[2:5], v1 offset:12288
	s_waitcnt lgkmcnt(0)
	s_sub_i32 s4, s4, s38
	v_cmp_gt_i32_e32 vcc, s4, v22
	s_and_saveexec_b64 s[12:13], vcc
	s_cbranch_execz .LBB35_155
; %bb.146:
	v_ashrrev_i32_e32 v7, 31, v6
	v_lshlrev_b64 v[6:7], 4, v[6:7]
	v_mov_b32_e32 v8, s27
	v_add_co_u32_e32 v6, vcc, s26, v6
	v_addc_co_u32_e32 v7, vcc, v8, v7, vcc
	global_load_dwordx4 v[6:9], v[6:7], off
	v_cmp_gt_i32_e32 vcc, s25, v10
	v_cmp_le_i32_e64 s[4:5], s37, v10
	s_or_b64 s[4:5], vcc, s[4:5]
	s_waitcnt vmcnt(0)
	v_mul_f64 v[14:15], v[8:9], -v[4:5]
	v_mul_f64 v[12:13], v[8:9], v[2:3]
	v_fmac_f64_e32 v[14:15], v[2:3], v[6:7]
	v_fmac_f64_e32 v[12:13], v[4:5], v[6:7]
	s_and_saveexec_b64 s[14:15], s[4:5]
	s_xor_b64 s[4:5], exec, s[14:15]
	s_cbranch_execz .LBB35_152
; %bb.147:
	v_ashrrev_i32_e32 v11, 31, v10
	v_lshlrev_b64 v[6:7], 4, v[10:11]
	v_mov_b32_e32 v8, s35
	v_add_co_u32_e32 v16, vcc, s34, v6
	v_addc_co_u32_e32 v17, vcc, v8, v7, vcc
	global_load_dwordx2 v[8:9], v[16:17], off
	s_mov_b64 s[14:15], 0
.LBB35_148:                             ; =>This Inner Loop Header: Depth=1
	s_waitcnt vmcnt(0)
	v_add_f64 v[6:7], v[8:9], v[14:15]
	global_atomic_cmpswap_x2 v[6:7], v[16:17], v[6:9], off glc
	s_waitcnt vmcnt(0)
	v_cmp_eq_u64_e32 vcc, v[6:7], v[8:9]
	s_or_b64 s[14:15], vcc, s[14:15]
	v_pk_mov_b32 v[8:9], v[6:7], v[6:7] op_sel:[0,1]
	s_andn2_b64 exec, exec, s[14:15]
	s_cbranch_execnz .LBB35_148
; %bb.149:
	s_or_b64 exec, exec, s[14:15]
	global_load_dwordx2 v[8:9], v[16:17], off offset:8
	s_mov_b64 s[14:15], 0
.LBB35_150:                             ; =>This Inner Loop Header: Depth=1
	s_waitcnt vmcnt(0)
	v_add_f64 v[6:7], v[8:9], v[12:13]
	global_atomic_cmpswap_x2 v[6:7], v[16:17], v[6:9], off offset:8 glc
	s_waitcnt vmcnt(0)
	v_cmp_eq_u64_e32 vcc, v[6:7], v[8:9]
	s_or_b64 s[14:15], vcc, s[14:15]
	v_pk_mov_b32 v[8:9], v[6:7], v[6:7] op_sel:[0,1]
	s_andn2_b64 exec, exec, s[14:15]
	s_cbranch_execnz .LBB35_150
; %bb.151:
	s_or_b64 exec, exec, s[14:15]
                                        ; implicit-def: $vgpr14_vgpr15
                                        ; implicit-def: $vgpr12_vgpr13
.LBB35_152:
	s_andn2_saveexec_b64 s[4:5], s[4:5]
	s_cbranch_execz .LBB35_154
; %bb.153:
	v_subrev_u32_e32 v6, s25, v10
	v_mov_b32_e32 v7, 0x4000
	v_lshl_add_u32 v6, v6, 4, v7
	ds_add_f64 v6, v[14:15]
	ds_add_f64 v6, v[12:13] offset:8
.LBB35_154:
	s_or_b64 exec, exec, s[4:5]
.LBB35_155:
	s_or_b64 exec, exec, s[12:13]
.LBB35_156:
	s_andn2_saveexec_b64 s[4:5], s[6:7]
	s_cbranch_execz .LBB35_158
; %bb.157:
	ds_read_b128 v[2:5], v1 offset:12288
.LBB35_158:
	s_or_b64 exec, exec, s[4:5]
	v_ashrrev_i32_e32 v11, 31, v10
	v_lshlrev_b64 v[6:7], 4, v[10:11]
	v_mov_b32_e32 v8, s27
	v_add_co_u32_e32 v6, vcc, s26, v6
	v_addc_co_u32_e32 v7, vcc, v8, v7, vcc
	global_load_dwordx4 v[6:9], v[6:7], off
	s_waitcnt vmcnt(0) lgkmcnt(0)
	v_mul_f64 v[10:11], v[8:9], -v[4:5]
	v_mul_f64 v[12:13], v[8:9], v[2:3]
	v_fmac_f64_e32 v[10:11], v[2:3], v[6:7]
	v_fmac_f64_e32 v[12:13], v[4:5], v[6:7]
	ds_write_b128 v1, v[10:13] offset:12288
.LBB35_159:
	s_or_b64 exec, exec, s[10:11]
	s_min_i32 s12, s37, s30
	s_sub_i32 s14, s12, s28
	v_cmp_gt_i32_e32 vcc, s14, v0
	s_waitcnt lgkmcnt(0)
	s_barrier
	s_and_saveexec_b64 s[4:5], vcc
	s_cbranch_execz .LBB35_166
; %bb.160:
	s_mov_b64 s[6:7], 0
	v_mov_b32_e32 v12, s35
	v_mov_b32_e32 v13, 0x4000
	;; [unrolled: 1-line block ×3, first 2 shown]
.LBB35_161:                             ; =>This Loop Header: Depth=1
                                        ;     Child Loop BB35_162 Depth 2
                                        ;     Child Loop BB35_164 Depth 2
	v_add_u32_e32 v2, s25, v14
	v_ashrrev_i32_e32 v3, 31, v2
	v_lshlrev_b64 v[2:3], 4, v[2:3]
	v_add_co_u32_e32 v10, vcc, s34, v2
	v_addc_co_u32_e32 v11, vcc, v12, v3, vcc
	global_load_dwordx2 v[8:9], v[10:11], off
	v_lshl_add_u32 v2, v14, 4, v13
	ds_read2_b64 v[2:5], v2 offset1:1
	s_mov_b64 s[10:11], 0
.LBB35_162:                             ;   Parent Loop BB35_161 Depth=1
                                        ; =>  This Inner Loop Header: Depth=2
	s_waitcnt vmcnt(0) lgkmcnt(0)
	v_add_f64 v[6:7], v[8:9], v[2:3]
	global_atomic_cmpswap_x2 v[6:7], v[10:11], v[6:9], off glc
	s_waitcnt vmcnt(0)
	v_cmp_eq_u64_e32 vcc, v[6:7], v[8:9]
	s_or_b64 s[10:11], vcc, s[10:11]
	v_pk_mov_b32 v[8:9], v[6:7], v[6:7] op_sel:[0,1]
	s_andn2_b64 exec, exec, s[10:11]
	s_cbranch_execnz .LBB35_162
; %bb.163:                              ;   in Loop: Header=BB35_161 Depth=1
	s_or_b64 exec, exec, s[10:11]
	global_load_dwordx2 v[8:9], v[10:11], off offset:8
	s_mov_b64 s[10:11], 0
.LBB35_164:                             ;   Parent Loop BB35_161 Depth=1
                                        ; =>  This Inner Loop Header: Depth=2
	s_waitcnt vmcnt(0)
	v_add_f64 v[6:7], v[8:9], v[4:5]
	global_atomic_cmpswap_x2 v[2:3], v[10:11], v[6:9], off offset:8 glc
	s_waitcnt vmcnt(0)
	v_cmp_eq_u64_e32 vcc, v[2:3], v[8:9]
	s_or_b64 s[10:11], vcc, s[10:11]
	v_pk_mov_b32 v[8:9], v[2:3], v[2:3] op_sel:[0,1]
	s_andn2_b64 exec, exec, s[10:11]
	s_cbranch_execnz .LBB35_164
; %bb.165:                              ;   in Loop: Header=BB35_161 Depth=1
	s_or_b64 exec, exec, s[10:11]
	v_add_u32_e32 v14, 0x100, v14
	v_cmp_le_i32_e32 vcc, s14, v14
	s_or_b64 s[6:7], vcc, s[6:7]
	s_andn2_b64 exec, exec, s[6:7]
	s_cbranch_execnz .LBB35_161
.LBB35_166:
	s_or_b64 exec, exec, s[4:5]
	s_mul_i32 s4, s24, s28
	s_sub_i32 s4, s29, s4
	s_add_i32 s5, s24, 1
	s_sub_i32 s6, s4, s28
	s_cmp_ge_u32 s4, s28
	s_cselect_b32 s5, s5, s24
	s_cselect_b32 s4, s6, s4
	s_add_i32 s6, s5, 1
	s_cmp_ge_u32 s4, s28
	s_cselect_b32 s4, s6, s5
	s_add_i32 s4, s4, -1
	s_ashr_i32 s5, s4, 1
	s_or_b32 s4, s5, s4
	s_ashr_i32 s5, s4, 2
	s_or_b32 s4, s5, s4
	;; [unrolled: 2-line block ×5, first 2 shown]
	s_add_i32 s15, s15, 1
	s_ashr_i32 s16, s15, 1
	v_add_u32_e32 v10, s36, v0
	s_cmp_gt_i32 s16, 1
	s_mov_b64 s[4:5], -1
	s_barrier
	s_cbranch_scc1 .LBB35_179
; %bb.167:
	v_cmp_gt_i32_e32 vcc, s37, v10
	s_and_saveexec_b64 s[4:5], vcc
	s_cbranch_execz .LBB35_178
; %bb.168:
	s_sub_i32 s6, s12, s37
	s_lshl_b32 s6, s6, 4
	s_add_i32 s17, s6, 0x4000
	s_lshl_b32 s6, s31, 4
	s_sub_i32 s18, 0, s6
	s_mov_b64 s[6:7], 0
	v_mov_b32_e32 v11, s21
	v_mov_b32_e32 v18, s35
	;; [unrolled: 1-line block ×3, first 2 shown]
.LBB35_169:                             ; =>This Loop Header: Depth=1
                                        ;     Child Loop BB35_171 Depth 2
                                        ;     Child Loop BB35_174 Depth 2
	;; [unrolled: 1-line block ×3, first 2 shown]
	v_ashrrev_i32_e32 v13, 31, v12
	v_lshlrev_b64 v[2:3], 2, v[12:13]
	v_add_co_u32_e32 v2, vcc, s20, v2
	v_addc_co_u32_e32 v3, vcc, v11, v3, vcc
	global_load_dwordx2 v[2:3], v[2:3], off
	v_pk_mov_b32 v[14:15], 0, 0
	v_pk_mov_b32 v[6:7], v[14:15], v[14:15] op_sel:[0,1]
	s_waitcnt vmcnt(0)
	v_cmp_lt_i32_e32 vcc, v2, v3
	s_and_saveexec_b64 s[10:11], vcc
	s_cbranch_execz .LBB35_173
; %bb.170:                              ;   in Loop: Header=BB35_169 Depth=1
	v_pk_mov_b32 v[14:15], 0, 0
	v_subrev_u32_e32 v3, s31, v3
	v_subrev_u32_e32 v4, s31, v2
	v_lshl_add_u32 v2, v2, 4, s18
	s_mov_b64 s[12:13], 0
	v_pk_mov_b32 v[6:7], v[14:15], v[14:15] op_sel:[0,1]
.LBB35_171:                             ;   Parent Loop BB35_169 Depth=1
                                        ; =>  This Inner Loop Header: Depth=2
	ds_read_b128 v[20:23], v2
	v_add_u32_e32 v4, 1, v4
	v_cmp_ge_i32_e32 vcc, v4, v3
	v_add_u32_e32 v2, 16, v2
	s_or_b64 s[12:13], vcc, s[12:13]
	s_waitcnt lgkmcnt(0)
	v_add_f64 v[6:7], v[6:7], v[20:21]
	v_add_f64 v[14:15], v[14:15], v[22:23]
	s_andn2_b64 exec, exec, s[12:13]
	s_cbranch_execnz .LBB35_171
; %bb.172:                              ;   in Loop: Header=BB35_169 Depth=1
	s_or_b64 exec, exec, s[12:13]
.LBB35_173:                             ;   in Loop: Header=BB35_169 Depth=1
	s_or_b64 exec, exec, s[10:11]
	v_lshlrev_b64 v[2:3], 4, v[12:13]
	v_add_co_u32_e32 v16, vcc, s34, v2
	v_addc_co_u32_e32 v17, vcc, v18, v3, vcc
	global_load_dwordx2 v[8:9], v[16:17], off
	v_lshl_add_u32 v2, v12, 4, s17
	ds_read2_b64 v[2:5], v2 offset1:1
	s_mov_b64 s[10:11], 0
	s_waitcnt lgkmcnt(0)
	v_add_f64 v[2:3], v[6:7], v[2:3]
.LBB35_174:                             ;   Parent Loop BB35_169 Depth=1
                                        ; =>  This Inner Loop Header: Depth=2
	s_waitcnt vmcnt(0)
	v_add_f64 v[6:7], v[8:9], v[2:3]
	global_atomic_cmpswap_x2 v[6:7], v[16:17], v[6:9], off glc
	s_waitcnt vmcnt(0)
	v_cmp_eq_u64_e32 vcc, v[6:7], v[8:9]
	s_or_b64 s[10:11], vcc, s[10:11]
	v_pk_mov_b32 v[8:9], v[6:7], v[6:7] op_sel:[0,1]
	s_andn2_b64 exec, exec, s[10:11]
	s_cbranch_execnz .LBB35_174
; %bb.175:                              ;   in Loop: Header=BB35_169 Depth=1
	s_or_b64 exec, exec, s[10:11]
	global_load_dwordx2 v[6:7], v[16:17], off offset:8
	v_add_f64 v[2:3], v[14:15], v[4:5]
	s_mov_b64 s[10:11], 0
.LBB35_176:                             ;   Parent Loop BB35_169 Depth=1
                                        ; =>  This Inner Loop Header: Depth=2
	s_waitcnt vmcnt(0)
	v_add_f64 v[4:5], v[6:7], v[2:3]
	global_atomic_cmpswap_x2 v[4:5], v[16:17], v[4:7], off offset:8 glc
	s_waitcnt vmcnt(0)
	v_cmp_eq_u64_e32 vcc, v[4:5], v[6:7]
	s_or_b64 s[10:11], vcc, s[10:11]
	v_pk_mov_b32 v[6:7], v[4:5], v[4:5] op_sel:[0,1]
	s_andn2_b64 exec, exec, s[10:11]
	s_cbranch_execnz .LBB35_176
; %bb.177:                              ;   in Loop: Header=BB35_169 Depth=1
	s_or_b64 exec, exec, s[10:11]
	v_add_u32_e32 v12, s29, v12
	v_cmp_le_i32_e32 vcc, s37, v12
	s_or_b64 s[6:7], vcc, s[6:7]
	s_andn2_b64 exec, exec, s[6:7]
	s_cbranch_execnz .LBB35_169
.LBB35_178:
	s_or_b64 exec, exec, s[4:5]
	s_mov_b64 s[4:5], 0
.LBB35_179:
	s_andn2_b64 vcc, exec, s[4:5]
	s_cbranch_vccnz .LBB35_206
; %bb.180:
	v_cvt_f32_u32_e32 v2, s16
	s_sub_i32 s4, 0, s16
	v_rcp_iflag_f32_e32 v2, v2
	v_mul_f32_e32 v2, 0x4f7ffffe, v2
	v_cvt_u32_f32_e32 v2, v2
	v_mul_lo_u32 v3, s4, v2
	v_mul_hi_u32 v3, v2, v3
	v_add_u32_e32 v2, v2, v3
	v_mul_hi_u32 v2, v0, v2
	v_mul_lo_u32 v3, v2, s16
	v_sub_u32_e32 v3, v0, v3
	v_add_u32_e32 v4, 1, v2
	v_cmp_le_u32_e32 vcc, s16, v3
	v_cndmask_b32_e32 v2, v2, v4, vcc
	v_subrev_u32_e32 v4, s16, v3
	v_cndmask_b32_e32 v3, v3, v4, vcc
	v_add_u32_e32 v4, 1, v2
	v_cmp_le_u32_e32 vcc, s16, v3
	v_cndmask_b32_e32 v2, v2, v4, vcc
	v_lshlrev_b32_e32 v3, 2, v2
	global_load_dwordx2 v[8:9], v3, s[8:9]
	v_pk_mov_b32 v[4:5], 0, 0
	v_cmp_gt_i32_e32 vcc, s28, v2
	v_pk_mov_b32 v[2:3], v[4:5], v[4:5] op_sel:[0,1]
	s_and_saveexec_b64 s[4:5], vcc
	s_cbranch_execz .LBB35_194
; %bb.181:
	s_abs_i32 s8, s16
	v_cvt_f32_u32_e32 v2, s8
	s_waitcnt vmcnt(0)
	v_subrev_u32_e32 v6, s31, v8
	v_subrev_u32_e32 v9, s31, v9
	v_sub_u32_e32 v3, v9, v6
	v_rcp_iflag_f32_e32 v2, v2
	s_sub_i32 s6, 0, s8
	v_sub_u32_e32 v5, 0, v3
	v_ashrrev_i32_e32 v4, 31, v3
	v_mul_f32_e32 v2, 0x4f7ffffe, v2
	v_cvt_u32_f32_e32 v2, v2
	v_max_i32_e32 v5, v3, v5
	s_ashr_i32 s9, s16, 31
	v_mul_lo_u32 v3, s6, v2
	v_mul_hi_u32 v3, v2, v3
	v_add_u32_e32 v2, v2, v3
	v_mad_u64_u32 v[2:3], s[6:7], v5, v2, 0
	v_xor_b32_e32 v2, s9, v4
	v_mul_lo_u32 v4, v3, s8
	v_sub_u32_e32 v4, v5, v4
	v_add_u32_e32 v5, 1, v3
	v_cmp_le_u32_e32 vcc, s8, v4
	v_cndmask_b32_e32 v3, v3, v5, vcc
	v_subrev_u32_e32 v5, s8, v4
	v_cndmask_b32_e32 v4, v4, v5, vcc
	v_add_u32_e32 v5, 1, v3
	v_cmp_le_u32_e32 vcc, s8, v4
	v_cndmask_b32_e32 v3, v3, v5, vcc
	v_xor_b32_e32 v3, v3, v2
	v_sub_u32_e32 v7, v3, v2
	s_add_i32 s6, s16, -1
	v_pk_mov_b32 v[4:5], 0, 0
	v_and_b32_e32 v11, s6, v0
	v_cmp_lt_i32_e32 vcc, 0, v7
	v_pk_mov_b32 v[2:3], v[4:5], v[4:5] op_sel:[0,1]
	s_and_saveexec_b64 s[6:7], vcc
	s_cbranch_execz .LBB35_191
; %bb.182:
	v_pk_mov_b32 v[2:3], 0, 0
	v_cmp_lt_u32_e32 vcc, 7, v7
	v_mov_b32_e32 v12, 0
	v_pk_mov_b32 v[4:5], v[2:3], v[2:3] op_sel:[0,1]
	s_and_saveexec_b64 s[8:9], vcc
	s_cbranch_execz .LBB35_186
; %bb.183:
	v_add_u32_e32 v2, v8, v11
	v_subrev_u32_e32 v2, s31, v2
	v_pk_mov_b32 v[4:5], 0, 0
	v_and_b32_e32 v12, 0x7ffffff8, v7
	v_lshlrev_b32_e32 v13, 4, v2
	s_lshl_b32 s12, s16, 7
	s_lshl_b32 s13, s16, 4
	s_mov_b64 s[10:11], 0
	s_mov_b32 s17, 0
	v_pk_mov_b32 v[2:3], v[4:5], v[4:5] op_sel:[0,1]
.LBB35_184:                             ; =>This Inner Loop Header: Depth=1
	ds_read_b128 v[14:17], v13
	v_add_u32_e32 v18, s13, v13
	v_add_u32_e32 v26, s13, v18
	ds_read_b128 v[18:21], v18
	ds_read_b128 v[22:25], v26
	v_add_u32_e32 v26, s13, v26
	v_add_u32_e32 v34, s13, v26
	ds_read_b128 v[26:29], v26
	ds_read_b128 v[30:33], v34
	v_add_u32_e32 v34, s13, v34
	s_waitcnt lgkmcnt(4)
	v_add_f64 v[14:15], v[2:3], v[14:15]
	v_add_f64 v[16:17], v[4:5], v[16:17]
	ds_read_b128 v[2:5], v34
	v_add_u32_e32 v34, s13, v34
	s_waitcnt lgkmcnt(4)
	v_add_f64 v[18:19], v[14:15], v[18:19]
	v_add_f64 v[20:21], v[16:17], v[20:21]
	ds_read2_b64 v[14:17], v34 offset1:1
	v_add_u32_e32 v34, s13, v34
	s_waitcnt lgkmcnt(4)
	v_add_f64 v[22:23], v[18:19], v[22:23]
	v_add_f64 v[24:25], v[20:21], v[24:25]
	ds_read2_b64 v[18:21], v34 offset1:1
	s_waitcnt lgkmcnt(4)
	v_add_f64 v[22:23], v[22:23], v[26:27]
	v_add_f64 v[24:25], v[24:25], v[28:29]
	s_waitcnt lgkmcnt(3)
	v_add_f64 v[22:23], v[22:23], v[30:31]
	v_add_f64 v[24:25], v[24:25], v[32:33]
	s_add_i32 s17, s17, 8
	s_waitcnt lgkmcnt(2)
	v_add_f64 v[2:3], v[22:23], v[2:3]
	v_add_f64 v[4:5], v[24:25], v[4:5]
	v_cmp_eq_u32_e32 vcc, s17, v12
	s_waitcnt lgkmcnt(1)
	v_add_f64 v[2:3], v[2:3], v[14:15]
	v_add_f64 v[4:5], v[4:5], v[16:17]
	v_add_u32_e32 v13, s12, v13
	s_or_b64 s[10:11], vcc, s[10:11]
	s_waitcnt lgkmcnt(0)
	v_add_f64 v[2:3], v[2:3], v[18:19]
	v_add_f64 v[4:5], v[4:5], v[20:21]
	s_andn2_b64 exec, exec, s[10:11]
	s_cbranch_execnz .LBB35_184
; %bb.185:
	s_or_b64 exec, exec, s[10:11]
.LBB35_186:
	s_or_b64 exec, exec, s[8:9]
	v_and_b32_e32 v13, 7, v7
	v_cmp_ne_u32_e32 vcc, 0, v13
	s_and_saveexec_b64 s[8:9], vcc
	s_cbranch_execz .LBB35_190
; %bb.187:
	v_mul_lo_u32 v12, v12, s16
	v_add3_u32 v8, v8, v11, v12
	v_subrev_u32_e32 v8, s31, v8
	v_lshlrev_b32_e32 v8, 4, v8
	s_lshl_b32 s12, s16, 4
	s_mov_b64 s[10:11], 0
.LBB35_188:                             ; =>This Inner Loop Header: Depth=1
	ds_read_b128 v[14:17], v8
	v_add_u32_e32 v13, -1, v13
	v_cmp_eq_u32_e32 vcc, 0, v13
	v_add_u32_e32 v8, s12, v8
	s_or_b64 s[10:11], vcc, s[10:11]
	s_waitcnt lgkmcnt(0)
	v_add_f64 v[2:3], v[2:3], v[14:15]
	v_add_f64 v[4:5], v[4:5], v[16:17]
	s_andn2_b64 exec, exec, s[10:11]
	s_cbranch_execnz .LBB35_188
; %bb.189:
	s_or_b64 exec, exec, s[10:11]
.LBB35_190:
	s_or_b64 exec, exec, s[8:9]
.LBB35_191:
	s_or_b64 exec, exec, s[6:7]
	v_mad_u64_u32 v[6:7], s[6:7], v7, s16, v[6:7]
	v_sub_u32_e32 v7, v9, v6
	v_cmp_lt_i32_e32 vcc, v11, v7
	s_and_saveexec_b64 s[6:7], vcc
	s_cbranch_execz .LBB35_193
; %bb.192:
	v_add_lshl_u32 v6, v6, v11, 4
	ds_read_b128 v[6:9], v6
	s_waitcnt lgkmcnt(0)
	v_add_f64 v[2:3], v[2:3], v[6:7]
	v_add_f64 v[4:5], v[4:5], v[8:9]
.LBB35_193:
	s_or_b64 exec, exec, s[6:7]
.LBB35_194:
	s_or_b64 exec, exec, s[4:5]
	v_cmp_gt_i32_e32 vcc, s28, v0
	s_barrier
	ds_write_b128 v1, v[2:5]
	s_waitcnt lgkmcnt(0)
	s_barrier
	s_and_b64 exec, exec, vcc
	s_cbranch_execz .LBB35_206
; %bb.195:
	v_mul_lo_u32 v1, s16, v0
	s_cmp_lt_u32 s16, 8
	v_pk_mov_b32 v[4:5], 0, 0
	s_cbranch_scc1 .LBB35_198
; %bb.196:
	s_waitcnt vmcnt(0)
	v_pk_mov_b32 v[8:9], 0, 0
	s_and_b32 s4, s16, 0x7ffffff8
	v_lshlrev_b32_e32 v2, 4, v1
	s_mov_b32 s5, 0
	v_pk_mov_b32 v[4:5], v[8:9], v[8:9] op_sel:[0,1]
.LBB35_197:                             ; =>This Inner Loop Header: Depth=1
	ds_read_b128 v[12:15], v2
	ds_read_b128 v[16:19], v2 offset:16
	ds_read_b128 v[20:23], v2 offset:32
	;; [unrolled: 1-line block ×7, first 2 shown]
	s_waitcnt lgkmcnt(7)
	v_add_f64 v[4:5], v[4:5], v[12:13]
	v_add_f64 v[6:7], v[8:9], v[14:15]
	s_waitcnt lgkmcnt(6)
	v_add_f64 v[4:5], v[4:5], v[16:17]
	v_add_f64 v[6:7], v[6:7], v[18:19]
	;; [unrolled: 3-line block ×6, first 2 shown]
	s_add_i32 s5, s5, 8
	s_waitcnt lgkmcnt(1)
	v_add_f64 v[4:5], v[4:5], v[36:37]
	v_add_f64 v[6:7], v[6:7], v[38:39]
	v_add_u32_e32 v2, 0x80, v2
	s_cmp_eq_u32 s4, s5
	s_waitcnt lgkmcnt(0)
	v_add_f64 v[4:5], v[4:5], v[40:41]
	v_add_f64 v[8:9], v[6:7], v[42:43]
	s_cbranch_scc0 .LBB35_197
	s_branch .LBB35_199
.LBB35_198:
	s_mov_b32 s4, 0
	s_waitcnt vmcnt(0)
	v_pk_mov_b32 v[8:9], v[4:5], v[4:5] op_sel:[0,1]
.LBB35_199:
	s_bfe_u32 s5, s15, 0x30001
	s_cmp_eq_u32 s5, 0
	s_cbranch_scc1 .LBB35_202
; %bb.200:
	v_add_lshl_u32 v1, s4, v1, 4
.LBB35_201:                             ; =>This Inner Loop Header: Depth=1
	ds_read_b128 v[12:15], v1
	s_add_i32 s5, s5, -1
	v_add_u32_e32 v1, 16, v1
	s_cmp_lg_u32 s5, 0
	s_waitcnt lgkmcnt(0)
	v_add_f64 v[4:5], v[4:5], v[12:13]
	v_add_f64 v[8:9], v[8:9], v[14:15]
	s_cbranch_scc1 .LBB35_201
.LBB35_202:
	v_ashrrev_i32_e32 v11, 31, v10
	v_lshlrev_b64 v[2:3], 4, v[10:11]
	v_mov_b32_e32 v1, s35
	v_add_co_u32_e32 v10, vcc, s34, v2
	v_addc_co_u32_e32 v11, vcc, v1, v3, vcc
	global_load_dwordx2 v[6:7], v[10:11], off
	s_lshl_b32 s4, s14, 4
	s_addk_i32 s4, 0x4000
	v_lshl_add_u32 v0, v0, 4, s4
	ds_read2_b64 v[0:3], v0 offset1:1
	s_mov_b64 s[4:5], 0
	s_waitcnt lgkmcnt(0)
	v_add_f64 v[0:1], v[4:5], v[0:1]
.LBB35_203:                             ; =>This Inner Loop Header: Depth=1
	s_waitcnt vmcnt(0)
	v_add_f64 v[4:5], v[6:7], v[0:1]
	global_atomic_cmpswap_x2 v[4:5], v[10:11], v[4:7], off glc
	s_waitcnt vmcnt(0)
	v_cmp_eq_u64_e32 vcc, v[4:5], v[6:7]
	s_or_b64 s[4:5], vcc, s[4:5]
	v_pk_mov_b32 v[6:7], v[4:5], v[4:5] op_sel:[0,1]
	s_andn2_b64 exec, exec, s[4:5]
	s_cbranch_execnz .LBB35_203
; %bb.204:
	s_or_b64 exec, exec, s[4:5]
	global_load_dwordx2 v[4:5], v[10:11], off offset:8
	v_add_f64 v[0:1], v[8:9], v[2:3]
	s_mov_b64 s[4:5], 0
.LBB35_205:                             ; =>This Inner Loop Header: Depth=1
	s_waitcnt vmcnt(0)
	v_add_f64 v[2:3], v[4:5], v[0:1]
	global_atomic_cmpswap_x2 v[2:3], v[10:11], v[2:5], off offset:8 glc
	s_waitcnt vmcnt(0)
	v_cmp_eq_u64_e32 vcc, v[2:3], v[4:5]
	s_or_b64 s[4:5], vcc, s[4:5]
	v_pk_mov_b32 v[4:5], v[2:3], v[2:3] op_sel:[0,1]
	s_andn2_b64 exec, exec, s[4:5]
	s_cbranch_execnz .LBB35_205
.LBB35_206:
	s_endpgm
	.section	.rodata,"a",@progbits
	.p2align	6, 0x0
	.amdhsa_kernel _ZN9rocsparseL27csrmvn_symm_adaptive_kernelIii21rocsparse_complex_numIdES2_S2_S2_EEvbT_S3_PKS3_NS_24const_host_device_scalarIT4_EES5_PKT0_PKT1_PKT2_S8_PT3_21rocsparse_index_base_b
		.amdhsa_group_segment_fixed_size 16384
		.amdhsa_private_segment_fixed_size 24
		.amdhsa_kernarg_size 360
		.amdhsa_user_sgpr_count 8
		.amdhsa_user_sgpr_private_segment_buffer 1
		.amdhsa_user_sgpr_dispatch_ptr 0
		.amdhsa_user_sgpr_queue_ptr 0
		.amdhsa_user_sgpr_kernarg_segment_ptr 1
		.amdhsa_user_sgpr_dispatch_id 0
		.amdhsa_user_sgpr_flat_scratch_init 1
		.amdhsa_user_sgpr_kernarg_preload_length 0
		.amdhsa_user_sgpr_kernarg_preload_offset 0
		.amdhsa_user_sgpr_private_segment_size 0
		.amdhsa_uses_dynamic_stack 0
		.amdhsa_system_sgpr_private_segment_wavefront_offset 1
		.amdhsa_system_sgpr_workgroup_id_x 1
		.amdhsa_system_sgpr_workgroup_id_y 0
		.amdhsa_system_sgpr_workgroup_id_z 0
		.amdhsa_system_sgpr_workgroup_info 0
		.amdhsa_system_vgpr_workitem_id 0
		.amdhsa_next_free_vgpr 44
		.amdhsa_next_free_sgpr 54
		.amdhsa_accum_offset 44
		.amdhsa_reserve_vcc 1
		.amdhsa_reserve_flat_scratch 1
		.amdhsa_float_round_mode_32 0
		.amdhsa_float_round_mode_16_64 0
		.amdhsa_float_denorm_mode_32 3
		.amdhsa_float_denorm_mode_16_64 3
		.amdhsa_dx10_clamp 1
		.amdhsa_ieee_mode 1
		.amdhsa_fp16_overflow 0
		.amdhsa_tg_split 0
		.amdhsa_exception_fp_ieee_invalid_op 0
		.amdhsa_exception_fp_denorm_src 0
		.amdhsa_exception_fp_ieee_div_zero 0
		.amdhsa_exception_fp_ieee_overflow 0
		.amdhsa_exception_fp_ieee_underflow 0
		.amdhsa_exception_fp_ieee_inexact 0
		.amdhsa_exception_int_div_zero 0
	.end_amdhsa_kernel
	.section	.text._ZN9rocsparseL27csrmvn_symm_adaptive_kernelIii21rocsparse_complex_numIdES2_S2_S2_EEvbT_S3_PKS3_NS_24const_host_device_scalarIT4_EES5_PKT0_PKT1_PKT2_S8_PT3_21rocsparse_index_base_b,"axG",@progbits,_ZN9rocsparseL27csrmvn_symm_adaptive_kernelIii21rocsparse_complex_numIdES2_S2_S2_EEvbT_S3_PKS3_NS_24const_host_device_scalarIT4_EES5_PKT0_PKT1_PKT2_S8_PT3_21rocsparse_index_base_b,comdat
.Lfunc_end35:
	.size	_ZN9rocsparseL27csrmvn_symm_adaptive_kernelIii21rocsparse_complex_numIdES2_S2_S2_EEvbT_S3_PKS3_NS_24const_host_device_scalarIT4_EES5_PKT0_PKT1_PKT2_S8_PT3_21rocsparse_index_base_b, .Lfunc_end35-_ZN9rocsparseL27csrmvn_symm_adaptive_kernelIii21rocsparse_complex_numIdES2_S2_S2_EEvbT_S3_PKS3_NS_24const_host_device_scalarIT4_EES5_PKT0_PKT1_PKT2_S8_PT3_21rocsparse_index_base_b
                                        ; -- End function
	.section	.AMDGPU.csdata,"",@progbits
; Kernel info:
; codeLenInByte = 9132
; NumSgprs: 60
; NumVgprs: 44
; NumAgprs: 0
; TotalNumVgprs: 44
; ScratchSize: 24
; MemoryBound: 0
; FloatMode: 240
; IeeeMode: 1
; LDSByteSize: 16384 bytes/workgroup (compile time only)
; SGPRBlocks: 7
; VGPRBlocks: 5
; NumSGPRsForWavesPerEU: 60
; NumVGPRsForWavesPerEU: 44
; AccumOffset: 44
; Occupancy: 4
; WaveLimiterHint : 1
; COMPUTE_PGM_RSRC2:SCRATCH_EN: 1
; COMPUTE_PGM_RSRC2:USER_SGPR: 8
; COMPUTE_PGM_RSRC2:TRAP_HANDLER: 0
; COMPUTE_PGM_RSRC2:TGID_X_EN: 1
; COMPUTE_PGM_RSRC2:TGID_Y_EN: 0
; COMPUTE_PGM_RSRC2:TGID_Z_EN: 0
; COMPUTE_PGM_RSRC2:TIDIG_COMP_CNT: 0
; COMPUTE_PGM_RSRC3_GFX90A:ACCUM_OFFSET: 10
; COMPUTE_PGM_RSRC3_GFX90A:TG_SPLIT: 0
	.section	.text._ZL33csrmvn_symm_large_adaptive_kernelIii21rocsparse_complex_numIdES1_S1_S1_EvbT_PKS2_N9rocsparse24const_host_device_scalarIT4_EES4_PKT0_PKT1_PKT2_S8_PT3_21rocsparse_index_base_b,"axG",@progbits,_ZL33csrmvn_symm_large_adaptive_kernelIii21rocsparse_complex_numIdES1_S1_S1_EvbT_PKS2_N9rocsparse24const_host_device_scalarIT4_EES4_PKT0_PKT1_PKT2_S8_PT3_21rocsparse_index_base_b,comdat
	.globl	_ZL33csrmvn_symm_large_adaptive_kernelIii21rocsparse_complex_numIdES1_S1_S1_EvbT_PKS2_N9rocsparse24const_host_device_scalarIT4_EES4_PKT0_PKT1_PKT2_S8_PT3_21rocsparse_index_base_b ; -- Begin function _ZL33csrmvn_symm_large_adaptive_kernelIii21rocsparse_complex_numIdES1_S1_S1_EvbT_PKS2_N9rocsparse24const_host_device_scalarIT4_EES4_PKT0_PKT1_PKT2_S8_PT3_21rocsparse_index_base_b
	.p2align	8
	.type	_ZL33csrmvn_symm_large_adaptive_kernelIii21rocsparse_complex_numIdES1_S1_S1_EvbT_PKS2_N9rocsparse24const_host_device_scalarIT4_EES4_PKT0_PKT1_PKT2_S8_PT3_21rocsparse_index_base_b,@function
_ZL33csrmvn_symm_large_adaptive_kernelIii21rocsparse_complex_numIdES1_S1_S1_EvbT_PKS2_N9rocsparse24const_host_device_scalarIT4_EES4_PKT0_PKT1_PKT2_S8_PT3_21rocsparse_index_base_b: ; @_ZL33csrmvn_symm_large_adaptive_kernelIii21rocsparse_complex_numIdES1_S1_S1_EvbT_PKS2_N9rocsparse24const_host_device_scalarIT4_EES4_PKT0_PKT1_PKT2_S8_PT3_21rocsparse_index_base_b
; %bb.0:
	s_add_u32 flat_scratch_lo, s6, s9
	s_addc_u32 flat_scratch_hi, s7, 0
	s_load_dwordx2 s[28:29], s[4:5], 0x58
	s_load_dwordx4 s[16:19], s[4:5], 0x10
	s_load_dwordx4 s[12:15], s[4:5], 0x40
	s_add_u32 s0, s0, s9
	s_addc_u32 s1, s1, 0
	s_waitcnt lgkmcnt(0)
	s_bitcmp1_b32 s29, 0
	v_mov_b32_e32 v1, 0
	v_mov_b32_e32 v3, s16
	s_cselect_b64 s[6:7], -1, 0
	v_cndmask_b32_e64 v2, v3, v1, s[6:7]
	v_mov_b32_e32 v1, s17
	s_mov_b64 s[10:11], src_private_base
	s_and_b64 vcc, s[6:7], exec
	buffer_store_dword v1, off, s[0:3], 0 offset:4
	buffer_store_dword v3, off, s[0:3], 0
	v_mov_b32_e32 v1, s13
	s_cselect_b32 s9, s11, s17
	buffer_store_dword v1, off, s[0:3], 0 offset:12
	v_mov_b32_e32 v1, s12
	buffer_store_dword v1, off, s[0:3], 0 offset:8
	v_mov_b32_e32 v3, s9
	flat_load_dwordx2 v[8:9], v[2:3]
	s_xor_b64 s[20:21], s[6:7], -1
	v_pk_mov_b32 v[10:11], s[18:19], s[18:19] op_sel:[0,1]
	s_cbranch_vccnz .LBB36_2
; %bb.1:
	v_pk_mov_b32 v[2:3], s[16:17], s[16:17] op_sel:[0,1]
	flat_load_dwordx2 v[10:11], v[2:3] offset:8
.LBB36_2:
	s_and_b64 s[16:17], s[6:7], exec
	s_cselect_b32 s9, s11, s13
	v_mov_b32_e32 v1, 8
	v_mov_b32_e32 v2, s12
	v_cndmask_b32_e64 v2, v2, v1, s[6:7]
	v_mov_b32_e32 v3, s9
	flat_load_dwordx2 v[2:3], v[2:3]
	s_andn2_b64 vcc, exec, s[20:21]
	v_pk_mov_b32 v[4:5], s[14:15], s[14:15] op_sel:[0,1]
	s_cbranch_vccnz .LBB36_4
; %bb.3:
	v_pk_mov_b32 v[4:5], s[12:13], s[12:13] op_sel:[0,1]
	flat_load_dwordx2 v[4:5], v[4:5] offset:8
.LBB36_4:
	s_waitcnt vmcnt(0) lgkmcnt(0)
	v_cmp_eq_f64_e32 vcc, 0, v[8:9]
	v_cmp_eq_f64_e64 s[6:7], 0, v[10:11]
	s_and_b64 s[12:13], vcc, s[6:7]
	s_mov_b64 s[6:7], -1
	s_and_saveexec_b64 s[10:11], s[12:13]
; %bb.5:
	v_cmp_neq_f64_e32 vcc, 1.0, v[2:3]
	v_cmp_neq_f64_e64 s[6:7], 0, v[4:5]
	s_or_b64 s[6:7], vcc, s[6:7]
	s_orn2_b64 s[6:7], s[6:7], exec
; %bb.6:
	s_or_b64 exec, exec, s[10:11]
	s_and_saveexec_b64 s[10:11], s[6:7]
	s_cbranch_execz .LBB36_51
; %bb.7:
	s_load_dword s9, s[4:5], 0x0
	s_load_dwordx2 s[6:7], s[4:5], 0x8
	s_mov_b32 s12, 0
	s_mov_b32 s13, s12
	;; [unrolled: 1-line block ×3, first 2 shown]
	s_waitcnt lgkmcnt(0)
	s_bitcmp1_b32 s9, 0
	s_cselect_b64 s[16:17], -1, 0
	s_ashr_i32 s9, s8, 31
	s_lshl_b64 s[8:9], s[8:9], 2
	s_mov_b32 s15, s12
	v_pk_mov_b32 v[2:3], s[12:13], s[12:13] op_sel:[0,1]
	s_add_u32 s6, s6, s8
	v_lshlrev_b32_e32 v14, 4, v0
	v_pk_mov_b32 v[4:5], s[14:15], s[14:15] op_sel:[0,1]
	s_addc_u32 s7, s7, s9
	ds_write_b128 v14, v[2:5]
	ds_write_b128 v14, v[2:5] offset:4096
	ds_write_b128 v14, v[2:5] offset:8192
	;; [unrolled: 1-line block ×3, first 2 shown]
	s_waitcnt lgkmcnt(0)
	s_barrier
	s_load_dwordx2 s[18:19], s[6:7], 0x0
	s_load_dwordx2 s[30:31], s[4:5], 0x50
	s_load_dwordx8 s[20:27], s[4:5], 0x20
	s_waitcnt lgkmcnt(0)
	s_cmp_lt_i32 s18, s19
	s_cbranch_scc1 .LBB36_9
; %bb.8:
	s_ashr_i32 s5, s18, 31
	s_mov_b32 s4, s18
	s_lshl_b64 s[4:5], s[4:5], 2
	s_add_u32 s4, s20, s4
	s_addc_u32 s5, s21, s5
	s_load_dword s29, s[4:5], 0x0
	v_subrev_u32_e32 v15, s28, v0
	s_cbranch_execz .LBB36_10
	s_branch .LBB36_39
.LBB36_9:
                                        ; implicit-def: $sgpr29
	v_subrev_u32_e32 v15, s28, v0
.LBB36_10:
	s_movk_i32 s4, 0x100
	v_cmp_gt_u32_e64 s[6:7], s4, v0
	s_ashr_i32 s5, s18, 31
	s_mov_b32 s4, s18
	s_lshl_b64 s[4:5], s[4:5], 2
	s_add_u32 s4, s20, s4
	s_addc_u32 s5, s21, s5
	s_waitcnt lgkmcnt(0)
	s_load_dword s29, s[4:5], 0x0
	s_add_u32 s33, s20, 4
	s_addc_u32 s42, s21, 0
	s_add_u32 s43, s24, 8
	v_cmp_gt_u32_e64 s[8:9], 64, v0
	v_cmp_gt_u32_e64 s[10:11], 16, v0
	;; [unrolled: 1-line block ×3, first 2 shown]
	v_cmp_eq_u32_e64 s[14:15], 0, v0
	s_addc_u32 s44, s25, 0
	v_mov_b32_e32 v16, s27
	v_mov_b32_e32 v17, 0
	s_waitcnt lgkmcnt(0)
	s_mov_b32 s45, s29
	s_mov_b32 s34, s18
	s_branch .LBB36_12
.LBB36_11:                              ;   in Loop: Header=BB36_12 Depth=1
	s_or_b64 exec, exec, s[4:5]
	s_add_i32 s34, s34, 1
	s_cmp_ge_i32 s34, s19
	s_cbranch_scc1 .LBB36_39
.LBB36_12:                              ; =>This Loop Header: Depth=1
                                        ;     Child Loop BB36_14 Depth 2
                                        ;     Child Loop BB36_28 Depth 2
	;; [unrolled: 1-line block ×5, first 2 shown]
	s_ashr_i32 s35, s34, 31
	s_lshl_b64 s[4:5], s[34:35], 2
	s_add_u32 s4, s33, s4
	s_addc_u32 s5, s42, s5
	s_mov_b32 s36, s45
	s_load_dword s45, s[4:5], 0x0
	v_pk_mov_b32 v[2:3], 0, 0
	v_add_u32_e32 v4, s36, v15
	v_pk_mov_b32 v[0:1], v[2:3], v[2:3] op_sel:[0,1]
	s_waitcnt lgkmcnt(0)
	s_sub_i32 s40, s45, s28
	v_cmp_gt_i32_e32 vcc, s40, v4
	s_and_saveexec_b64 s[36:37], vcc
	s_cbranch_execz .LBB36_16
; %bb.13:                               ;   in Loop: Header=BB36_12 Depth=1
	v_ashrrev_i32_e32 v5, 31, v4
	v_lshlrev_b64 v[0:1], 2, v[4:5]
	v_mov_b32_e32 v2, s23
	v_add_co_u32_e32 v6, vcc, s22, v0
	v_addc_co_u32_e32 v7, vcc, v2, v1, vcc
	v_lshlrev_b64 v[0:1], 4, v[4:5]
	v_mov_b32_e32 v2, s44
	v_add_co_u32_e32 v12, vcc, s43, v0
	v_addc_co_u32_e32 v13, vcc, v2, v1, vcc
	v_pk_mov_b32 v[2:3], 0, 0
	s_mov_b64 s[38:39], 0
	v_pk_mov_b32 v[0:1], v[2:3], v[2:3] op_sel:[0,1]
.LBB36_14:                              ;   Parent Loop BB36_12 Depth=1
                                        ; =>  This Inner Loop Header: Depth=2
	global_load_dword v5, v[6:7], off
	global_load_dwordx4 v[18:21], v[12:13], off offset:-8
	v_add_u32_e32 v4, 0x100, v4
	v_cmp_le_i32_e64 s[4:5], s40, v4
	s_or_b64 s[38:39], s[4:5], s[38:39]
	s_waitcnt vmcnt(1)
	v_subrev_u32_e32 v22, s28, v5
	v_ashrrev_i32_e32 v23, 31, v22
	v_lshlrev_b64 v[22:23], 4, v[22:23]
	v_add_co_u32_e32 v22, vcc, s26, v22
	v_addc_co_u32_e32 v23, vcc, v16, v23, vcc
	global_load_dwordx4 v[22:25], v[22:23], off
	v_add_co_u32_e32 v6, vcc, 0x400, v6
	s_waitcnt vmcnt(1)
	v_xor_b32_e32 v5, 0x80000000, v21
	v_addc_co_u32_e32 v7, vcc, 0, v7, vcc
	v_cndmask_b32_e64 v21, v21, v5, s[16:17]
	v_add_co_u32_e32 v12, vcc, 0x1000, v12
	v_addc_co_u32_e32 v13, vcc, 0, v13, vcc
	s_waitcnt vmcnt(0)
	v_fmac_f64_e32 v[0:1], v[18:19], v[22:23]
	v_fmac_f64_e32 v[2:3], v[20:21], v[22:23]
	v_fma_f64 v[0:1], -v[20:21], v[24:25], v[0:1]
	v_fmac_f64_e32 v[2:3], v[18:19], v[24:25]
	s_andn2_b64 exec, exec, s[38:39]
	s_cbranch_execnz .LBB36_14
; %bb.15:                               ;   in Loop: Header=BB36_12 Depth=1
	s_or_b64 exec, exec, s[38:39]
.LBB36_16:                              ;   in Loop: Header=BB36_12 Depth=1
	s_or_b64 exec, exec, s[36:37]
	ds_write_b128 v14, v[0:3]
	s_waitcnt lgkmcnt(0)
	s_barrier
	s_and_saveexec_b64 s[4:5], s[6:7]
	s_cbranch_execz .LBB36_18
; %bb.17:                               ;   in Loop: Header=BB36_12 Depth=1
	ds_read_b128 v[0:3], v14 offset:4096
	ds_read_b128 v[4:7], v14 offset:8192
	ds_read_b128 v[18:21], v14 offset:12288
	ds_read_b128 v[22:25], v14
	s_waitcnt lgkmcnt(2)
	v_add_f64 v[0:1], v[4:5], v[0:1]
	v_add_f64 v[2:3], v[6:7], v[2:3]
	s_waitcnt lgkmcnt(1)
	v_add_f64 v[0:1], v[0:1], v[18:19]
	v_add_f64 v[2:3], v[2:3], v[20:21]
	s_waitcnt lgkmcnt(0)
	v_add_f64 v[0:1], v[0:1], v[22:23]
	v_add_f64 v[2:3], v[2:3], v[24:25]
	ds_write_b128 v14, v[0:3]
.LBB36_18:                              ;   in Loop: Header=BB36_12 Depth=1
	s_or_b64 exec, exec, s[4:5]
	s_waitcnt lgkmcnt(0)
	s_barrier
	s_and_saveexec_b64 s[4:5], s[8:9]
	s_cbranch_execz .LBB36_20
; %bb.19:                               ;   in Loop: Header=BB36_12 Depth=1
	ds_read_b128 v[0:3], v14 offset:1024
	ds_read_b128 v[4:7], v14 offset:2048
	ds_read_b128 v[18:21], v14 offset:3072
	ds_read_b128 v[22:25], v14
	s_waitcnt lgkmcnt(2)
	v_add_f64 v[0:1], v[4:5], v[0:1]
	v_add_f64 v[2:3], v[6:7], v[2:3]
	s_waitcnt lgkmcnt(1)
	v_add_f64 v[0:1], v[0:1], v[18:19]
	v_add_f64 v[2:3], v[2:3], v[20:21]
	s_waitcnt lgkmcnt(0)
	v_add_f64 v[0:1], v[0:1], v[22:23]
	v_add_f64 v[2:3], v[2:3], v[24:25]
	ds_write_b128 v14, v[0:3]
.LBB36_20:                              ;   in Loop: Header=BB36_12 Depth=1
	s_or_b64 exec, exec, s[4:5]
	;; [unrolled: 21-line block ×5, first 2 shown]
	s_waitcnt lgkmcnt(0)
	s_barrier
	s_and_saveexec_b64 s[4:5], s[14:15]
	s_cbranch_execz .LBB36_11
; %bb.27:                               ;   in Loop: Header=BB36_12 Depth=1
	ds_read_b128 v[0:3], v17
	v_mov_b32_e32 v12, 0
	s_mov_b64 s[36:37], exec
	v_bfrev_b32_e32 v13, 1
	s_waitcnt lgkmcnt(0)
	v_mul_f64 v[4:5], v[2:3], -v[10:11]
	v_fmac_f64_e32 v[4:5], v[8:9], v[0:1]
.LBB36_28:                              ;   Parent Loop BB36_12 Depth=1
                                        ; =>  This Inner Loop Header: Depth=2
	s_ff1_i32_b64 s40, s[36:37]
	v_readlane_b32 s39, v5, s40
	v_readlane_b32 s38, v4, s40
	s_lshl_b64 s[40:41], 1, s40
	s_andn2_b64 s[36:37], s[36:37], s[40:41]
	s_cmp_lg_u64 s[36:37], 0
	v_add_f64 v[12:13], v[12:13], s[38:39]
	s_cbranch_scc1 .LBB36_28
; %bb.29:                               ;   in Loop: Header=BB36_12 Depth=1
	s_lshl_b64 s[36:37], s[34:35], 4
	v_mbcnt_lo_u32_b32 v4, exec_lo, 0
	s_add_u32 s36, s30, s36
	v_mbcnt_hi_u32_b32 v4, exec_hi, v4
	s_addc_u32 s37, s31, s37
	v_cmp_eq_u32_e32 vcc, 0, v4
	s_and_saveexec_b64 s[38:39], vcc
	s_xor_b64 s[38:39], exec, s[38:39]
	s_cbranch_execz .LBB36_33
; %bb.30:                               ;   in Loop: Header=BB36_12 Depth=1
	global_load_dwordx2 v[6:7], v17, s[36:37]
	s_mov_b64 s[40:41], 0
.LBB36_31:                              ;   Parent Loop BB36_12 Depth=1
                                        ; =>  This Inner Loop Header: Depth=2
	s_waitcnt vmcnt(0)
	v_add_f64 v[4:5], v[6:7], v[12:13]
	global_atomic_cmpswap_x2 v[4:5], v17, v[4:7], s[36:37] glc
	s_waitcnt vmcnt(0)
	v_cmp_eq_u64_e32 vcc, v[4:5], v[6:7]
	s_or_b64 s[40:41], vcc, s[40:41]
	v_pk_mov_b32 v[6:7], v[4:5], v[4:5] op_sel:[0,1]
	s_andn2_b64 exec, exec, s[40:41]
	s_cbranch_execnz .LBB36_31
; %bb.32:                               ;   in Loop: Header=BB36_12 Depth=1
	s_or_b64 exec, exec, s[40:41]
.LBB36_33:                              ;   in Loop: Header=BB36_12 Depth=1
	s_or_b64 exec, exec, s[38:39]
	v_mul_f64 v[2:3], v[8:9], v[2:3]
	v_mov_b32_e32 v4, 0
	s_mov_b64 s[38:39], exec
	v_fmac_f64_e32 v[2:3], v[10:11], v[0:1]
	v_bfrev_b32_e32 v5, 1
.LBB36_34:                              ;   Parent Loop BB36_12 Depth=1
                                        ; =>  This Inner Loop Header: Depth=2
	s_ff1_i32_b64 s35, s[38:39]
	s_lshl_b64 s[46:47], 1, s35
	v_readlane_b32 s41, v3, s35
	v_readlane_b32 s40, v2, s35
	s_andn2_b64 s[38:39], s[38:39], s[46:47]
	s_cmp_lg_u64 s[38:39], 0
	v_add_f64 v[4:5], v[4:5], s[40:41]
	s_cbranch_scc1 .LBB36_34
; %bb.35:                               ;   in Loop: Header=BB36_12 Depth=1
	v_mbcnt_lo_u32_b32 v0, exec_lo, 0
	v_mbcnt_hi_u32_b32 v0, exec_hi, v0
	v_cmp_eq_u32_e32 vcc, 0, v0
	s_and_saveexec_b64 s[38:39], vcc
	s_xor_b64 s[38:39], exec, s[38:39]
	s_cbranch_execz .LBB36_11
; %bb.36:                               ;   in Loop: Header=BB36_12 Depth=1
	global_load_dwordx2 v[2:3], v17, s[36:37] offset:8
	s_mov_b64 s[38:39], 0
.LBB36_37:                              ;   Parent Loop BB36_12 Depth=1
                                        ; =>  This Inner Loop Header: Depth=2
	s_waitcnt vmcnt(0)
	v_add_f64 v[0:1], v[2:3], v[4:5]
	global_atomic_cmpswap_x2 v[0:1], v17, v[0:3], s[36:37] offset:8 glc
	s_waitcnt vmcnt(0)
	v_cmp_eq_u64_e32 vcc, v[0:1], v[2:3]
	s_or_b64 s[38:39], vcc, s[38:39]
	v_pk_mov_b32 v[2:3], v[0:1], v[0:1] op_sel:[0,1]
	s_andn2_b64 exec, exec, s[38:39]
	s_cbranch_execnz .LBB36_37
; %bb.38:                               ;   in Loop: Header=BB36_12 Depth=1
	s_or_b64 exec, exec, s[38:39]
	s_branch .LBB36_11
.LBB36_39:
	s_ashr_i32 s5, s19, 31
	s_mov_b32 s4, s19
	s_lshl_b64 s[4:5], s[4:5], 2
	s_add_u32 s4, s20, s4
	s_addc_u32 s5, s21, s5
	s_load_dword s4, s[4:5], 0x0
	s_waitcnt lgkmcnt(0)
	v_add_u32_e32 v12, s29, v15
	s_sub_i32 s12, s4, s28
	v_cmp_gt_i32_e32 vcc, s12, v12
	s_and_b64 exec, exec, vcc
	s_cbranch_execz .LBB36_51
; %bb.40:
	s_add_i32 s13, s19, -1
	s_cmp_gt_i32 s13, s18
	s_cselect_b64 s[4:5], -1, 0
	s_add_i32 s6, s19, -2
	s_cmp_lg_u32 s6, s18
	s_cselect_b64 s[6:7], -1, 0
	s_and_b64 s[4:5], s[4:5], s[6:7]
	v_cndmask_b32_e64 v0, 0, 1, s[4:5]
	s_mov_b64 s[8:9], 0
	v_cmp_ne_u32_e64 s[6:7], 1, v0
	v_mov_b32_e32 v22, s21
	v_mov_b32_e32 v23, s23
	s_branch .LBB36_42
.LBB36_41:                              ;   in Loop: Header=BB36_42 Depth=1
	s_or_b64 exec, exec, s[4:5]
	v_add_u32_e32 v12, 0x100, v12
	v_cmp_le_i32_e32 vcc, s12, v12
	s_or_b64 s[8:9], vcc, s[8:9]
	s_andn2_b64 exec, exec, s[8:9]
	s_cbranch_execz .LBB36_51
.LBB36_42:                              ; =>This Loop Header: Depth=1
                                        ;     Child Loop BB36_44 Depth 2
                                        ;     Child Loop BB36_48 Depth 2
	;; [unrolled: 1-line block ×3, first 2 shown]
	s_and_b64 vcc, exec, s[6:7]
	v_mov_b32_e32 v2, s18
	v_mov_b32_e32 v0, s13
	s_cbranch_vccnz .LBB36_46
; %bb.43:                               ;   in Loop: Header=BB36_42 Depth=1
	s_mov_b64 s[10:11], 0
	v_mov_b32_e32 v2, s18
	v_mov_b32_e32 v0, s13
.LBB36_44:                              ;   Parent Loop BB36_42 Depth=1
                                        ; =>  This Inner Loop Header: Depth=2
	v_add_u32_e32 v1, v0, v2
	v_lshrrev_b32_e32 v4, 31, v1
	v_add_u32_e32 v1, v1, v4
	v_ashrrev_i32_e32 v4, 1, v1
	v_ashrrev_i32_e32 v5, 31, v4
	v_lshlrev_b64 v[6:7], 2, v[4:5]
	v_mov_b32_e32 v3, s21
	v_add_co_u32_e32 v6, vcc, s20, v6
	v_addc_co_u32_e32 v7, vcc, v3, v7, vcc
	global_load_dword v1, v[6:7], off
	s_waitcnt vmcnt(0)
	v_subrev_u32_e32 v1, s28, v1
	v_cmp_gt_i32_e32 vcc, v1, v12
	v_cndmask_b32_e32 v0, v0, v4, vcc
	v_cndmask_b32_e32 v2, v4, v2, vcc
	v_add_u32_e32 v1, -1, v0
	v_cmp_ge_i32_e32 vcc, v2, v0
	v_cmp_eq_u32_e64 s[4:5], v2, v1
	s_or_b64 s[4:5], vcc, s[4:5]
	s_and_b64 s[4:5], exec, s[4:5]
	s_or_b64 s[10:11], s[4:5], s[10:11]
	s_andn2_b64 exec, exec, s[10:11]
	s_cbranch_execnz .LBB36_44
; %bb.45:                               ;   in Loop: Header=BB36_42 Depth=1
	s_or_b64 exec, exec, s[10:11]
.LBB36_46:                              ;   in Loop: Header=BB36_42 Depth=1
	v_ashrrev_i32_e32 v1, 31, v0
	v_lshlrev_b64 v[4:5], 2, v[0:1]
	v_add_co_u32_e32 v4, vcc, s20, v4
	v_addc_co_u32_e32 v5, vcc, v22, v5, vcc
	v_ashrrev_i32_e32 v13, 31, v12
	global_load_dword v1, v[4:5], off
	v_lshlrev_b64 v[4:5], 2, v[12:13]
	v_add_co_u32_e32 v4, vcc, s22, v4
	v_addc_co_u32_e32 v5, vcc, v23, v5, vcc
	global_load_dword v3, v[4:5], off
	s_waitcnt vmcnt(1)
	v_subrev_u32_e32 v1, s28, v1
	v_cmp_gt_i32_e32 vcc, v1, v12
	v_cndmask_b32_e32 v0, v0, v2, vcc
	s_waitcnt vmcnt(0)
	v_subrev_u32_e32 v2, s28, v3
	v_cmp_ne_u32_e32 vcc, v2, v0
	s_and_saveexec_b64 s[4:5], vcc
	s_cbranch_execz .LBB36_41
; %bb.47:                               ;   in Loop: Header=BB36_42 Depth=1
	v_ashrrev_i32_e32 v3, 31, v2
	v_lshlrev_b64 v[4:5], 4, v[2:3]
	v_lshlrev_b64 v[2:3], 4, v[12:13]
	v_mov_b32_e32 v1, s25
	v_add_co_u32_e32 v2, vcc, s24, v2
	v_addc_co_u32_e32 v3, vcc, v1, v3, vcc
	global_load_dwordx4 v[24:27], v[2:3], off
	v_ashrrev_i32_e32 v1, 31, v0
	v_lshlrev_b64 v[0:1], 4, v[0:1]
	v_mov_b32_e32 v2, s27
	v_add_co_u32_e32 v0, vcc, s26, v0
	v_addc_co_u32_e32 v1, vcc, v2, v1, vcc
	v_mov_b32_e32 v6, s31
	global_load_dwordx4 v[0:3], v[0:1], off
	v_add_co_u32_e32 v14, vcc, s30, v4
	v_addc_co_u32_e32 v15, vcc, v6, v5, vcc
	global_load_dwordx2 v[6:7], v[14:15], off
	s_mov_b64 s[10:11], 0
	s_waitcnt vmcnt(2)
	v_xor_b32_e32 v4, 0x80000000, v27
	v_cndmask_b32_e64 v27, v27, v4, s[16:17]
	v_mul_f64 v[18:19], v[8:9], v[26:27]
	v_mul_f64 v[16:17], v[26:27], -v[10:11]
	v_fmac_f64_e32 v[18:19], v[10:11], v[24:25]
	v_fmac_f64_e32 v[16:17], v[8:9], v[24:25]
	s_waitcnt vmcnt(1)
	v_mul_f64 v[20:21], v[2:3], -v[18:19]
	v_fmac_f64_e32 v[20:21], v[16:17], v[0:1]
.LBB36_48:                              ;   Parent Loop BB36_42 Depth=1
                                        ; =>  This Inner Loop Header: Depth=2
	s_waitcnt vmcnt(0)
	v_add_f64 v[4:5], v[6:7], v[20:21]
	global_atomic_cmpswap_x2 v[4:5], v[14:15], v[4:7], off glc
	s_waitcnt vmcnt(0)
	v_cmp_eq_u64_e32 vcc, v[4:5], v[6:7]
	s_or_b64 s[10:11], vcc, s[10:11]
	v_pk_mov_b32 v[6:7], v[4:5], v[4:5] op_sel:[0,1]
	s_andn2_b64 exec, exec, s[10:11]
	s_cbranch_execnz .LBB36_48
; %bb.49:                               ;   in Loop: Header=BB36_42 Depth=1
	s_or_b64 exec, exec, s[10:11]
	global_load_dwordx2 v[4:5], v[14:15], off offset:8
	v_mul_f64 v[6:7], v[2:3], v[16:17]
	v_fmac_f64_e32 v[6:7], v[18:19], v[0:1]
	s_mov_b64 s[10:11], 0
.LBB36_50:                              ;   Parent Loop BB36_42 Depth=1
                                        ; =>  This Inner Loop Header: Depth=2
	s_waitcnt vmcnt(0)
	v_add_f64 v[2:3], v[4:5], v[6:7]
	global_atomic_cmpswap_x2 v[0:1], v[14:15], v[2:5], off offset:8 glc
	s_waitcnt vmcnt(0)
	v_cmp_eq_u64_e32 vcc, v[0:1], v[4:5]
	s_or_b64 s[10:11], vcc, s[10:11]
	v_pk_mov_b32 v[4:5], v[0:1], v[0:1] op_sel:[0,1]
	s_andn2_b64 exec, exec, s[10:11]
	s_cbranch_execnz .LBB36_50
	s_branch .LBB36_41
.LBB36_51:
	s_endpgm
	.section	.rodata,"a",@progbits
	.p2align	6, 0x0
	.amdhsa_kernel _ZL33csrmvn_symm_large_adaptive_kernelIii21rocsparse_complex_numIdES1_S1_S1_EvbT_PKS2_N9rocsparse24const_host_device_scalarIT4_EES4_PKT0_PKT1_PKT2_S8_PT3_21rocsparse_index_base_b
		.amdhsa_group_segment_fixed_size 16384
		.amdhsa_private_segment_fixed_size 24
		.amdhsa_kernarg_size 96
		.amdhsa_user_sgpr_count 8
		.amdhsa_user_sgpr_private_segment_buffer 1
		.amdhsa_user_sgpr_dispatch_ptr 0
		.amdhsa_user_sgpr_queue_ptr 0
		.amdhsa_user_sgpr_kernarg_segment_ptr 1
		.amdhsa_user_sgpr_dispatch_id 0
		.amdhsa_user_sgpr_flat_scratch_init 1
		.amdhsa_user_sgpr_kernarg_preload_length 0
		.amdhsa_user_sgpr_kernarg_preload_offset 0
		.amdhsa_user_sgpr_private_segment_size 0
		.amdhsa_uses_dynamic_stack 0
		.amdhsa_system_sgpr_private_segment_wavefront_offset 1
		.amdhsa_system_sgpr_workgroup_id_x 1
		.amdhsa_system_sgpr_workgroup_id_y 0
		.amdhsa_system_sgpr_workgroup_id_z 0
		.amdhsa_system_sgpr_workgroup_info 0
		.amdhsa_system_vgpr_workitem_id 0
		.amdhsa_next_free_vgpr 28
		.amdhsa_next_free_sgpr 48
		.amdhsa_accum_offset 28
		.amdhsa_reserve_vcc 1
		.amdhsa_reserve_flat_scratch 1
		.amdhsa_float_round_mode_32 0
		.amdhsa_float_round_mode_16_64 0
		.amdhsa_float_denorm_mode_32 3
		.amdhsa_float_denorm_mode_16_64 3
		.amdhsa_dx10_clamp 1
		.amdhsa_ieee_mode 1
		.amdhsa_fp16_overflow 0
		.amdhsa_tg_split 0
		.amdhsa_exception_fp_ieee_invalid_op 0
		.amdhsa_exception_fp_denorm_src 0
		.amdhsa_exception_fp_ieee_div_zero 0
		.amdhsa_exception_fp_ieee_overflow 0
		.amdhsa_exception_fp_ieee_underflow 0
		.amdhsa_exception_fp_ieee_inexact 0
		.amdhsa_exception_int_div_zero 0
	.end_amdhsa_kernel
	.section	.text._ZL33csrmvn_symm_large_adaptive_kernelIii21rocsparse_complex_numIdES1_S1_S1_EvbT_PKS2_N9rocsparse24const_host_device_scalarIT4_EES4_PKT0_PKT1_PKT2_S8_PT3_21rocsparse_index_base_b,"axG",@progbits,_ZL33csrmvn_symm_large_adaptive_kernelIii21rocsparse_complex_numIdES1_S1_S1_EvbT_PKS2_N9rocsparse24const_host_device_scalarIT4_EES4_PKT0_PKT1_PKT2_S8_PT3_21rocsparse_index_base_b,comdat
.Lfunc_end36:
	.size	_ZL33csrmvn_symm_large_adaptive_kernelIii21rocsparse_complex_numIdES1_S1_S1_EvbT_PKS2_N9rocsparse24const_host_device_scalarIT4_EES4_PKT0_PKT1_PKT2_S8_PT3_21rocsparse_index_base_b, .Lfunc_end36-_ZL33csrmvn_symm_large_adaptive_kernelIii21rocsparse_complex_numIdES1_S1_S1_EvbT_PKS2_N9rocsparse24const_host_device_scalarIT4_EES4_PKT0_PKT1_PKT2_S8_PT3_21rocsparse_index_base_b
                                        ; -- End function
	.section	.AMDGPU.csdata,"",@progbits
; Kernel info:
; codeLenInByte = 2556
; NumSgprs: 54
; NumVgprs: 28
; NumAgprs: 0
; TotalNumVgprs: 28
; ScratchSize: 24
; MemoryBound: 0
; FloatMode: 240
; IeeeMode: 1
; LDSByteSize: 16384 bytes/workgroup (compile time only)
; SGPRBlocks: 6
; VGPRBlocks: 3
; NumSGPRsForWavesPerEU: 54
; NumVGPRsForWavesPerEU: 28
; AccumOffset: 28
; Occupancy: 4
; WaveLimiterHint : 1
; COMPUTE_PGM_RSRC2:SCRATCH_EN: 1
; COMPUTE_PGM_RSRC2:USER_SGPR: 8
; COMPUTE_PGM_RSRC2:TRAP_HANDLER: 0
; COMPUTE_PGM_RSRC2:TGID_X_EN: 1
; COMPUTE_PGM_RSRC2:TGID_Y_EN: 0
; COMPUTE_PGM_RSRC2:TGID_Z_EN: 0
; COMPUTE_PGM_RSRC2:TIDIG_COMP_CNT: 0
; COMPUTE_PGM_RSRC3_GFX90A:ACCUM_OFFSET: 6
; COMPUTE_PGM_RSRC3_GFX90A:TG_SPLIT: 0
	.section	.text._ZN9rocsparseL22csrmvn_adaptive_kernelIli21rocsparse_complex_numIdES2_S2_S2_EEvbT_PKS3_PjPKT0_NS_24const_host_device_scalarIT4_EES5_S9_PKT1_PKT2_SC_PT3_21rocsparse_index_base_b,"axG",@progbits,_ZN9rocsparseL22csrmvn_adaptive_kernelIli21rocsparse_complex_numIdES2_S2_S2_EEvbT_PKS3_PjPKT0_NS_24const_host_device_scalarIT4_EES5_S9_PKT1_PKT2_SC_PT3_21rocsparse_index_base_b,comdat
	.globl	_ZN9rocsparseL22csrmvn_adaptive_kernelIli21rocsparse_complex_numIdES2_S2_S2_EEvbT_PKS3_PjPKT0_NS_24const_host_device_scalarIT4_EES5_S9_PKT1_PKT2_SC_PT3_21rocsparse_index_base_b ; -- Begin function _ZN9rocsparseL22csrmvn_adaptive_kernelIli21rocsparse_complex_numIdES2_S2_S2_EEvbT_PKS3_PjPKT0_NS_24const_host_device_scalarIT4_EES5_S9_PKT1_PKT2_SC_PT3_21rocsparse_index_base_b
	.p2align	8
	.type	_ZN9rocsparseL22csrmvn_adaptive_kernelIli21rocsparse_complex_numIdES2_S2_S2_EEvbT_PKS3_PjPKT0_NS_24const_host_device_scalarIT4_EES5_S9_PKT1_PKT2_SC_PT3_21rocsparse_index_base_b,@function
_ZN9rocsparseL22csrmvn_adaptive_kernelIli21rocsparse_complex_numIdES2_S2_S2_EEvbT_PKS3_PjPKT0_NS_24const_host_device_scalarIT4_EES5_S9_PKT1_PKT2_SC_PT3_21rocsparse_index_base_b: ; @_ZN9rocsparseL22csrmvn_adaptive_kernelIli21rocsparse_complex_numIdES2_S2_S2_EEvbT_PKS3_PjPKT0_NS_24const_host_device_scalarIT4_EES5_S9_PKT1_PKT2_SC_PT3_21rocsparse_index_base_b
; %bb.0:
	s_add_u32 flat_scratch_lo, s6, s9
	s_load_dwordx2 s[48:49], s[4:5], 0x70
	s_load_dwordx4 s[16:19], s[4:5], 0x28
	s_addc_u32 flat_scratch_hi, s7, 0
	s_add_u32 s0, s0, s9
	s_load_dwordx4 s[12:15], s[4:5], 0x58
	s_addc_u32 s1, s1, 0
	s_waitcnt lgkmcnt(0)
	s_bitcmp1_b32 s49, 0
	v_mov_b32_e32 v1, 0
	v_mov_b32_e32 v3, s16
	s_cselect_b64 s[6:7], -1, 0
	v_cndmask_b32_e64 v2, v3, v1, s[6:7]
	v_mov_b32_e32 v1, s17
	s_mov_b64 s[10:11], src_private_base
	s_and_b64 vcc, s[6:7], exec
	buffer_store_dword v1, off, s[0:3], 0 offset:4
	buffer_store_dword v3, off, s[0:3], 0
	v_mov_b32_e32 v1, s13
	s_cselect_b32 s9, s11, s17
	buffer_store_dword v1, off, s[0:3], 0 offset:12
	v_mov_b32_e32 v1, s12
	buffer_store_dword v1, off, s[0:3], 0 offset:8
	v_mov_b32_e32 v3, s9
	flat_load_dwordx2 v[14:15], v[2:3]
	s_xor_b64 s[20:21], s[6:7], -1
	v_pk_mov_b32 v[16:17], s[18:19], s[18:19] op_sel:[0,1]
	s_cbranch_vccnz .LBB37_2
; %bb.1:
	v_pk_mov_b32 v[2:3], s[16:17], s[16:17] op_sel:[0,1]
	flat_load_dwordx2 v[16:17], v[2:3] offset:8
.LBB37_2:
	s_and_b64 s[16:17], s[6:7], exec
	s_cselect_b32 s9, s11, s13
	v_mov_b32_e32 v1, 8
	v_mov_b32_e32 v2, s12
	v_cndmask_b32_e64 v2, v2, v1, s[6:7]
	v_mov_b32_e32 v3, s9
	flat_load_dwordx2 v[10:11], v[2:3]
	s_andn2_b64 vcc, exec, s[20:21]
	v_pk_mov_b32 v[12:13], s[14:15], s[14:15] op_sel:[0,1]
	s_cbranch_vccnz .LBB37_4
; %bb.3:
	v_pk_mov_b32 v[2:3], s[12:13], s[12:13] op_sel:[0,1]
	flat_load_dwordx2 v[12:13], v[2:3] offset:8
.LBB37_4:
	s_waitcnt vmcnt(0) lgkmcnt(0)
	v_cmp_eq_f64_e32 vcc, 0, v[14:15]
	v_cmp_eq_f64_e64 s[6:7], 0, v[16:17]
	s_and_b64 s[12:13], vcc, s[6:7]
	s_mov_b64 s[6:7], -1
	s_and_saveexec_b64 s[10:11], s[12:13]
; %bb.5:
	v_cmp_neq_f64_e32 vcc, 1.0, v[10:11]
	v_cmp_neq_f64_e64 s[6:7], 0, v[12:13]
	s_or_b64 s[6:7], vcc, s[6:7]
	s_orn2_b64 s[6:7], s[6:7], exec
; %bb.6:
	s_or_b64 exec, exec, s[10:11]
	s_and_saveexec_b64 s[10:11], s[6:7]
	s_cbranch_execz .LBB37_121
; %bb.7:
	s_load_dwordx2 s[10:11], s[4:5], 0x20
	s_load_dword s6, s[4:5], 0x0
	s_load_dwordx2 s[12:13], s[4:5], 0x10
	s_waitcnt lgkmcnt(0)
	s_bitcmp1_b32 s6, 0
	s_cselect_b64 s[6:7], -1, 0
	s_ashr_i32 s9, s8, 31
	s_lshl_b64 s[14:15], s[8:9], 3
	s_add_u32 s12, s12, s14
	s_addc_u32 s13, s13, s15
	s_load_dwordx4 s[28:31], s[12:13], 0x0
	s_load_dwordx2 s[34:35], s[4:5], 0x68
	s_load_dwordx8 s[36:43], s[4:5], 0x38
	s_lshl_b64 s[50:51], s[8:9], 2
	s_waitcnt lgkmcnt(0)
	s_sub_i32 s9, s30, s28
	s_add_u32 s10, s10, s50
	s_addc_u32 s11, s11, s51
	s_lshl_b64 s[12:13], s[28:29], 3
	s_add_u32 s46, s36, s12
	s_addc_u32 s47, s37, s13
	s_load_dword s33, s[10:11], 0x0
	s_load_dwordx2 s[44:45], s[46:47], 0x0
	s_cmp_lt_i32 s9, 2
	s_mov_b64 s[10:11], -1
	s_cbranch_scc0 .LBB37_77
; %bb.8:
	s_cmp_lg_u32 s9, 1
	s_cselect_b64 s[10:11], -1, 0
	s_waitcnt lgkmcnt(0)
	s_cmp_lg_u32 s33, 0
	s_cselect_b64 s[12:13], -1, 0
	s_or_b64 s[12:13], s[10:11], s[12:13]
	s_mov_b64 s[10:11], -1
	s_and_b64 vcc, exec, s[12:13]
	s_cbranch_vccnz .LBB37_37
; %bb.9:
	v_pk_mov_b32 v[2:3], s[28:29], s[28:29] op_sel:[0,1]
	v_cmp_le_i64_e32 vcc, s[30:31], v[2:3]
	s_cbranch_vccnz .LBB37_36
; %bb.10:
	v_subrev_co_u32_e32 v1, vcc, s48, v0
	v_subb_co_u32_e64 v20, s[10:11], 0, 0, vcc
	v_cmp_neq_f64_e32 vcc, 0, v[10:11]
	v_cmp_neq_f64_e64 s[26:27], 0, v[12:13]
	s_movk_i32 s9, 0x80
	s_or_b64 s[52:53], vcc, s[26:27]
	v_cmp_gt_u32_e64 s[10:11], s9, v0
	s_add_u32 s9, s36, 8
	s_addc_u32 s49, s37, 0
	s_add_u32 s64, s40, 8
	v_lshlrev_b32_e32 v21, 4, v0
	v_cmp_gt_u32_e64 s[12:13], 64, v0
	v_cmp_gt_u32_e64 s[14:15], 32, v0
	;; [unrolled: 1-line block ×6, first 2 shown]
	v_cmp_eq_u32_e64 s[24:25], 0, v0
	s_addc_u32 s65, s41, 0
	v_mov_b32_e32 v22, s43
	s_movk_i32 s66, 0x100
	v_mov_b32_e32 v23, 0
	s_mov_b64 s[56:57], s[44:45]
	s_mov_b64 s[54:55], s[28:29]
	s_branch .LBB37_13
.LBB37_11:                              ;   in Loop: Header=BB37_13 Depth=1
	s_or_b64 exec, exec, s[58:59]
	s_lshl_b64 s[58:59], s[54:55], 4
	s_add_u32 s58, s34, s58
	s_addc_u32 s59, s35, s59
	s_waitcnt lgkmcnt(0)
	global_store_dwordx4 v23, v[2:5], s[58:59]
.LBB37_12:                              ;   in Loop: Header=BB37_13 Depth=1
	s_or_b64 exec, exec, s[26:27]
	s_add_u32 s54, s54, 1
	s_addc_u32 s55, s55, 0
	v_pk_mov_b32 v[2:3], s[30:31], s[30:31] op_sel:[0,1]
	v_cmp_ge_i64_e32 vcc, s[54:55], v[2:3]
	s_cbranch_vccnz .LBB37_36
.LBB37_13:                              ; =>This Loop Header: Depth=1
                                        ;     Child Loop BB37_15 Depth 2
	s_mov_b64 s[26:27], s[56:57]
	s_lshl_b64 s[56:57], s[54:55], 3
	s_add_u32 s56, s9, s56
	s_addc_u32 s57, s49, s57
	s_load_dwordx2 s[56:57], s[56:57], 0x0
	v_mov_b32_e32 v2, s27
	v_add_co_u32_e32 v6, vcc, s26, v1
	v_addc_co_u32_e32 v7, vcc, v2, v20, vcc
	s_waitcnt lgkmcnt(0)
	s_sub_u32 s58, s56, s48
	s_subb_u32 s59, s57, 0
	v_pk_mov_b32 v[4:5], 0, 0
	v_cmp_gt_i64_e32 vcc, s[58:59], v[6:7]
	v_pk_mov_b32 v[2:3], v[4:5], v[4:5] op_sel:[0,1]
	s_and_saveexec_b64 s[60:61], vcc
	s_cbranch_execz .LBB37_17
; %bb.14:                               ;   in Loop: Header=BB37_13 Depth=1
	v_lshlrev_b64 v[2:3], 4, v[6:7]
	v_mov_b32_e32 v4, s65
	v_add_co_u32_e32 v8, vcc, s64, v2
	v_addc_co_u32_e32 v9, vcc, v4, v3, vcc
	v_lshlrev_b64 v[2:3], 2, v[6:7]
	v_mov_b32_e32 v4, s39
	v_add_co_u32_e32 v18, vcc, s38, v2
	v_addc_co_u32_e32 v19, vcc, v4, v3, vcc
	v_pk_mov_b32 v[4:5], 0, 0
	s_mov_b64 s[62:63], 0
	v_pk_mov_b32 v[2:3], v[4:5], v[4:5] op_sel:[0,1]
.LBB37_15:                              ;   Parent Loop BB37_13 Depth=1
                                        ; =>  This Inner Loop Header: Depth=2
	global_load_dword v28, v[18:19], off
	global_load_dwordx4 v[24:27], v[8:9], off offset:-8
	s_waitcnt vmcnt(1)
	v_subrev_u32_e32 v28, s48, v28
	v_ashrrev_i32_e32 v29, 31, v28
	v_lshlrev_b64 v[28:29], 4, v[28:29]
	v_add_co_u32_e32 v28, vcc, s42, v28
	v_addc_co_u32_e32 v29, vcc, v22, v29, vcc
	global_load_dwordx4 v[28:31], v[28:29], off
	v_add_co_u32_e32 v6, vcc, s66, v6
	s_waitcnt vmcnt(1)
	v_xor_b32_e32 v32, 0x80000000, v27
	v_addc_co_u32_e32 v7, vcc, 0, v7, vcc
	v_cndmask_b32_e64 v27, v27, v32, s[6:7]
	v_add_co_u32_e32 v8, vcc, 0x1000, v8
	v_mul_f64 v[32:33], v[26:27], -v[16:17]
	v_mul_f64 v[26:27], v[14:15], v[26:27]
	v_addc_co_u32_e32 v9, vcc, 0, v9, vcc
	v_fmac_f64_e32 v[32:33], v[14:15], v[24:25]
	v_fmac_f64_e32 v[26:27], v[16:17], v[24:25]
	v_add_co_u32_e32 v18, vcc, 0x400, v18
	v_cmp_le_i64_e64 s[26:27], s[58:59], v[6:7]
	v_addc_co_u32_e32 v19, vcc, 0, v19, vcc
	s_or_b64 s[62:63], s[26:27], s[62:63]
	s_waitcnt vmcnt(0)
	v_fmac_f64_e32 v[2:3], v[32:33], v[28:29]
	v_fmac_f64_e32 v[4:5], v[26:27], v[28:29]
	v_fma_f64 v[2:3], -v[26:27], v[30:31], v[2:3]
	v_fmac_f64_e32 v[4:5], v[32:33], v[30:31]
	s_andn2_b64 exec, exec, s[62:63]
	s_cbranch_execnz .LBB37_15
; %bb.16:                               ;   in Loop: Header=BB37_13 Depth=1
	s_or_b64 exec, exec, s[62:63]
.LBB37_17:                              ;   in Loop: Header=BB37_13 Depth=1
	s_or_b64 exec, exec, s[60:61]
	ds_write_b128 v21, v[2:5]
	s_waitcnt lgkmcnt(0)
	s_barrier
	s_and_saveexec_b64 s[26:27], s[10:11]
	s_cbranch_execz .LBB37_19
; %bb.18:                               ;   in Loop: Header=BB37_13 Depth=1
	ds_read_b128 v[2:5], v21 offset:2048
	ds_read_b128 v[6:9], v21
	s_waitcnt lgkmcnt(0)
	v_add_f64 v[2:3], v[2:3], v[6:7]
	v_add_f64 v[4:5], v[4:5], v[8:9]
	ds_write_b128 v21, v[2:5]
.LBB37_19:                              ;   in Loop: Header=BB37_13 Depth=1
	s_or_b64 exec, exec, s[26:27]
	s_waitcnt lgkmcnt(0)
	s_barrier
	s_and_saveexec_b64 s[26:27], s[12:13]
	s_cbranch_execz .LBB37_21
; %bb.20:                               ;   in Loop: Header=BB37_13 Depth=1
	ds_read_b128 v[2:5], v21 offset:1024
	ds_read_b128 v[6:9], v21
	s_waitcnt lgkmcnt(0)
	v_add_f64 v[2:3], v[2:3], v[6:7]
	v_add_f64 v[4:5], v[4:5], v[8:9]
	ds_write_b128 v21, v[2:5]
.LBB37_21:                              ;   in Loop: Header=BB37_13 Depth=1
	s_or_b64 exec, exec, s[26:27]
	;; [unrolled: 13-line block ×6, first 2 shown]
	s_waitcnt lgkmcnt(0)
	s_barrier
	s_and_saveexec_b64 s[26:27], s[22:23]
	s_cbranch_execz .LBB37_31
; %bb.30:                               ;   in Loop: Header=BB37_13 Depth=1
	ds_read_b128 v[2:5], v21
	ds_read_b128 v[6:9], v21 offset:32
	s_waitcnt lgkmcnt(0)
	v_add_f64 v[2:3], v[6:7], v[2:3]
	v_add_f64 v[4:5], v[8:9], v[4:5]
	ds_write_b128 v21, v[2:5]
.LBB37_31:                              ;   in Loop: Header=BB37_13 Depth=1
	s_or_b64 exec, exec, s[26:27]
	s_waitcnt lgkmcnt(0)
	s_barrier
	s_and_saveexec_b64 s[26:27], s[24:25]
	s_cbranch_execz .LBB37_33
; %bb.32:                               ;   in Loop: Header=BB37_13 Depth=1
	ds_read_b128 v[2:5], v23
	ds_read_b128 v[6:9], v23 offset:16
	s_waitcnt lgkmcnt(0)
	v_add_f64 v[2:3], v[6:7], v[2:3]
	v_add_f64 v[4:5], v[8:9], v[4:5]
	ds_write_b128 v23, v[2:5]
.LBB37_33:                              ;   in Loop: Header=BB37_13 Depth=1
	s_or_b64 exec, exec, s[26:27]
	s_waitcnt lgkmcnt(0)
	s_barrier
	s_and_saveexec_b64 s[26:27], s[24:25]
	s_cbranch_execz .LBB37_12
; %bb.34:                               ;   in Loop: Header=BB37_13 Depth=1
	ds_read_b128 v[2:5], v23
	s_and_saveexec_b64 s[58:59], s[52:53]
	s_cbranch_execz .LBB37_11
; %bb.35:                               ;   in Loop: Header=BB37_13 Depth=1
	s_lshl_b64 s[60:61], s[54:55], 4
	s_add_u32 s60, s34, s60
	s_addc_u32 s61, s35, s61
	global_load_dwordx4 v[6:9], v23, s[60:61]
	s_waitcnt vmcnt(0) lgkmcnt(0)
	v_fmac_f64_e32 v[2:3], v[10:11], v[6:7]
	v_fmac_f64_e32 v[4:5], v[12:13], v[6:7]
	v_fma_f64 v[2:3], -v[12:13], v[8:9], v[2:3]
	v_fmac_f64_e32 v[4:5], v[10:11], v[8:9]
	s_branch .LBB37_11
.LBB37_36:
	s_mov_b64 s[10:11], 0
.LBB37_37:
	s_andn2_b64 vcc, exec, s[10:11]
	s_cbranch_vccnz .LBB37_76
; %bb.38:
	s_load_dwordx2 s[12:13], s[4:5], 0x18
	s_sub_i32 s14, s8, s33
	v_or_b32_e32 v1, s33, v0
	v_pk_mov_b32 v[2:3], 0, 0
	v_cmp_eq_u32_e32 vcc, 0, v1
	s_waitcnt lgkmcnt(0)
	s_add_u32 s10, s12, s50
	s_addc_u32 s11, s13, s51
	s_load_dword s22, s[10:11], 0x0
	v_pk_mov_b32 v[4:5], v[2:3], v[2:3] op_sel:[0,1]
	s_and_saveexec_b64 s[8:9], vcc
	s_cbranch_execz .LBB37_42
; %bb.39:
	s_lshl_b64 s[18:19], s[28:29], 4
	s_add_u32 s18, s34, s18
	s_addc_u32 s19, s35, s19
	v_mov_b32_e32 v1, 0
	global_load_dwordx4 v[6:9], v1, s[18:19]
	s_mov_b64 s[16:17], exec
	v_mbcnt_lo_u32_b32 v2, s16, 0
	v_add_f64 v[18:19], v[10:11], -1.0
	v_mbcnt_hi_u32_b32 v20, s17, v2
	v_cmp_eq_u32_e32 vcc, 0, v20
	s_waitcnt vmcnt(0) expcnt(0) lgkmcnt(0)
	v_mul_f64 v[2:3], v[8:9], -v[12:13]
	v_mul_f64 v[4:5], v[18:19], v[8:9]
	s_and_saveexec_b64 s[18:19], vcc
	s_cbranch_execz .LBB37_41
; %bb.40:
	s_ashr_i32 s15, s14, 31
	s_lshl_b64 s[20:21], s[14:15], 2
	s_add_u32 s20, s12, s20
	s_addc_u32 s21, s13, s21
	s_bcnt1_i32_b64 s15, s[16:17]
	s_and_b32 s15, s15, 1
	v_mov_b32_e32 v8, s15
	global_atomic_xor v1, v8, s[20:21]
.LBB37_41:
	s_or_b64 exec, exec, s[18:19]
	v_fmac_f64_e32 v[2:3], v[18:19], v[6:7]
	v_fmac_f64_e32 v[4:5], v[12:13], v[6:7]
.LBB37_42:
	s_or_b64 exec, exec, s[8:9]
	s_load_dwordx2 s[8:9], s[46:47], 0x8
	s_sub_u32 s17, s44, s48
	s_mul_i32 s15, s33, 0xc00
	s_subb_u32 s18, s45, 0
	s_mul_hi_i32 s16, s33, 0xc00
	s_add_u32 s15, s17, s15
	s_addc_u32 s18, s18, s16
	s_waitcnt lgkmcnt(0)
	s_sub_u32 s8, s8, s48
	v_mov_b32_e32 v1, s18
	v_add_co_u32_e32 v6, vcc, s15, v0
	s_subb_u32 s9, s9, 0
	v_addc_co_u32_e32 v7, vcc, 0, v1, vcc
	v_cmp_gt_i64_e32 vcc, s[8:9], v[6:7]
	s_and_saveexec_b64 s[16:17], vcc
	s_cbranch_execz .LBB37_46
; %bb.43:
	s_add_u32 s20, s15, 0xc00
	s_addc_u32 s21, s18, 0
	v_pk_mov_b32 v[8:9], s[8:9], s[8:9] op_sel:[0,1]
	v_cmp_lt_i64_e32 vcc, s[20:21], v[8:9]
	v_lshlrev_b64 v[8:9], 4, v[6:7]
	s_and_b64 s[18:19], vcc, exec
	v_mov_b32_e32 v1, s41
	v_add_co_u32_e32 v8, vcc, s40, v8
	v_addc_co_u32_e32 v1, vcc, v9, v1, vcc
	v_add_co_u32_e32 v8, vcc, 8, v8
	v_addc_co_u32_e32 v9, vcc, 0, v1, vcc
	v_lshlrev_b64 v[18:19], 2, v[6:7]
	v_mov_b32_e32 v1, s39
	v_add_co_u32_e32 v18, vcc, s38, v18
	s_cselect_b32 s19, s21, s9
	s_cselect_b32 s18, s20, s8
	v_addc_co_u32_e32 v19, vcc, v1, v19, vcc
	s_mov_b64 s[20:21], 0
	v_mov_b32_e32 v1, s43
	s_movk_i32 s15, 0x100
.LBB37_44:                              ; =>This Inner Loop Header: Depth=1
	global_load_dword v24, v[18:19], off
	global_load_dwordx4 v[20:23], v[8:9], off offset:-8
	s_waitcnt vmcnt(1)
	v_subrev_u32_e32 v24, s48, v24
	v_ashrrev_i32_e32 v25, 31, v24
	v_lshlrev_b64 v[24:25], 4, v[24:25]
	v_add_co_u32_e32 v24, vcc, s42, v24
	v_addc_co_u32_e32 v25, vcc, v1, v25, vcc
	global_load_dwordx4 v[24:27], v[24:25], off
	v_add_co_u32_e32 v6, vcc, s15, v6
	s_waitcnt vmcnt(1)
	v_xor_b32_e32 v28, 0x80000000, v23
	v_addc_co_u32_e32 v7, vcc, 0, v7, vcc
	v_cndmask_b32_e64 v23, v23, v28, s[6:7]
	v_add_co_u32_e32 v8, vcc, 0x1000, v8
	v_mul_f64 v[28:29], v[22:23], -v[16:17]
	v_mul_f64 v[22:23], v[14:15], v[22:23]
	v_addc_co_u32_e32 v9, vcc, 0, v9, vcc
	v_fmac_f64_e32 v[28:29], v[14:15], v[20:21]
	v_fmac_f64_e32 v[22:23], v[16:17], v[20:21]
	v_add_co_u32_e32 v18, vcc, 0x400, v18
	v_cmp_le_i64_e64 s[8:9], s[18:19], v[6:7]
	v_addc_co_u32_e32 v19, vcc, 0, v19, vcc
	s_or_b64 s[20:21], s[8:9], s[20:21]
	s_waitcnt vmcnt(0)
	v_fmac_f64_e32 v[2:3], v[28:29], v[24:25]
	v_fmac_f64_e32 v[4:5], v[22:23], v[24:25]
	v_fma_f64 v[2:3], -v[22:23], v[26:27], v[2:3]
	v_fmac_f64_e32 v[4:5], v[28:29], v[26:27]
	s_andn2_b64 exec, exec, s[20:21]
	s_cbranch_execnz .LBB37_44
; %bb.45:
	s_or_b64 exec, exec, s[20:21]
.LBB37_46:
	s_or_b64 exec, exec, s[16:17]
	s_movk_i32 s8, 0x80
	v_lshlrev_b32_e32 v1, 4, v0
	v_cmp_gt_u32_e32 vcc, s8, v0
	ds_write_b128 v1, v[2:5]
	s_waitcnt lgkmcnt(0)
	s_barrier
	s_and_saveexec_b64 s[8:9], vcc
	s_cbranch_execz .LBB37_48
; %bb.47:
	ds_read_b128 v[2:5], v1 offset:2048
	ds_read_b128 v[6:9], v1
	s_waitcnt lgkmcnt(0)
	v_add_f64 v[2:3], v[2:3], v[6:7]
	v_add_f64 v[4:5], v[4:5], v[8:9]
	ds_write_b128 v1, v[2:5]
.LBB37_48:
	s_or_b64 exec, exec, s[8:9]
	v_cmp_gt_u32_e32 vcc, 64, v0
	s_waitcnt lgkmcnt(0)
	s_barrier
	s_and_saveexec_b64 s[8:9], vcc
	s_cbranch_execz .LBB37_50
; %bb.49:
	ds_read_b128 v[2:5], v1 offset:1024
	ds_read_b128 v[6:9], v1
	s_waitcnt lgkmcnt(0)
	v_add_f64 v[2:3], v[2:3], v[6:7]
	v_add_f64 v[4:5], v[4:5], v[8:9]
	ds_write_b128 v1, v[2:5]
.LBB37_50:
	s_or_b64 exec, exec, s[8:9]
	v_cmp_gt_u32_e32 vcc, 32, v0
	;; [unrolled: 14-line block ×6, first 2 shown]
	s_waitcnt lgkmcnt(0)
	s_barrier
	s_and_saveexec_b64 s[8:9], vcc
	s_cbranch_execz .LBB37_60
; %bb.59:
	ds_read_b128 v[2:5], v1
	ds_read_b128 v[6:9], v1 offset:32
	s_waitcnt lgkmcnt(0)
	v_add_f64 v[2:3], v[6:7], v[2:3]
	v_add_f64 v[4:5], v[8:9], v[4:5]
	ds_write_b128 v1, v[2:5]
.LBB37_60:
	s_or_b64 exec, exec, s[8:9]
	v_cmp_eq_u32_e32 vcc, 0, v0
	s_waitcnt lgkmcnt(0)
	s_barrier
	s_and_saveexec_b64 s[8:9], vcc
	s_cbranch_execz .LBB37_62
; %bb.61:
	v_mov_b32_e32 v1, 0
	ds_read_b128 v[2:5], v1
	ds_read_b128 v[6:9], v1 offset:16
	s_waitcnt lgkmcnt(0)
	v_add_f64 v[2:3], v[6:7], v[2:3]
	v_add_f64 v[4:5], v[8:9], v[4:5]
	ds_write_b128 v1, v[2:5]
.LBB37_62:
	s_or_b64 exec, exec, s[8:9]
	s_waitcnt lgkmcnt(0)
	s_barrier
	s_and_saveexec_b64 s[8:9], vcc
	s_cbranch_execz .LBB37_75
; %bb.63:
	s_cmp_eq_u32 s33, 0
	s_cbranch_scc1 .LBB37_69
; %bb.64:
	s_ashr_i32 s15, s14, 31
	s_lshl_b64 s[14:15], s[14:15], 2
	s_add_u32 s12, s12, s14
	s_addc_u32 s13, s13, s15
	v_mov_b32_e32 v1, 0
	s_branch .LBB37_66
.LBB37_65:                              ;   in Loop: Header=BB37_66 Depth=1
	s_or_b64 exec, exec, s[14:15]
	s_waitcnt vmcnt(0)
	v_readfirstlane_b32 s14, v2
	s_cmp_eq_u32 s14, s22
	s_cbranch_scc0 .LBB37_68
.LBB37_66:                              ; =>This Inner Loop Header: Depth=1
	v_mbcnt_lo_u32_b32 v2, exec_lo, 0
	v_mbcnt_hi_u32_b32 v2, exec_hi, v2
	v_cmp_eq_u32_e32 vcc, 0, v2
                                        ; implicit-def: $vgpr2
	s_and_saveexec_b64 s[14:15], vcc
	s_cbranch_execz .LBB37_65
; %bb.67:                               ;   in Loop: Header=BB37_66 Depth=1
	global_load_dword v2, v1, s[12:13] glc
	s_branch .LBB37_65
.LBB37_68:
	v_mov_b32_e32 v1, 0
	global_load_dword v2, v1, s[10:11]
	s_waitcnt vmcnt(0)
	v_xor_b32_e32 v2, 1, v2
	global_store_dword v1, v2, s[10:11]
.LBB37_69:
	v_mov_b32_e32 v1, 0
	ds_read_b128 v[2:5], v1
	s_mov_b64 s[14:15], exec
	s_lshl_b64 s[10:11], s[28:29], 4
	v_mbcnt_lo_u32_b32 v6, s14, 0
	s_add_u32 s10, s34, s10
	v_mbcnt_hi_u32_b32 v6, s15, v6
	s_addc_u32 s11, s35, s11
	v_cmp_eq_u32_e32 vcc, 0, v6
	s_and_saveexec_b64 s[12:13], vcc
	s_cbranch_execz .LBB37_72
; %bb.70:
	global_load_dwordx2 v[8:9], v1, s[10:11]
	s_bcnt1_i32_b64 s14, s[14:15]
	v_cvt_f64_u32_e32 v[6:7], s14
	s_waitcnt lgkmcnt(0)
	v_mul_f64 v[2:3], v[2:3], v[6:7]
	s_mov_b64 s[14:15], 0
.LBB37_71:                              ; =>This Inner Loop Header: Depth=1
	s_waitcnt vmcnt(0)
	v_add_f64 v[6:7], v[8:9], v[2:3]
	global_atomic_cmpswap_x2 v[6:7], v1, v[6:9], s[10:11] glc
	s_waitcnt vmcnt(0)
	v_cmp_eq_u64_e32 vcc, v[6:7], v[8:9]
	s_or_b64 s[14:15], vcc, s[14:15]
	v_pk_mov_b32 v[8:9], v[6:7], v[6:7] op_sel:[0,1]
	s_andn2_b64 exec, exec, s[14:15]
	s_cbranch_execnz .LBB37_71
.LBB37_72:
	s_or_b64 exec, exec, s[12:13]
	s_mov_b64 s[12:13], exec
	v_mbcnt_lo_u32_b32 v1, s12, 0
	v_mbcnt_hi_u32_b32 v1, s13, v1
	v_cmp_eq_u32_e32 vcc, 0, v1
	s_and_b64 s[14:15], exec, vcc
	s_mov_b64 exec, s[14:15]
	s_cbranch_execz .LBB37_75
; %bb.73:
	v_mov_b32_e32 v1, 0
	global_load_dwordx2 v[6:7], v1, s[10:11] offset:8
	s_bcnt1_i32_b64 s12, s[12:13]
	s_waitcnt lgkmcnt(0)
	v_cvt_f64_u32_e32 v[2:3], s12
	v_mul_f64 v[2:3], v[4:5], v[2:3]
	s_mov_b64 s[12:13], 0
.LBB37_74:                              ; =>This Inner Loop Header: Depth=1
	s_waitcnt vmcnt(0)
	v_add_f64 v[4:5], v[6:7], v[2:3]
	global_atomic_cmpswap_x2 v[4:5], v1, v[4:7], s[10:11] offset:8 glc
	s_waitcnt vmcnt(0)
	v_cmp_eq_u64_e32 vcc, v[4:5], v[6:7]
	s_or_b64 s[12:13], vcc, s[12:13]
	v_pk_mov_b32 v[6:7], v[4:5], v[4:5] op_sel:[0,1]
	s_andn2_b64 exec, exec, s[12:13]
	s_cbranch_execnz .LBB37_74
.LBB37_75:
	s_or_b64 exec, exec, s[8:9]
.LBB37_76:
	s_mov_b64 s[10:11], 0
.LBB37_77:
	s_andn2_b64 vcc, exec, s[10:11]
	s_cbranch_vccnz .LBB37_121
; %bb.78:
	s_load_dwordx2 s[4:5], s[4:5], 0x8
	v_subrev_co_u32_e32 v1, vcc, s48, v0
	s_waitcnt lgkmcnt(0)
	v_subb_co_u32_e64 v3, s[8:9], 0, 0, vcc
	v_mov_b32_e32 v4, s45
	v_add_co_u32_e32 v2, vcc, s44, v1
	v_addc_co_u32_e32 v3, vcc, v4, v3, vcc
	v_add_co_u32_e32 v4, vcc, 0x300, v2
	v_addc_co_u32_e32 v5, vcc, 0, v3, vcc
	v_cmp_le_i64_e32 vcc, s[4:5], v[4:5]
	s_and_saveexec_b64 s[4:5], vcc
	s_xor_b64 s[8:9], exec, s[4:5]
	s_cbranch_execz .LBB37_83
; %bb.79:
	s_lshl_b64 s[4:5], s[30:31], 3
	s_add_u32 s4, s36, s4
	s_addc_u32 s5, s37, s5
	s_load_dwordx2 s[4:5], s[4:5], 0x0
	s_waitcnt lgkmcnt(0)
	s_sub_u32 s10, s4, s48
	s_subb_u32 s11, s5, 0
	v_cmp_gt_i64_e32 vcc, s[10:11], v[2:3]
	s_and_saveexec_b64 s[12:13], vcc
	s_cbranch_execz .LBB37_82
; %bb.80:
	v_lshlrev_b64 v[4:5], 4, v[2:3]
	v_mov_b32_e32 v6, s41
	v_add_co_u32_e32 v4, vcc, s40, v4
	v_addc_co_u32_e32 v5, vcc, v5, v6, vcc
	v_add_co_u32_e32 v4, vcc, 8, v4
	v_addc_co_u32_e32 v5, vcc, 0, v5, vcc
	v_lshlrev_b64 v[6:7], 2, v[2:3]
	v_mov_b32_e32 v8, s39
	v_add_co_u32_e32 v6, vcc, s38, v6
	v_lshlrev_b32_e32 v1, 4, v0
	v_addc_co_u32_e32 v7, vcc, v8, v7, vcc
	s_mov_b64 s[14:15], 0
	v_mov_b32_e32 v8, s43
	s_movk_i32 s16, 0x100
.LBB37_81:                              ; =>This Inner Loop Header: Depth=1
	global_load_dword v9, v[6:7], off
	global_load_dwordx4 v[18:21], v[4:5], off offset:-8
	s_waitcnt vmcnt(1)
	v_subrev_u32_e32 v22, s48, v9
	v_ashrrev_i32_e32 v23, 31, v22
	v_lshlrev_b64 v[22:23], 4, v[22:23]
	v_add_co_u32_e32 v22, vcc, s42, v22
	v_addc_co_u32_e32 v23, vcc, v8, v23, vcc
	global_load_dwordx4 v[22:25], v[22:23], off
	s_waitcnt vmcnt(1)
	v_xor_b32_e32 v9, 0x80000000, v21
	v_add_co_u32_e32 v2, vcc, s16, v2
	v_cndmask_b32_e64 v21, v21, v9, s[6:7]
	v_addc_co_u32_e32 v3, vcc, 0, v3, vcc
	v_mul_f64 v[26:27], v[20:21], -v[16:17]
	v_mul_f64 v[28:29], v[14:15], v[20:21]
	v_add_co_u32_e32 v4, vcc, 0x1000, v4
	v_fmac_f64_e32 v[26:27], v[14:15], v[18:19]
	v_fmac_f64_e32 v[28:29], v[16:17], v[18:19]
	v_addc_co_u32_e32 v5, vcc, 0, v5, vcc
	v_add_co_u32_e32 v6, vcc, 0x400, v6
	v_cmp_le_i64_e64 s[4:5], s[10:11], v[2:3]
	v_addc_co_u32_e32 v7, vcc, 0, v7, vcc
	s_or_b64 s[14:15], s[4:5], s[14:15]
	s_waitcnt vmcnt(0)
	v_mul_f64 v[18:19], v[24:25], -v[28:29]
	v_mul_f64 v[20:21], v[26:27], v[24:25]
	v_fmac_f64_e32 v[18:19], v[26:27], v[22:23]
	v_fmac_f64_e32 v[20:21], v[28:29], v[22:23]
	ds_write_b128 v1, v[18:21]
	v_add_u32_e32 v1, 0x1000, v1
	s_andn2_b64 exec, exec, s[14:15]
	s_cbranch_execnz .LBB37_81
.LBB37_82:
	s_or_b64 exec, exec, s[12:13]
                                        ; implicit-def: $vgpr2_vgpr3
                                        ; implicit-def: $vgpr16_vgpr17
                                        ; implicit-def: $vgpr14_vgpr15
.LBB37_83:
	s_or_saveexec_b64 s[4:5], s[8:9]
	v_lshlrev_b32_e32 v18, 4, v0
	s_xor_b64 exec, exec, s[4:5]
	s_cbranch_execz .LBB37_85
; %bb.84:
	v_lshlrev_b64 v[4:5], 2, v[2:3]
	v_mov_b32_e32 v1, s39
	v_add_co_u32_e32 v4, vcc, s38, v4
	v_addc_co_u32_e32 v5, vcc, v1, v5, vcc
	global_load_dword v1, v[4:5], off
	global_load_dword v19, v[4:5], off offset:1024
	global_load_dword v32, v[4:5], off offset:2048
	;; [unrolled: 1-line block ×3, first 2 shown]
	v_lshlrev_b64 v[2:3], 4, v[2:3]
	v_mov_b32_e32 v4, s41
	v_add_co_u32_e32 v6, vcc, s40, v2
	s_movk_i32 s8, 0x2000
	v_addc_co_u32_e32 v7, vcc, v4, v3, vcc
	v_add_co_u32_e32 v28, vcc, s8, v6
	s_movk_i32 s9, 0x3000
	v_addc_co_u32_e32 v29, vcc, 0, v7, vcc
	v_add_co_u32_e32 v30, vcc, s9, v6
	global_load_dwordx4 v[2:5], v[6:7], off
	v_addc_co_u32_e32 v31, vcc, 0, v7, vcc
	global_load_dwordx4 v[6:9], v[28:29], off offset:-4096
	global_load_dwordx4 v[20:23], v[28:29], off
	global_load_dwordx4 v[24:27], v[30:31], off
	v_mov_b32_e32 v48, s43
	s_waitcnt vmcnt(7)
	v_subrev_u32_e32 v28, s48, v1
	v_ashrrev_i32_e32 v29, 31, v28
	s_waitcnt vmcnt(6)
	v_subrev_u32_e32 v30, s48, v19
	v_lshlrev_b64 v[28:29], 4, v[28:29]
	v_ashrrev_i32_e32 v31, 31, v30
	v_add_co_u32_e32 v42, vcc, s42, v28
	s_waitcnt vmcnt(5)
	v_subrev_u32_e32 v32, s48, v32
	v_lshlrev_b64 v[30:31], 4, v[30:31]
	v_addc_co_u32_e32 v43, vcc, v48, v29, vcc
	s_waitcnt vmcnt(4)
	v_subrev_u32_e32 v34, s48, v33
	v_ashrrev_i32_e32 v33, 31, v32
	v_add_co_u32_e32 v44, vcc, s42, v30
	v_lshlrev_b64 v[32:33], 4, v[32:33]
	v_addc_co_u32_e32 v45, vcc, v48, v31, vcc
	v_ashrrev_i32_e32 v35, 31, v34
	v_add_co_u32_e32 v46, vcc, s42, v32
	v_lshlrev_b64 v[40:41], 4, v[34:35]
	v_addc_co_u32_e32 v47, vcc, v48, v33, vcc
	v_add_co_u32_e32 v40, vcc, s42, v40
	v_addc_co_u32_e32 v41, vcc, v48, v41, vcc
	global_load_dwordx4 v[28:31], v[42:43], off
	global_load_dwordx4 v[32:35], v[44:45], off
	;; [unrolled: 1-line block ×3, first 2 shown]
	s_waitcnt vmcnt(6)
	v_xor_b32_e32 v1, 0x80000000, v5
	global_load_dwordx4 v[40:43], v[40:41], off
	v_cndmask_b32_e64 v5, v5, v1, s[6:7]
	s_waitcnt vmcnt(6)
	v_xor_b32_e32 v1, 0x80000000, v9
	s_waitcnt vmcnt(5)
	v_xor_b32_e32 v19, 0x80000000, v23
	;; [unrolled: 2-line block ×3, first 2 shown]
	v_mul_f64 v[44:45], v[4:5], -v[16:17]
	v_mul_f64 v[46:47], v[14:15], v[4:5]
	v_cndmask_b32_e64 v9, v9, v1, s[6:7]
	v_cndmask_b32_e64 v23, v23, v19, s[6:7]
	;; [unrolled: 1-line block ×3, first 2 shown]
	v_fmac_f64_e32 v[44:45], v[14:15], v[2:3]
	v_fmac_f64_e32 v[46:47], v[16:17], v[2:3]
	v_mul_f64 v[48:49], v[8:9], -v[16:17]
	v_mul_f64 v[50:51], v[14:15], v[8:9]
	v_mul_f64 v[52:53], v[22:23], -v[16:17]
	v_mul_f64 v[54:55], v[14:15], v[22:23]
	;; [unrolled: 2-line block ×3, first 2 shown]
	v_fmac_f64_e32 v[48:49], v[14:15], v[6:7]
	v_fmac_f64_e32 v[50:51], v[16:17], v[6:7]
	v_fmac_f64_e32 v[52:53], v[14:15], v[20:21]
	v_fmac_f64_e32 v[54:55], v[16:17], v[20:21]
	v_fmac_f64_e32 v[56:57], v[14:15], v[24:25]
	v_fmac_f64_e32 v[26:27], v[16:17], v[24:25]
	s_waitcnt vmcnt(3)
	v_mul_f64 v[2:3], v[30:31], -v[46:47]
	v_mul_f64 v[4:5], v[44:45], v[30:31]
	s_waitcnt vmcnt(2)
	v_mul_f64 v[6:7], v[34:35], -v[50:51]
	v_mul_f64 v[8:9], v[48:49], v[34:35]
	;; [unrolled: 3-line block ×4, first 2 shown]
	v_fmac_f64_e32 v[2:3], v[44:45], v[28:29]
	v_fmac_f64_e32 v[4:5], v[46:47], v[28:29]
	;; [unrolled: 1-line block ×8, first 2 shown]
	ds_write_b128 v18, v[2:5]
	ds_write_b128 v18, v[6:9] offset:4096
	ds_write_b128 v18, v[14:17] offset:8192
	ds_write_b128 v18, v[20:23] offset:12288
.LBB37_85:
	s_or_b64 exec, exec, s[4:5]
	s_cmp_lt_i32 s33, 2
	s_mov_b64 s[4:5], -1
	s_waitcnt lgkmcnt(0)
	s_barrier
	s_cbranch_scc0 .LBB37_96
; %bb.86:
	v_mov_b32_e32 v1, s29
	v_add_co_u32_e32 v14, vcc, s28, v0
	v_addc_co_u32_e32 v15, vcc, 0, v1, vcc
	v_cmp_gt_i64_e32 vcc, s[30:31], v[14:15]
	s_and_saveexec_b64 s[6:7], vcc
	s_cbranch_execz .LBB37_95
; %bb.87:
	v_cmp_neq_f64_e32 vcc, 0, v[10:11]
	v_cmp_neq_f64_e64 s[4:5], 0, v[12:13]
	s_lshl_b32 s10, s44, 4
	s_mov_b64 s[8:9], 0
	s_or_b64 s[4:5], vcc, s[4:5]
	s_sub_i32 s14, 0, s10
	v_mov_b32_e32 v1, s37
	v_mov_b32_e32 v16, s35
	s_branch .LBB37_89
.LBB37_88:                              ;   in Loop: Header=BB37_89 Depth=1
	s_or_b64 exec, exec, s[10:11]
	v_add_co_u32_e32 v6, vcc, s34, v6
	v_addc_co_u32_e32 v7, vcc, v16, v7, vcc
	v_add_co_u32_e32 v14, vcc, 0x100, v14
	v_addc_co_u32_e32 v15, vcc, 0, v15, vcc
	v_cmp_le_i64_e32 vcc, s[30:31], v[14:15]
	s_or_b64 s[8:9], vcc, s[8:9]
	global_store_dwordx4 v[6:7], v[2:5], off
	s_andn2_b64 exec, exec, s[8:9]
	s_cbranch_execz .LBB37_95
.LBB37_89:                              ; =>This Loop Header: Depth=1
                                        ;     Child Loop BB37_91 Depth 2
	v_lshlrev_b64 v[2:3], 3, v[14:15]
	v_add_co_u32_e32 v2, vcc, s36, v2
	v_addc_co_u32_e32 v3, vcc, v1, v3, vcc
	global_load_dwordx4 v[6:9], v[2:3], off
	v_pk_mov_b32 v[4:5], 0, 0
	v_pk_mov_b32 v[2:3], v[4:5], v[4:5] op_sel:[0,1]
	s_waitcnt vmcnt(0)
	v_subrev_u32_e32 v7, s44, v6
	v_subrev_u32_e32 v8, s44, v8
	v_cmp_lt_i32_e32 vcc, v7, v8
	s_and_saveexec_b64 s[10:11], vcc
	s_cbranch_execz .LBB37_93
; %bb.90:                               ;   in Loop: Header=BB37_89 Depth=1
	v_pk_mov_b32 v[4:5], 0, 0
	v_lshl_add_u32 v6, v6, 4, s14
	s_mov_b64 s[12:13], 0
	v_pk_mov_b32 v[2:3], v[4:5], v[4:5] op_sel:[0,1]
.LBB37_91:                              ;   Parent Loop BB37_89 Depth=1
                                        ; =>  This Inner Loop Header: Depth=2
	ds_read_b128 v[20:23], v6
	v_add_u32_e32 v7, 1, v7
	v_cmp_ge_i32_e32 vcc, v7, v8
	v_add_u32_e32 v6, 16, v6
	s_or_b64 s[12:13], vcc, s[12:13]
	s_waitcnt lgkmcnt(0)
	v_add_f64 v[2:3], v[2:3], v[20:21]
	v_add_f64 v[4:5], v[4:5], v[22:23]
	s_andn2_b64 exec, exec, s[12:13]
	s_cbranch_execnz .LBB37_91
; %bb.92:                               ;   in Loop: Header=BB37_89 Depth=1
	s_or_b64 exec, exec, s[12:13]
.LBB37_93:                              ;   in Loop: Header=BB37_89 Depth=1
	s_or_b64 exec, exec, s[10:11]
	v_lshlrev_b64 v[6:7], 4, v[14:15]
	s_and_saveexec_b64 s[10:11], s[4:5]
	s_cbranch_execz .LBB37_88
; %bb.94:                               ;   in Loop: Header=BB37_89 Depth=1
	v_mov_b32_e32 v9, s35
	v_add_co_u32_e32 v8, vcc, s34, v6
	v_addc_co_u32_e32 v9, vcc, v9, v7, vcc
	global_load_dwordx4 v[20:23], v[8:9], off
	s_waitcnt vmcnt(0)
	v_fmac_f64_e32 v[2:3], v[10:11], v[20:21]
	v_fmac_f64_e32 v[4:5], v[12:13], v[20:21]
	v_fma_f64 v[2:3], -v[12:13], v[22:23], v[2:3]
	v_fmac_f64_e32 v[4:5], v[10:11], v[22:23]
	s_branch .LBB37_88
.LBB37_95:
	s_or_b64 exec, exec, s[6:7]
	s_mov_b64 s[4:5], 0
.LBB37_96:
	s_andn2_b64 vcc, exec, s[4:5]
	s_cbranch_vccnz .LBB37_121
; %bb.97:
	s_flbit_i32_b32 s4, s33
	s_xor_b32 s4, s4, 31
	v_lshrrev_b32_e32 v6, s4, v0
	v_mov_b32_e32 v1, s29
	v_add_co_u32_e32 v4, vcc, s28, v6
	s_add_i32 s4, s33, -1
	v_addc_co_u32_e32 v5, vcc, 0, v1, vcc
	v_and_b32_e32 v7, s4, v0
	v_pk_mov_b32 v[0:1], 0, 0
	v_cmp_le_i64_e32 vcc, s[30:31], v[4:5]
	v_cmp_gt_i64_e64 s[4:5], s[30:31], v[4:5]
	v_pk_mov_b32 v[2:3], v[0:1], v[0:1] op_sel:[0,1]
	s_and_saveexec_b64 s[6:7], s[4:5]
	s_cbranch_execz .LBB37_103
; %bb.98:
	v_lshlrev_b32_e32 v0, 3, v6
	global_load_dword v1, v0, s[46:47] offset:8
	global_load_dword v8, v0, s[46:47]
	v_pk_mov_b32 v[2:3], 0, 0
	s_waitcnt vmcnt(1)
	v_subrev_u32_e32 v6, s44, v1
	s_waitcnt vmcnt(0)
	v_subrev_u32_e32 v0, s44, v8
	v_add_u32_e32 v8, v7, v0
	v_cmp_lt_i32_e64 s[4:5], v8, v6
	v_pk_mov_b32 v[0:1], v[2:3], v[2:3] op_sel:[0,1]
	s_and_saveexec_b64 s[8:9], s[4:5]
	s_cbranch_execz .LBB37_102
; %bb.99:
	v_pk_mov_b32 v[2:3], 0, 0
	v_lshlrev_b32_e32 v9, 4, v8
	s_lshl_b32 s12, s33, 4
	s_mov_b64 s[10:11], 0
	v_pk_mov_b32 v[0:1], v[2:3], v[2:3] op_sel:[0,1]
.LBB37_100:                             ; =>This Inner Loop Header: Depth=1
	ds_read_b128 v[14:17], v9
	v_add_u32_e32 v8, s33, v8
	v_cmp_ge_i32_e64 s[4:5], v8, v6
	v_add_u32_e32 v9, s12, v9
	s_or_b64 s[10:11], s[4:5], s[10:11]
	s_waitcnt lgkmcnt(0)
	v_add_f64 v[0:1], v[0:1], v[14:15]
	v_add_f64 v[2:3], v[2:3], v[16:17]
	s_andn2_b64 exec, exec, s[10:11]
	s_cbranch_execnz .LBB37_100
; %bb.101:
	s_or_b64 exec, exec, s[10:11]
.LBB37_102:
	s_or_b64 exec, exec, s[8:9]
.LBB37_103:
	s_or_b64 exec, exec, s[6:7]
	s_cmpk_lt_i32 s33, 0x81
	s_barrier
	ds_write_b128 v18, v[0:3]
	s_waitcnt lgkmcnt(0)
	s_barrier
	s_cbranch_scc1 .LBB37_105
; %bb.104:
	ds_read_b128 v[14:17], v18 offset:2048
	s_waitcnt lgkmcnt(0)
	s_barrier
	v_add_f64 v[0:1], v[0:1], v[14:15]
	v_add_f64 v[2:3], v[2:3], v[16:17]
	ds_write_b128 v18, v[0:3]
.LBB37_105:
	s_cmpk_lt_i32 s33, 0x41
	s_waitcnt lgkmcnt(0)
	s_barrier
	s_cbranch_scc1 .LBB37_107
; %bb.106:
	ds_read_b128 v[14:17], v18 offset:1024
	s_waitcnt lgkmcnt(0)
	s_barrier
	v_add_f64 v[0:1], v[0:1], v[14:15]
	v_add_f64 v[2:3], v[2:3], v[16:17]
	ds_write_b128 v18, v[0:3]
.LBB37_107:
	s_cmp_lt_i32 s33, 33
	s_waitcnt lgkmcnt(0)
	s_barrier
	s_cbranch_scc1 .LBB37_109
; %bb.108:
	ds_read_b128 v[14:17], v18 offset:512
	s_waitcnt lgkmcnt(0)
	s_barrier
	v_add_f64 v[0:1], v[0:1], v[14:15]
	v_add_f64 v[2:3], v[2:3], v[16:17]
	ds_write_b128 v18, v[0:3]
.LBB37_109:
	s_cmp_lt_i32 s33, 17
	;; [unrolled: 12-line block ×4, first 2 shown]
	s_waitcnt lgkmcnt(0)
	s_barrier
	s_cbranch_scc1 .LBB37_115
; %bb.114:
	ds_read_b128 v[14:17], v18 offset:64
	s_waitcnt lgkmcnt(0)
	s_barrier
	v_add_f64 v[0:1], v[0:1], v[14:15]
	v_add_f64 v[2:3], v[2:3], v[16:17]
	ds_write_b128 v18, v[0:3]
.LBB37_115:
	s_cmp_eq_u32 s33, 2
	s_waitcnt lgkmcnt(0)
	s_barrier
	s_cbranch_scc1 .LBB37_117
; %bb.116:
	ds_read_b128 v[14:17], v18 offset:32
	s_waitcnt lgkmcnt(0)
	s_barrier
	v_add_f64 v[0:1], v[0:1], v[14:15]
	v_add_f64 v[2:3], v[2:3], v[16:17]
	ds_write_b128 v18, v[0:3]
.LBB37_117:
	s_waitcnt lgkmcnt(0)
	s_barrier
	ds_read_b128 v[14:17], v18 offset:16
	v_cmp_eq_u32_e64 s[4:5], 0, v7
	s_xor_b64 s[6:7], vcc, -1
	s_and_b64 s[4:5], s[4:5], s[6:7]
	s_waitcnt lgkmcnt(0)
	v_add_f64 v[0:1], v[0:1], v[14:15]
	v_add_f64 v[2:3], v[2:3], v[16:17]
	s_barrier
	ds_write_b128 v18, v[0:3]
	s_and_b64 exec, exec, s[4:5]
	s_cbranch_execz .LBB37_121
; %bb.118:
	v_cmp_neq_f64_e32 vcc, 0, v[10:11]
	v_cmp_neq_f64_e64 s[4:5], 0, v[12:13]
	s_or_b64 s[6:7], vcc, s[4:5]
	v_lshlrev_b64 v[4:5], 4, v[4:5]
	s_and_saveexec_b64 s[4:5], s[6:7]
	s_cbranch_execz .LBB37_120
; %bb.119:
	v_mov_b32_e32 v7, s35
	v_add_co_u32_e32 v6, vcc, s34, v4
	v_addc_co_u32_e32 v7, vcc, v7, v5, vcc
	global_load_dwordx4 v[6:9], v[6:7], off
	s_waitcnt vmcnt(0)
	v_fmac_f64_e32 v[0:1], v[10:11], v[6:7]
	v_fmac_f64_e32 v[2:3], v[12:13], v[6:7]
	v_fma_f64 v[0:1], -v[12:13], v[8:9], v[0:1]
	v_fmac_f64_e32 v[2:3], v[10:11], v[8:9]
.LBB37_120:
	s_or_b64 exec, exec, s[4:5]
	v_mov_b32_e32 v6, s35
	v_add_co_u32_e32 v4, vcc, s34, v4
	v_addc_co_u32_e32 v5, vcc, v6, v5, vcc
	global_store_dwordx4 v[4:5], v[0:3], off
.LBB37_121:
	s_endpgm
	.section	.rodata,"a",@progbits
	.p2align	6, 0x0
	.amdhsa_kernel _ZN9rocsparseL22csrmvn_adaptive_kernelIli21rocsparse_complex_numIdES2_S2_S2_EEvbT_PKS3_PjPKT0_NS_24const_host_device_scalarIT4_EES5_S9_PKT1_PKT2_SC_PT3_21rocsparse_index_base_b
		.amdhsa_group_segment_fixed_size 16384
		.amdhsa_private_segment_fixed_size 24
		.amdhsa_kernarg_size 120
		.amdhsa_user_sgpr_count 8
		.amdhsa_user_sgpr_private_segment_buffer 1
		.amdhsa_user_sgpr_dispatch_ptr 0
		.amdhsa_user_sgpr_queue_ptr 0
		.amdhsa_user_sgpr_kernarg_segment_ptr 1
		.amdhsa_user_sgpr_dispatch_id 0
		.amdhsa_user_sgpr_flat_scratch_init 1
		.amdhsa_user_sgpr_kernarg_preload_length 0
		.amdhsa_user_sgpr_kernarg_preload_offset 0
		.amdhsa_user_sgpr_private_segment_size 0
		.amdhsa_uses_dynamic_stack 0
		.amdhsa_system_sgpr_private_segment_wavefront_offset 1
		.amdhsa_system_sgpr_workgroup_id_x 1
		.amdhsa_system_sgpr_workgroup_id_y 0
		.amdhsa_system_sgpr_workgroup_id_z 0
		.amdhsa_system_sgpr_workgroup_info 0
		.amdhsa_system_vgpr_workitem_id 0
		.amdhsa_next_free_vgpr 58
		.amdhsa_next_free_sgpr 67
		.amdhsa_accum_offset 60
		.amdhsa_reserve_vcc 1
		.amdhsa_reserve_flat_scratch 1
		.amdhsa_float_round_mode_32 0
		.amdhsa_float_round_mode_16_64 0
		.amdhsa_float_denorm_mode_32 3
		.amdhsa_float_denorm_mode_16_64 3
		.amdhsa_dx10_clamp 1
		.amdhsa_ieee_mode 1
		.amdhsa_fp16_overflow 0
		.amdhsa_tg_split 0
		.amdhsa_exception_fp_ieee_invalid_op 0
		.amdhsa_exception_fp_denorm_src 0
		.amdhsa_exception_fp_ieee_div_zero 0
		.amdhsa_exception_fp_ieee_overflow 0
		.amdhsa_exception_fp_ieee_underflow 0
		.amdhsa_exception_fp_ieee_inexact 0
		.amdhsa_exception_int_div_zero 0
	.end_amdhsa_kernel
	.section	.text._ZN9rocsparseL22csrmvn_adaptive_kernelIli21rocsparse_complex_numIdES2_S2_S2_EEvbT_PKS3_PjPKT0_NS_24const_host_device_scalarIT4_EES5_S9_PKT1_PKT2_SC_PT3_21rocsparse_index_base_b,"axG",@progbits,_ZN9rocsparseL22csrmvn_adaptive_kernelIli21rocsparse_complex_numIdES2_S2_S2_EEvbT_PKS3_PjPKT0_NS_24const_host_device_scalarIT4_EES5_S9_PKT1_PKT2_SC_PT3_21rocsparse_index_base_b,comdat
.Lfunc_end37:
	.size	_ZN9rocsparseL22csrmvn_adaptive_kernelIli21rocsparse_complex_numIdES2_S2_S2_EEvbT_PKS3_PjPKT0_NS_24const_host_device_scalarIT4_EES5_S9_PKT1_PKT2_SC_PT3_21rocsparse_index_base_b, .Lfunc_end37-_ZN9rocsparseL22csrmvn_adaptive_kernelIli21rocsparse_complex_numIdES2_S2_S2_EEvbT_PKS3_PjPKT0_NS_24const_host_device_scalarIT4_EES5_S9_PKT1_PKT2_SC_PT3_21rocsparse_index_base_b
                                        ; -- End function
	.section	.AMDGPU.csdata,"",@progbits
; Kernel info:
; codeLenInByte = 5300
; NumSgprs: 73
; NumVgprs: 58
; NumAgprs: 0
; TotalNumVgprs: 58
; ScratchSize: 24
; MemoryBound: 0
; FloatMode: 240
; IeeeMode: 1
; LDSByteSize: 16384 bytes/workgroup (compile time only)
; SGPRBlocks: 9
; VGPRBlocks: 7
; NumSGPRsForWavesPerEU: 73
; NumVGPRsForWavesPerEU: 58
; AccumOffset: 60
; Occupancy: 4
; WaveLimiterHint : 1
; COMPUTE_PGM_RSRC2:SCRATCH_EN: 1
; COMPUTE_PGM_RSRC2:USER_SGPR: 8
; COMPUTE_PGM_RSRC2:TRAP_HANDLER: 0
; COMPUTE_PGM_RSRC2:TGID_X_EN: 1
; COMPUTE_PGM_RSRC2:TGID_Y_EN: 0
; COMPUTE_PGM_RSRC2:TGID_Z_EN: 0
; COMPUTE_PGM_RSRC2:TIDIG_COMP_CNT: 0
; COMPUTE_PGM_RSRC3_GFX90A:ACCUM_OFFSET: 14
; COMPUTE_PGM_RSRC3_GFX90A:TG_SPLIT: 0
	.section	.text._ZN9rocsparseL27csrmvn_symm_adaptive_kernelIli21rocsparse_complex_numIdES2_S2_S2_EEvbT_S3_PKS3_NS_24const_host_device_scalarIT4_EES5_PKT0_PKT1_PKT2_S8_PT3_21rocsparse_index_base_b,"axG",@progbits,_ZN9rocsparseL27csrmvn_symm_adaptive_kernelIli21rocsparse_complex_numIdES2_S2_S2_EEvbT_S3_PKS3_NS_24const_host_device_scalarIT4_EES5_PKT0_PKT1_PKT2_S8_PT3_21rocsparse_index_base_b,comdat
	.globl	_ZN9rocsparseL27csrmvn_symm_adaptive_kernelIli21rocsparse_complex_numIdES2_S2_S2_EEvbT_S3_PKS3_NS_24const_host_device_scalarIT4_EES5_PKT0_PKT1_PKT2_S8_PT3_21rocsparse_index_base_b ; -- Begin function _ZN9rocsparseL27csrmvn_symm_adaptive_kernelIli21rocsparse_complex_numIdES2_S2_S2_EEvbT_S3_PKS3_NS_24const_host_device_scalarIT4_EES5_PKT0_PKT1_PKT2_S8_PT3_21rocsparse_index_base_b
	.p2align	8
	.type	_ZN9rocsparseL27csrmvn_symm_adaptive_kernelIli21rocsparse_complex_numIdES2_S2_S2_EEvbT_S3_PKS3_NS_24const_host_device_scalarIT4_EES5_PKT0_PKT1_PKT2_S8_PT3_21rocsparse_index_base_b,@function
_ZN9rocsparseL27csrmvn_symm_adaptive_kernelIli21rocsparse_complex_numIdES2_S2_S2_EEvbT_S3_PKS3_NS_24const_host_device_scalarIT4_EES5_PKT0_PKT1_PKT2_S8_PT3_21rocsparse_index_base_b: ; @_ZN9rocsparseL27csrmvn_symm_adaptive_kernelIli21rocsparse_complex_numIdES2_S2_S2_EEvbT_S3_PKS3_NS_24const_host_device_scalarIT4_EES5_PKT0_PKT1_PKT2_S8_PT3_21rocsparse_index_base_b
; %bb.0:
	s_add_u32 flat_scratch_lo, s6, s9
	s_addc_u32 flat_scratch_hi, s7, 0
	s_load_dwordx2 s[38:39], s[4:5], 0x68
	s_load_dwordx4 s[16:19], s[4:5], 0x20
	s_load_dwordx4 s[12:15], s[4:5], 0x50
	s_add_u32 s0, s0, s9
	s_addc_u32 s1, s1, 0
	s_waitcnt lgkmcnt(0)
	s_bitcmp1_b32 s39, 0
	v_mov_b32_e32 v1, 0
	v_mov_b32_e32 v3, s16
	s_cselect_b64 s[6:7], -1, 0
	v_cndmask_b32_e64 v2, v3, v1, s[6:7]
	v_mov_b32_e32 v1, s17
	s_mov_b64 s[10:11], src_private_base
	s_and_b64 vcc, s[6:7], exec
	buffer_store_dword v1, off, s[0:3], 0 offset:4
	buffer_store_dword v3, off, s[0:3], 0
	v_mov_b32_e32 v1, s13
	s_cselect_b32 s9, s11, s17
	buffer_store_dword v1, off, s[0:3], 0 offset:12
	v_mov_b32_e32 v1, s12
	buffer_store_dword v1, off, s[0:3], 0 offset:8
	v_mov_b32_e32 v3, s9
	flat_load_dwordx2 v[10:11], v[2:3]
	s_xor_b64 s[20:21], s[6:7], -1
	v_pk_mov_b32 v[12:13], s[18:19], s[18:19] op_sel:[0,1]
	s_cbranch_vccnz .LBB38_2
; %bb.1:
	v_pk_mov_b32 v[2:3], s[16:17], s[16:17] op_sel:[0,1]
	flat_load_dwordx2 v[12:13], v[2:3] offset:8
.LBB38_2:
	s_and_b64 s[16:17], s[6:7], exec
	s_cselect_b32 s9, s11, s13
	v_mov_b32_e32 v1, 8
	v_mov_b32_e32 v2, s12
	v_cndmask_b32_e64 v2, v2, v1, s[6:7]
	v_mov_b32_e32 v3, s9
	flat_load_dwordx2 v[2:3], v[2:3]
	s_andn2_b64 vcc, exec, s[20:21]
	v_pk_mov_b32 v[4:5], s[14:15], s[14:15] op_sel:[0,1]
	s_cbranch_vccnz .LBB38_4
; %bb.3:
	v_pk_mov_b32 v[4:5], s[12:13], s[12:13] op_sel:[0,1]
	flat_load_dwordx2 v[4:5], v[4:5] offset:8
.LBB38_4:
	s_waitcnt vmcnt(0) lgkmcnt(0)
	v_cmp_eq_f64_e32 vcc, 0, v[10:11]
	v_cmp_eq_f64_e64 s[6:7], 0, v[12:13]
	s_and_b64 s[12:13], vcc, s[6:7]
	s_mov_b64 s[6:7], -1
	s_and_saveexec_b64 s[10:11], s[12:13]
; %bb.5:
	v_cmp_neq_f64_e32 vcc, 1.0, v[2:3]
	v_cmp_neq_f64_e64 s[6:7], 0, v[4:5]
	s_or_b64 s[6:7], vcc, s[6:7]
	s_orn2_b64 s[6:7], s[6:7], exec
; %bb.6:
	s_or_b64 exec, exec, s[10:11]
	s_and_saveexec_b64 s[10:11], s[6:7]
	s_cbranch_execz .LBB38_196
; %bb.7:
	s_load_dword s6, s[4:5], 0x0
	s_load_dwordx2 s[10:11], s[4:5], 0x18
	s_mov_b32 s33, 0
	s_mov_b32 s12, s33
	;; [unrolled: 1-line block ×3, first 2 shown]
	s_waitcnt lgkmcnt(0)
	s_bitcmp1_b32 s6, 0
	s_cselect_b64 s[6:7], -1, 0
	s_ashr_i32 s9, s8, 31
	s_lshl_b64 s[8:9], s[8:9], 3
	s_mov_b32 s14, s33
	s_mov_b32 s15, s33
	v_pk_mov_b32 v[2:3], s[12:13], s[12:13] op_sel:[0,1]
	s_add_u32 s8, s10, s8
	v_lshlrev_b32_e32 v26, 4, v0
	v_pk_mov_b32 v[4:5], s[14:15], s[14:15] op_sel:[0,1]
	s_addc_u32 s9, s11, s9
	ds_write_b128 v26, v[2:5]
	ds_write_b128 v26, v[2:5] offset:4096
	ds_write_b128 v26, v[2:5] offset:8192
	;; [unrolled: 1-line block ×3, first 2 shown]
	s_waitcnt lgkmcnt(0)
	s_barrier
	s_load_dwordx4 s[28:31], s[8:9], 0x0
	s_load_dwordx2 s[34:35], s[4:5], 0x60
	s_load_dwordx8 s[20:27], s[4:5], 0x30
	s_mov_b64 s[8:9], -1
	s_waitcnt lgkmcnt(0)
	s_sub_u32 s36, s30, s28
	s_subb_u32 s37, s31, s29
	v_cmp_gt_i64_e64 s[10:11], s[36:37], 2
	s_and_b64 vcc, exec, s[10:11]
	s_cbranch_vccnz .LBB38_53
; %bb.8:
	v_pk_mov_b32 v[2:3], s[28:29], s[28:29] op_sel:[0,1]
	v_cmp_gt_i64_e32 vcc, s[30:31], v[2:3]
	v_subrev_co_u32_e64 v1, s[8:9], s38, v0
	v_subb_co_u32_e64 v16, s[8:9], 0, 0, s[8:9]
	s_cbranch_vccnz .LBB38_10
; %bb.9:
	s_lshl_b64 s[8:9], s[28:29], 3
	s_add_u32 s8, s20, s8
	s_addc_u32 s9, s21, s9
	s_load_dwordx2 s[40:41], s[8:9], 0x0
	s_cbranch_execz .LBB38_11
	s_branch .LBB38_40
.LBB38_10:
                                        ; implicit-def: $sgpr40_sgpr41
.LBB38_11:
	s_lshl_b64 s[18:19], s[28:29], 3
	s_add_u32 s18, s20, s18
	s_addc_u32 s19, s21, s19
	s_waitcnt lgkmcnt(0)
	s_load_dwordx2 s[40:41], s[18:19], 0x0
	s_add_u32 s52, s20, 8
	s_addc_u32 s53, s21, 0
	s_movk_i32 s39, 0x100
	s_add_u32 s54, s24, 8
	v_cmp_gt_u32_e64 s[8:9], s39, v0
	v_cmp_gt_u32_e64 s[10:11], 64, v0
	v_cmp_gt_u32_e64 s[12:13], 16, v0
	v_cmp_gt_u32_e64 s[14:15], 4, v0
	v_cmp_eq_u32_e64 s[16:17], 0, v0
	s_addc_u32 s55, s25, 0
	v_mov_b32_e32 v17, s27
	v_mov_b32_e32 v18, 0
	s_waitcnt lgkmcnt(0)
	s_mov_b64 s[44:45], s[40:41]
	s_mov_b64 s[42:43], s[28:29]
	s_branch .LBB38_13
.LBB38_12:                              ;   in Loop: Header=BB38_13 Depth=1
	s_or_b64 exec, exec, s[18:19]
	s_add_u32 s42, s42, 1
	s_addc_u32 s43, s43, 0
	v_pk_mov_b32 v[2:3], s[30:31], s[30:31] op_sel:[0,1]
	v_cmp_ge_i64_e32 vcc, s[42:43], v[2:3]
	s_cbranch_vccnz .LBB38_40
.LBB38_13:                              ; =>This Loop Header: Depth=1
                                        ;     Child Loop BB38_15 Depth 2
                                        ;     Child Loop BB38_29 Depth 2
                                        ;     Child Loop BB38_32 Depth 2
                                        ;     Child Loop BB38_35 Depth 2
                                        ;     Child Loop BB38_38 Depth 2
	s_mov_b64 s[18:19], s[44:45]
	s_lshl_b64 s[44:45], s[42:43], 3
	s_add_u32 s44, s52, s44
	s_addc_u32 s45, s53, s45
	s_load_dwordx2 s[44:45], s[44:45], 0x0
	v_mov_b32_e32 v2, s19
	v_add_co_u32_e32 v6, vcc, s18, v1
	v_addc_co_u32_e32 v7, vcc, v2, v16, vcc
	s_waitcnt lgkmcnt(0)
	s_sub_u32 s46, s44, s38
	s_subb_u32 s47, s45, 0
	v_pk_mov_b32 v[4:5], 0, 0
	v_cmp_gt_i64_e32 vcc, s[46:47], v[6:7]
	v_pk_mov_b32 v[2:3], v[4:5], v[4:5] op_sel:[0,1]
	s_and_saveexec_b64 s[48:49], vcc
	s_cbranch_execz .LBB38_17
; %bb.14:                               ;   in Loop: Header=BB38_13 Depth=1
	v_lshlrev_b64 v[2:3], 2, v[6:7]
	v_mov_b32_e32 v4, s23
	v_add_co_u32_e32 v8, vcc, s22, v2
	v_addc_co_u32_e32 v9, vcc, v4, v3, vcc
	v_lshlrev_b64 v[2:3], 4, v[6:7]
	v_mov_b32_e32 v4, s55
	v_add_co_u32_e32 v14, vcc, s54, v2
	v_addc_co_u32_e32 v15, vcc, v4, v3, vcc
	v_pk_mov_b32 v[4:5], 0, 0
	s_mov_b64 s[50:51], 0
	v_pk_mov_b32 v[2:3], v[4:5], v[4:5] op_sel:[0,1]
.LBB38_15:                              ;   Parent Loop BB38_13 Depth=1
                                        ; =>  This Inner Loop Header: Depth=2
	global_load_dword v19, v[8:9], off
	global_load_dwordx4 v[20:23], v[14:15], off offset:-8
	s_waitcnt vmcnt(1)
	v_subrev_u32_e32 v24, s38, v19
	v_ashrrev_i32_e32 v25, 31, v24
	v_lshlrev_b64 v[24:25], 4, v[24:25]
	v_add_co_u32_e32 v24, vcc, s26, v24
	v_addc_co_u32_e32 v25, vcc, v17, v25, vcc
	global_load_dwordx4 v[28:31], v[24:25], off
	v_add_co_u32_e32 v6, vcc, s39, v6
	v_addc_co_u32_e32 v7, vcc, 0, v7, vcc
	v_add_co_u32_e32 v8, vcc, 0x400, v8
	s_waitcnt vmcnt(1)
	v_xor_b32_e32 v19, 0x80000000, v23
	v_addc_co_u32_e32 v9, vcc, 0, v9, vcc
	v_cndmask_b32_e64 v23, v23, v19, s[6:7]
	v_add_co_u32_e32 v14, vcc, 0x1000, v14
	v_cmp_le_i64_e64 s[18:19], s[46:47], v[6:7]
	v_addc_co_u32_e32 v15, vcc, 0, v15, vcc
	s_or_b64 s[50:51], s[18:19], s[50:51]
	s_waitcnt vmcnt(0)
	v_fmac_f64_e32 v[2:3], v[20:21], v[28:29]
	v_fmac_f64_e32 v[4:5], v[22:23], v[28:29]
	v_fma_f64 v[2:3], -v[22:23], v[30:31], v[2:3]
	v_fmac_f64_e32 v[4:5], v[20:21], v[30:31]
	s_andn2_b64 exec, exec, s[50:51]
	s_cbranch_execnz .LBB38_15
; %bb.16:                               ;   in Loop: Header=BB38_13 Depth=1
	s_or_b64 exec, exec, s[50:51]
.LBB38_17:                              ;   in Loop: Header=BB38_13 Depth=1
	s_or_b64 exec, exec, s[48:49]
	ds_write_b128 v26, v[2:5]
	s_waitcnt lgkmcnt(0)
	s_barrier
	s_and_saveexec_b64 s[18:19], s[8:9]
	s_cbranch_execz .LBB38_19
; %bb.18:                               ;   in Loop: Header=BB38_13 Depth=1
	ds_read_b128 v[2:5], v26 offset:4096
	ds_read_b128 v[6:9], v26 offset:8192
	ds_read_b128 v[20:23], v26 offset:12288
	ds_read_b128 v[28:31], v26
	s_waitcnt lgkmcnt(2)
	v_add_f64 v[2:3], v[6:7], v[2:3]
	v_add_f64 v[4:5], v[8:9], v[4:5]
	s_waitcnt lgkmcnt(1)
	v_add_f64 v[2:3], v[2:3], v[20:21]
	v_add_f64 v[4:5], v[4:5], v[22:23]
	s_waitcnt lgkmcnt(0)
	v_add_f64 v[2:3], v[2:3], v[28:29]
	v_add_f64 v[4:5], v[4:5], v[30:31]
	ds_write_b128 v26, v[2:5]
.LBB38_19:                              ;   in Loop: Header=BB38_13 Depth=1
	s_or_b64 exec, exec, s[18:19]
	s_waitcnt lgkmcnt(0)
	s_barrier
	s_and_saveexec_b64 s[18:19], s[10:11]
	s_cbranch_execz .LBB38_21
; %bb.20:                               ;   in Loop: Header=BB38_13 Depth=1
	ds_read_b128 v[2:5], v26 offset:1024
	ds_read_b128 v[6:9], v26 offset:2048
	ds_read_b128 v[20:23], v26 offset:3072
	ds_read_b128 v[28:31], v26
	s_waitcnt lgkmcnt(2)
	v_add_f64 v[2:3], v[6:7], v[2:3]
	v_add_f64 v[4:5], v[8:9], v[4:5]
	s_waitcnt lgkmcnt(1)
	v_add_f64 v[2:3], v[2:3], v[20:21]
	v_add_f64 v[4:5], v[4:5], v[22:23]
	s_waitcnt lgkmcnt(0)
	v_add_f64 v[2:3], v[2:3], v[28:29]
	v_add_f64 v[4:5], v[4:5], v[30:31]
	ds_write_b128 v26, v[2:5]
.LBB38_21:                              ;   in Loop: Header=BB38_13 Depth=1
	s_or_b64 exec, exec, s[18:19]
	;; [unrolled: 21-line block ×5, first 2 shown]
	s_waitcnt lgkmcnt(0)
	s_barrier
	s_and_saveexec_b64 s[18:19], s[16:17]
	s_cbranch_execz .LBB38_12
; %bb.28:                               ;   in Loop: Header=BB38_13 Depth=1
	ds_read_b128 v[2:5], v18
	v_mov_b32_e32 v14, 0
	s_mov_b64 s[46:47], exec
	v_bfrev_b32_e32 v15, 1
	s_waitcnt lgkmcnt(0)
	v_mul_f64 v[6:7], v[4:5], -v[12:13]
	v_fmac_f64_e32 v[6:7], v[10:11], v[2:3]
.LBB38_29:                              ;   Parent Loop BB38_13 Depth=1
                                        ; =>  This Inner Loop Header: Depth=2
	s_ff1_i32_b64 s50, s[46:47]
	v_readlane_b32 s49, v7, s50
	v_readlane_b32 s48, v6, s50
	s_lshl_b64 s[50:51], 1, s50
	s_andn2_b64 s[46:47], s[46:47], s[50:51]
	s_cmp_lg_u64 s[46:47], 0
	v_add_f64 v[14:15], v[14:15], s[48:49]
	s_cbranch_scc1 .LBB38_29
; %bb.30:                               ;   in Loop: Header=BB38_13 Depth=1
	s_lshl_b64 s[46:47], s[42:43], 4
	v_mbcnt_lo_u32_b32 v6, exec_lo, 0
	s_add_u32 s46, s34, s46
	v_mbcnt_hi_u32_b32 v6, exec_hi, v6
	s_addc_u32 s47, s35, s47
	v_cmp_eq_u32_e32 vcc, 0, v6
	s_and_saveexec_b64 s[48:49], vcc
	s_xor_b64 s[48:49], exec, s[48:49]
	s_cbranch_execz .LBB38_34
; %bb.31:                               ;   in Loop: Header=BB38_13 Depth=1
	global_load_dwordx2 v[8:9], v18, s[46:47]
	s_mov_b64 s[50:51], 0
.LBB38_32:                              ;   Parent Loop BB38_13 Depth=1
                                        ; =>  This Inner Loop Header: Depth=2
	s_waitcnt vmcnt(0)
	v_add_f64 v[6:7], v[8:9], v[14:15]
	global_atomic_cmpswap_x2 v[6:7], v18, v[6:9], s[46:47] glc
	s_waitcnt vmcnt(0)
	v_cmp_eq_u64_e32 vcc, v[6:7], v[8:9]
	s_or_b64 s[50:51], vcc, s[50:51]
	v_pk_mov_b32 v[8:9], v[6:7], v[6:7] op_sel:[0,1]
	s_andn2_b64 exec, exec, s[50:51]
	s_cbranch_execnz .LBB38_32
; %bb.33:                               ;   in Loop: Header=BB38_13 Depth=1
	s_or_b64 exec, exec, s[50:51]
.LBB38_34:                              ;   in Loop: Header=BB38_13 Depth=1
	s_or_b64 exec, exec, s[48:49]
	v_mul_f64 v[4:5], v[10:11], v[4:5]
	v_mov_b32_e32 v6, 0
	s_mov_b64 s[48:49], exec
	v_fmac_f64_e32 v[4:5], v[12:13], v[2:3]
	v_bfrev_b32_e32 v7, 1
.LBB38_35:                              ;   Parent Loop BB38_13 Depth=1
                                        ; =>  This Inner Loop Header: Depth=2
	s_ff1_i32_b64 s56, s[48:49]
	v_readlane_b32 s51, v5, s56
	v_readlane_b32 s50, v4, s56
	s_lshl_b64 s[56:57], 1, s56
	s_andn2_b64 s[48:49], s[48:49], s[56:57]
	s_cmp_lg_u64 s[48:49], 0
	v_add_f64 v[6:7], v[6:7], s[50:51]
	s_cbranch_scc1 .LBB38_35
; %bb.36:                               ;   in Loop: Header=BB38_13 Depth=1
	v_mbcnt_lo_u32_b32 v2, exec_lo, 0
	v_mbcnt_hi_u32_b32 v2, exec_hi, v2
	v_cmp_eq_u32_e32 vcc, 0, v2
	s_and_saveexec_b64 s[48:49], vcc
	s_xor_b64 s[48:49], exec, s[48:49]
	s_cbranch_execz .LBB38_12
; %bb.37:                               ;   in Loop: Header=BB38_13 Depth=1
	global_load_dwordx2 v[4:5], v18, s[46:47] offset:8
	s_mov_b64 s[48:49], 0
.LBB38_38:                              ;   Parent Loop BB38_13 Depth=1
                                        ; =>  This Inner Loop Header: Depth=2
	s_waitcnt vmcnt(0)
	v_add_f64 v[2:3], v[4:5], v[6:7]
	global_atomic_cmpswap_x2 v[2:3], v18, v[2:5], s[46:47] offset:8 glc
	s_waitcnt vmcnt(0)
	v_cmp_eq_u64_e32 vcc, v[2:3], v[4:5]
	s_or_b64 s[48:49], vcc, s[48:49]
	v_pk_mov_b32 v[4:5], v[2:3], v[2:3] op_sel:[0,1]
	s_andn2_b64 exec, exec, s[48:49]
	s_cbranch_execnz .LBB38_38
; %bb.39:                               ;   in Loop: Header=BB38_13 Depth=1
	s_or_b64 exec, exec, s[48:49]
	s_branch .LBB38_12
.LBB38_40:
	s_lshl_b64 s[8:9], s[30:31], 3
	s_add_u32 s8, s20, s8
	s_addc_u32 s9, s21, s9
	s_load_dwordx2 s[8:9], s[8:9], 0x0
	s_waitcnt lgkmcnt(0)
	v_mov_b32_e32 v2, s41
	v_add_co_u32_e32 v14, vcc, s40, v1
	v_addc_co_u32_e32 v15, vcc, v2, v16, vcc
	s_sub_u32 s12, s8, s38
	s_subb_u32 s13, s9, 0
	v_cmp_gt_i64_e32 vcc, s[12:13], v[14:15]
	s_and_saveexec_b64 s[14:15], vcc
	s_cbranch_execz .LBB38_52
; %bb.41:
	s_add_u32 s16, s30, -1
	s_addc_u32 s17, s31, -1
	s_add_u32 s8, s30, -2
	s_addc_u32 s9, s31, -1
	v_pk_mov_b32 v[2:3], s[28:29], s[28:29] op_sel:[0,1]
	s_cmp_lg_u64 s[8:9], s[28:29]
	v_cmp_gt_i64_e32 vcc, s[16:17], v[2:3]
	s_cselect_b64 s[8:9], -1, 0
	s_and_b64 s[8:9], vcc, s[8:9]
	v_cndmask_b32_e64 v1, 0, 1, s[8:9]
	s_mov_b64 s[18:19], 0
	v_cmp_ne_u32_e64 s[8:9], 1, v1
	v_mov_b32_e32 v1, s21
	v_mov_b32_e32 v24, s33
	;; [unrolled: 1-line block ×3, first 2 shown]
	s_branch .LBB38_43
.LBB38_42:                              ;   in Loop: Header=BB38_43 Depth=1
	s_or_b64 exec, exec, s[10:11]
	v_add_co_u32_e32 v14, vcc, 0x100, v14
	v_addc_co_u32_e32 v15, vcc, 0, v15, vcc
	v_cmp_le_i64_e32 vcc, s[12:13], v[14:15]
	s_or_b64 s[18:19], vcc, s[18:19]
	s_andn2_b64 exec, exec, s[18:19]
	s_cbranch_execz .LBB38_52
.LBB38_43:                              ; =>This Loop Header: Depth=1
                                        ;     Child Loop BB38_45 Depth 2
                                        ;     Child Loop BB38_49 Depth 2
	;; [unrolled: 1-line block ×3, first 2 shown]
	s_and_b64 vcc, exec, s[8:9]
	v_pk_mov_b32 v[2:3], s[28:29], s[28:29] op_sel:[0,1]
	v_pk_mov_b32 v[4:5], s[16:17], s[16:17] op_sel:[0,1]
	s_cbranch_vccnz .LBB38_47
; %bb.44:                               ;   in Loop: Header=BB38_43 Depth=1
	s_mov_b64 s[40:41], 0
	v_pk_mov_b32 v[2:3], s[28:29], s[28:29] op_sel:[0,1]
	v_pk_mov_b32 v[4:5], s[16:17], s[16:17] op_sel:[0,1]
.LBB38_45:                              ;   Parent Loop BB38_43 Depth=1
                                        ; =>  This Inner Loop Header: Depth=2
	v_add_co_u32_e32 v6, vcc, v4, v2
	v_addc_co_u32_e32 v7, vcc, v5, v3, vcc
	v_lshrrev_b32_e32 v8, 31, v7
	v_add_co_u32_e32 v6, vcc, v6, v8
	v_addc_co_u32_e32 v7, vcc, 0, v7, vcc
	v_ashrrev_i64 v[6:7], 1, v[6:7]
	v_lshlrev_b64 v[8:9], 3, v[6:7]
	v_mov_b32_e32 v16, s21
	v_add_co_u32_e32 v8, vcc, s20, v8
	v_addc_co_u32_e32 v9, vcc, v16, v9, vcc
	global_load_dwordx2 v[8:9], v[8:9], off
	v_mov_b32_e32 v16, s33
	s_waitcnt vmcnt(0)
	v_subrev_co_u32_e32 v8, vcc, s38, v8
	v_subb_co_u32_e32 v9, vcc, v9, v16, vcc
	v_cmp_gt_i64_e32 vcc, v[8:9], v[14:15]
	v_cndmask_b32_e32 v4, v4, v6, vcc
	v_cndmask_b32_e32 v5, v5, v7, vcc
	;; [unrolled: 1-line block ×3, first 2 shown]
	v_add_co_u32_e64 v6, s[10:11], -1, v4
	v_cndmask_b32_e32 v3, v7, v3, vcc
	v_addc_co_u32_e64 v7, s[10:11], -1, v5, s[10:11]
	v_cmp_ge_i64_e32 vcc, v[2:3], v[4:5]
	v_cmp_eq_u64_e64 s[10:11], v[2:3], v[6:7]
	s_or_b64 s[10:11], vcc, s[10:11]
	s_and_b64 s[10:11], exec, s[10:11]
	s_or_b64 s[40:41], s[10:11], s[40:41]
	s_andn2_b64 exec, exec, s[40:41]
	s_cbranch_execnz .LBB38_45
; %bb.46:                               ;   in Loop: Header=BB38_43 Depth=1
	s_or_b64 exec, exec, s[40:41]
.LBB38_47:                              ;   in Loop: Header=BB38_43 Depth=1
	v_lshlrev_b64 v[6:7], 3, v[4:5]
	v_add_co_u32_e32 v6, vcc, s20, v6
	v_addc_co_u32_e32 v7, vcc, v1, v7, vcc
	v_lshlrev_b64 v[8:9], 2, v[14:15]
	global_load_dwordx2 v[6:7], v[6:7], off
	v_add_co_u32_e32 v8, vcc, s22, v8
	v_addc_co_u32_e32 v9, vcc, v25, v9, vcc
	global_load_dword v16, v[8:9], off
	s_waitcnt vmcnt(1)
	v_subrev_co_u32_e32 v8, vcc, s38, v6
	v_subb_co_u32_e32 v9, vcc, v7, v24, vcc
	v_cmp_gt_i64_e32 vcc, v[8:9], v[14:15]
	s_waitcnt vmcnt(0)
	v_subrev_u32_e32 v6, s38, v16
	v_cndmask_b32_e32 v3, v5, v3, vcc
	v_cndmask_b32_e32 v2, v4, v2, vcc
	v_ashrrev_i32_e32 v7, 31, v6
	v_cmp_ne_u64_e32 vcc, v[2:3], v[6:7]
	s_and_saveexec_b64 s[10:11], vcc
	s_cbranch_execz .LBB38_42
; %bb.48:                               ;   in Loop: Header=BB38_43 Depth=1
	v_lshlrev_b64 v[4:5], 4, v[14:15]
	v_mov_b32_e32 v9, s25
	v_add_co_u32_e32 v4, vcc, s24, v4
	v_addc_co_u32_e32 v5, vcc, v9, v5, vcc
	global_load_dwordx4 v[28:31], v[4:5], off
	v_lshlrev_b64 v[2:3], 4, v[2:3]
	v_mov_b32_e32 v4, s27
	v_add_co_u32_e32 v2, vcc, s26, v2
	v_lshlrev_b64 v[6:7], 4, v[6:7]
	v_addc_co_u32_e32 v3, vcc, v4, v3, vcc
	v_mov_b32_e32 v8, s35
	global_load_dwordx4 v[2:5], v[2:3], off
	v_add_co_u32_e32 v16, vcc, s34, v6
	v_addc_co_u32_e32 v17, vcc, v8, v7, vcc
	global_load_dwordx2 v[8:9], v[16:17], off
	s_mov_b64 s[40:41], 0
	s_waitcnt vmcnt(2)
	v_xor_b32_e32 v6, 0x80000000, v31
	v_cndmask_b32_e64 v31, v31, v6, s[6:7]
	v_mul_f64 v[20:21], v[10:11], v[30:31]
	v_mul_f64 v[18:19], v[30:31], -v[12:13]
	v_fmac_f64_e32 v[20:21], v[12:13], v[28:29]
	v_fmac_f64_e32 v[18:19], v[10:11], v[28:29]
	s_waitcnt vmcnt(1)
	v_mul_f64 v[22:23], v[4:5], -v[20:21]
	v_fmac_f64_e32 v[22:23], v[18:19], v[2:3]
.LBB38_49:                              ;   Parent Loop BB38_43 Depth=1
                                        ; =>  This Inner Loop Header: Depth=2
	s_waitcnt vmcnt(0)
	v_add_f64 v[6:7], v[8:9], v[22:23]
	global_atomic_cmpswap_x2 v[6:7], v[16:17], v[6:9], off glc
	s_waitcnt vmcnt(0)
	v_cmp_eq_u64_e32 vcc, v[6:7], v[8:9]
	s_or_b64 s[40:41], vcc, s[40:41]
	v_pk_mov_b32 v[8:9], v[6:7], v[6:7] op_sel:[0,1]
	s_andn2_b64 exec, exec, s[40:41]
	s_cbranch_execnz .LBB38_49
; %bb.50:                               ;   in Loop: Header=BB38_43 Depth=1
	s_or_b64 exec, exec, s[40:41]
	global_load_dwordx2 v[6:7], v[16:17], off offset:8
	v_mul_f64 v[8:9], v[4:5], v[18:19]
	v_fmac_f64_e32 v[8:9], v[20:21], v[2:3]
	s_mov_b64 s[40:41], 0
.LBB38_51:                              ;   Parent Loop BB38_43 Depth=1
                                        ; =>  This Inner Loop Header: Depth=2
	s_waitcnt vmcnt(0)
	v_add_f64 v[4:5], v[6:7], v[8:9]
	global_atomic_cmpswap_x2 v[2:3], v[16:17], v[4:7], off offset:8 glc
	s_waitcnt vmcnt(0)
	v_cmp_eq_u64_e32 vcc, v[2:3], v[6:7]
	s_or_b64 s[40:41], vcc, s[40:41]
	v_pk_mov_b32 v[6:7], v[2:3], v[2:3] op_sel:[0,1]
	s_andn2_b64 exec, exec, s[40:41]
	s_cbranch_execnz .LBB38_51
	s_branch .LBB38_42
.LBB38_52:
	s_or_b64 exec, exec, s[14:15]
	s_mov_b64 s[8:9], 0
.LBB38_53:
	s_and_b64 vcc, exec, s[8:9]
	s_cbranch_vccz .LBB38_196
; %bb.54:
	s_load_dword s8, s[4:5], 0x7c
	s_mov_b32 s33, 0
	v_pk_mov_b32 v[2:3], s[36:37], s[36:37] op_sel:[0,1]
	s_mov_b32 s17, s33
	s_mov_b64 s[18:19], 0
	s_waitcnt lgkmcnt(0)
	s_and_b32 s16, s8, 0xffff
	v_cmp_lt_u64_e32 vcc, s[16:17], v[2:3]
	s_cbranch_vccnz .LBB38_56
; %bb.55:
	v_cvt_f32_u32_e32 v1, s36
	s_sub_i32 s8, 0, s36
	v_rcp_iflag_f32_e32 v1, v1
	v_mul_f32_e32 v1, 0x4f7ffffe, v1
	v_cvt_u32_f32_e32 v1, v1
	v_readfirstlane_b32 s9, v1
	s_mul_i32 s8, s8, s9
	s_mul_hi_u32 s8, s9, s8
	s_add_i32 s9, s9, s8
	s_mul_hi_u32 s8, s16, s9
	s_mul_i32 s10, s8, s36
	s_sub_i32 s10, s16, s10
	s_add_i32 s9, s8, 1
	s_sub_i32 s11, s10, s36
	s_cmp_ge_u32 s10, s36
	s_cselect_b32 s8, s9, s8
	s_cselect_b32 s10, s11, s10
	s_add_i32 s9, s8, 1
	s_cmp_ge_u32 s10, s36
	s_cselect_b32 s18, s9, s8
.LBB38_56:
	s_load_dwordx4 s[8:11], s[4:5], 0x8
	s_lshl_b64 s[4:5], s[28:29], 3
	s_add_u32 s14, s20, s4
	s_addc_u32 s15, s21, s5
	s_load_dwordx2 s[12:13], s[14:15], 0x0
	v_subrev_co_u32_e32 v2, vcc, s38, v0
	v_subb_co_u32_e64 v3, s[4:5], 0, 0, vcc
	s_waitcnt lgkmcnt(0)
	v_mov_b32_e32 v4, s13
	v_add_co_u32_e32 v14, vcc, s12, v2
	v_addc_co_u32_e32 v15, vcc, v4, v3, vcc
	v_add_co_u32_e32 v16, vcc, 0x300, v14
	v_addc_co_u32_e32 v17, vcc, 0, v15, vcc
	v_mov_b32_e32 v1, 0
	v_cmp_le_i64_e64 s[4:5], s[8:9], v[16:17]
	s_and_saveexec_b64 s[8:9], s[4:5]
	s_xor_b64 s[8:9], exec, s[8:9]
	s_cbranch_execnz .LBB38_59
; %bb.57:
	s_andn2_saveexec_b64 s[8:9], s[8:9]
	s_cbranch_execnz .LBB38_63
.LBB38_58:
	s_or_b64 exec, exec, s[8:9]
	v_cmp_gt_i64_e32 vcc, s[10:11], v[0:1]
	s_and_saveexec_b64 s[6:7], vcc
	s_cbranch_execnz .LBB38_64
	s_branch .LBB38_66
.LBB38_59:
	s_lshl_b64 s[40:41], s[30:31], 3
	s_add_u32 s40, s20, s40
	s_addc_u32 s41, s21, s41
	s_load_dwordx2 s[40:41], s[40:41], 0x0
	s_waitcnt lgkmcnt(0)
	s_sub_u32 s40, s40, s12
	s_subb_u32 s41, s41, s13
	v_cmp_gt_i64_e32 vcc, s[40:41], v[0:1]
	s_and_saveexec_b64 s[42:43], vcc
	s_cbranch_execz .LBB38_62
; %bb.60:
	v_lshlrev_b64 v[2:3], 4, v[14:15]
	v_mov_b32_e32 v4, s25
	v_add_co_u32_e32 v2, vcc, s24, v2
	v_addc_co_u32_e32 v3, vcc, v3, v4, vcc
	v_add_co_u32_e32 v2, vcc, 8, v2
	v_addc_co_u32_e32 v3, vcc, 0, v3, vcc
	s_mov_b64 s[44:45], 0
	v_mov_b32_e32 v6, v26
	v_pk_mov_b32 v[4:5], v[0:1], v[0:1] op_sel:[0,1]
.LBB38_61:                              ; =>This Inner Loop Header: Depth=1
	global_load_dwordx4 v[18:21], v[2:3], off offset:-8
	v_add_co_u32_e32 v2, vcc, 0x1000, v2
	v_addc_co_u32_e32 v3, vcc, 0, v3, vcc
	v_add_co_u32_e32 v4, vcc, 0x100, v4
	v_addc_co_u32_e32 v5, vcc, 0, v5, vcc
	v_cmp_le_i64_e32 vcc, s[40:41], v[4:5]
	s_or_b64 s[44:45], vcc, s[44:45]
	s_waitcnt vmcnt(0)
	v_xor_b32_e32 v7, 0x80000000, v21
	v_cndmask_b32_e64 v21, v21, v7, s[6:7]
	v_mul_f64 v[22:23], v[20:21], -v[12:13]
	v_mul_f64 v[24:25], v[10:11], v[20:21]
	v_fmac_f64_e32 v[22:23], v[10:11], v[18:19]
	v_fmac_f64_e32 v[24:25], v[12:13], v[18:19]
	ds_write_b128 v6, v[22:25]
	v_add_u32_e32 v6, 0x1000, v6
	s_andn2_b64 exec, exec, s[44:45]
	s_cbranch_execnz .LBB38_61
.LBB38_62:
	s_or_b64 exec, exec, s[42:43]
                                        ; implicit-def: $vgpr12_vgpr13
                                        ; implicit-def: $vgpr10_vgpr11
	s_andn2_saveexec_b64 s[8:9], s[8:9]
	s_cbranch_execz .LBB38_58
.LBB38_63:
	v_lshlrev_b64 v[2:3], 4, v[14:15]
	v_mov_b32_e32 v4, s25
	v_add_co_u32_e32 v22, vcc, s24, v2
	v_addc_co_u32_e32 v23, vcc, v4, v3, vcc
	s_movk_i32 s19, 0x2000
	v_add_co_u32_e32 v24, vcc, s19, v22
	v_addc_co_u32_e32 v25, vcc, 0, v23, vcc
	s_movk_i32 s19, 0x3000
	global_load_dwordx4 v[2:5], v[22:23], off
	v_add_co_u32_e32 v22, vcc, s19, v22
	v_addc_co_u32_e32 v23, vcc, 0, v23, vcc
	global_load_dwordx4 v[6:9], v[24:25], off offset:-4096
	global_load_dwordx4 v[18:21], v[24:25], off
	s_waitcnt vmcnt(2)
	v_xor_b32_e32 v27, 0x80000000, v5
	global_load_dwordx4 v[22:25], v[22:23], off
	v_cndmask_b32_e64 v5, v5, v27, s[6:7]
	v_mul_f64 v[28:29], v[4:5], -v[12:13]
	s_waitcnt vmcnt(2)
	v_xor_b32_e32 v27, 0x80000000, v9
	s_waitcnt vmcnt(1)
	v_xor_b32_e32 v32, 0x80000000, v21
	v_mul_f64 v[30:31], v[10:11], v[4:5]
	v_cndmask_b32_e64 v9, v9, v27, s[6:7]
	v_cndmask_b32_e64 v21, v21, v32, s[6:7]
	v_fmac_f64_e32 v[28:29], v[10:11], v[2:3]
	v_fmac_f64_e32 v[30:31], v[12:13], v[2:3]
	v_mul_f64 v[2:3], v[8:9], -v[12:13]
	v_mul_f64 v[4:5], v[10:11], v[8:9]
	v_mul_f64 v[34:35], v[10:11], v[20:21]
	v_fmac_f64_e32 v[2:3], v[10:11], v[6:7]
	v_fmac_f64_e32 v[4:5], v[12:13], v[6:7]
	ds_write_b128 v26, v[28:31]
	v_fmac_f64_e32 v[34:35], v[12:13], v[18:19]
	s_waitcnt vmcnt(0)
	v_xor_b32_e32 v33, 0x80000000, v25
	v_cndmask_b32_e64 v25, v25, v33, s[6:7]
	v_mul_f64 v[32:33], v[20:21], -v[12:13]
	v_mul_f64 v[36:37], v[24:25], -v[12:13]
	v_mul_f64 v[38:39], v[10:11], v[24:25]
	v_fmac_f64_e32 v[32:33], v[10:11], v[18:19]
	v_fmac_f64_e32 v[36:37], v[10:11], v[22:23]
	v_fmac_f64_e32 v[38:39], v[12:13], v[22:23]
	ds_write_b128 v26, v[2:5] offset:4096
	ds_write_b128 v26, v[32:35] offset:8192
	;; [unrolled: 1-line block ×3, first 2 shown]
	s_or_b64 exec, exec, s[8:9]
	v_cmp_gt_i64_e32 vcc, s[10:11], v[0:1]
	s_and_saveexec_b64 s[6:7], vcc
	s_cbranch_execz .LBB38_66
.LBB38_64:
	s_mov_b32 s24, 0
	v_mov_b32_e32 v2, 0x4000
	s_mov_b32 s25, s24
	s_mov_b32 s40, s24
	;; [unrolled: 1-line block ×3, first 2 shown]
	v_lshl_add_u32 v8, v0, 4, v2
	s_mov_b64 s[8:9], 0
	v_pk_mov_b32 v[2:3], s[24:25], s[24:25] op_sel:[0,1]
	v_pk_mov_b32 v[4:5], s[40:41], s[40:41] op_sel:[0,1]
	;; [unrolled: 1-line block ×3, first 2 shown]
.LBB38_65:                              ; =>This Inner Loop Header: Depth=1
	v_add_co_u32_e32 v6, vcc, 0x100, v6
	v_addc_co_u32_e32 v7, vcc, 0, v7, vcc
	v_cmp_le_i64_e32 vcc, s[10:11], v[6:7]
	ds_write2_b64 v8, v[2:3], v[4:5] offset1:1
	s_or_b64 s[8:9], vcc, s[8:9]
	v_add_u32_e32 v8, 0x1000, v8
	s_andn2_b64 exec, exec, s[8:9]
	s_cbranch_execnz .LBB38_65
.LBB38_66:
	s_or_b64 exec, exec, s[6:7]
	s_sub_u32 s8, s30, s10
	v_pk_mov_b32 v[2:3], s[10:11], s[10:11] op_sel:[0,1]
	s_subb_u32 s9, s31, s11
	v_cmp_ge_i64_e32 vcc, s[30:31], v[2:3]
	s_and_b64 s[6:7], vcc, exec
	s_cselect_b32 s9, s9, 0
	s_cselect_b32 s8, s8, 0
	s_waitcnt lgkmcnt(0)
	s_barrier
	s_and_saveexec_b64 s[6:7], s[4:5]
	s_xor_b64 s[24:25], exec, s[6:7]
	s_cbranch_execz .LBB38_87
; %bb.67:
	s_lshl_b64 s[4:5], s[30:31], 3
	s_add_u32 s4, s20, s4
	s_addc_u32 s5, s21, s5
	s_load_dwordx2 s[4:5], s[4:5], 0x0
	s_waitcnt lgkmcnt(0)
	s_sub_u32 s40, s4, s12
	s_subb_u32 s41, s5, s13
	v_cmp_gt_i64_e32 vcc, s[40:41], v[0:1]
	s_and_saveexec_b64 s[42:43], vcc
	s_cbranch_execz .LBB38_86
; %bb.68:
	s_add_u32 s44, s30, -1
	s_addc_u32 s45, s31, -1
	s_add_u32 s6, s30, -2
	s_addc_u32 s7, s31, -1
	v_pk_mov_b32 v[2:3], s[28:29], s[28:29] op_sel:[0,1]
	s_cmp_lg_u64 s[6:7], s[28:29]
	v_cmp_gt_i64_e32 vcc, s[44:45], v[2:3]
	s_cselect_b64 s[6:7], -1, 0
	s_and_b64 s[6:7], vcc, s[6:7]
	s_sub_u32 s46, s4, s38
	v_cndmask_b32_e64 v2, 0, 1, s[6:7]
	s_subb_u32 s47, s5, 0
	s_mov_b64 s[48:49], 0
	v_cmp_ne_u32_e64 s[4:5], 1, v2
	v_mov_b32_e32 v24, s21
	v_mov_b32_e32 v25, s33
	;; [unrolled: 1-line block ×4, first 2 shown]
	s_mov_b64 s[50:51], 0
	s_branch .LBB38_71
.LBB38_69:                              ;   in Loop: Header=BB38_71 Depth=1
	s_or_b64 exec, exec, s[6:7]
.LBB38_70:                              ;   in Loop: Header=BB38_71 Depth=1
	s_or_b64 exec, exec, s[52:53]
	v_lshlrev_b64 v[6:7], 4, v[16:17]
	v_mov_b32_e32 v8, s27
	v_add_co_u32_e32 v6, vcc, s26, v6
	v_addc_co_u32_e32 v7, vcc, v8, v7, vcc
	global_load_dwordx4 v[6:9], v[6:7], off
	s_add_u32 s50, s50, 0x100
	s_addc_u32 s51, s51, 0
	v_mov_b32_e32 v11, s51
	v_add_co_u32_e32 v10, vcc, s50, v0
	v_addc_co_u32_e32 v11, vcc, 0, v11, vcc
	v_cmp_le_i64_e32 vcc, s[40:41], v[10:11]
	v_lshlrev_b32_e32 v16, 4, v29
	s_or_b64 s[48:49], vcc, s[48:49]
	s_waitcnt vmcnt(0)
	v_mul_f64 v[10:11], v[8:9], v[18:19]
	v_mul_f64 v[12:13], v[8:9], v[2:3]
	v_fmac_f64_e32 v[10:11], v[2:3], v[6:7]
	v_fmac_f64_e32 v[12:13], v[4:5], v[6:7]
	ds_write_b128 v16, v[10:13]
	s_andn2_b64 exec, exec, s[48:49]
	s_cbranch_execz .LBB38_86
.LBB38_71:                              ; =>This Loop Header: Depth=1
                                        ;     Child Loop BB38_73 Depth 2
                                        ;     Child Loop BB38_80 Depth 2
	;; [unrolled: 1-line block ×3, first 2 shown]
	v_mov_b32_e32 v3, s51
	v_add_co_u32_e32 v2, vcc, s50, v14
	v_addc_co_u32_e32 v3, vcc, v3, v15, vcc
	s_and_b64 vcc, exec, s[4:5]
	v_pk_mov_b32 v[4:5], s[28:29], s[28:29] op_sel:[0,1]
	v_pk_mov_b32 v[6:7], s[44:45], s[44:45] op_sel:[0,1]
	s_cbranch_vccnz .LBB38_75
; %bb.72:                               ;   in Loop: Header=BB38_71 Depth=1
	s_mov_b64 s[52:53], 0
	v_pk_mov_b32 v[4:5], s[28:29], s[28:29] op_sel:[0,1]
	v_pk_mov_b32 v[6:7], s[44:45], s[44:45] op_sel:[0,1]
.LBB38_73:                              ;   Parent Loop BB38_71 Depth=1
                                        ; =>  This Inner Loop Header: Depth=2
	v_add_co_u32_e32 v8, vcc, v6, v4
	v_addc_co_u32_e32 v9, vcc, v7, v5, vcc
	v_lshrrev_b32_e32 v10, 31, v9
	v_add_co_u32_e32 v8, vcc, v8, v10
	v_addc_co_u32_e32 v9, vcc, 0, v9, vcc
	v_ashrrev_i64 v[8:9], 1, v[8:9]
	v_lshlrev_b64 v[10:11], 3, v[8:9]
	v_mov_b32_e32 v12, s21
	v_add_co_u32_e32 v10, vcc, s20, v10
	v_addc_co_u32_e32 v11, vcc, v12, v11, vcc
	global_load_dwordx2 v[10:11], v[10:11], off
	v_mov_b32_e32 v12, s33
	s_waitcnt vmcnt(0)
	v_subrev_co_u32_e32 v10, vcc, s38, v10
	v_subb_co_u32_e32 v11, vcc, v11, v12, vcc
	v_cmp_gt_i64_e32 vcc, v[10:11], v[2:3]
	v_cndmask_b32_e32 v6, v6, v8, vcc
	v_cndmask_b32_e32 v7, v7, v9, vcc
	;; [unrolled: 1-line block ×3, first 2 shown]
	v_add_co_u32_e64 v8, s[6:7], -1, v6
	v_cndmask_b32_e32 v5, v9, v5, vcc
	v_addc_co_u32_e64 v9, s[6:7], -1, v7, s[6:7]
	v_cmp_ge_i64_e32 vcc, v[4:5], v[6:7]
	v_cmp_eq_u64_e64 s[6:7], v[4:5], v[8:9]
	s_or_b64 s[6:7], vcc, s[6:7]
	s_and_b64 s[6:7], exec, s[6:7]
	s_or_b64 s[52:53], s[6:7], s[52:53]
	s_andn2_b64 exec, exec, s[52:53]
	s_cbranch_execnz .LBB38_73
; %bb.74:                               ;   in Loop: Header=BB38_71 Depth=1
	s_or_b64 exec, exec, s[52:53]
.LBB38_75:                              ;   in Loop: Header=BB38_71 Depth=1
	v_lshlrev_b64 v[8:9], 3, v[6:7]
	v_add_co_u32_e32 v8, vcc, s20, v8
	v_addc_co_u32_e32 v9, vcc, v24, v9, vcc
	v_lshlrev_b64 v[10:11], 2, v[2:3]
	global_load_dwordx2 v[8:9], v[8:9], off
	v_add_co_u32_e32 v10, vcc, s22, v10
	v_addc_co_u32_e32 v11, vcc, v27, v11, vcc
	global_load_dword v10, v[10:11], off
	v_add_co_u32_e32 v29, vcc, s50, v0
	v_cmp_le_i64_e32 vcc, s[46:47], v[2:3]
                                        ; implicit-def: $vgpr18_vgpr19
	s_waitcnt vmcnt(1)
	v_subrev_co_u32_e64 v8, s[6:7], s38, v8
	v_subb_co_u32_e64 v9, s[6:7], v9, v25, s[6:7]
	v_cmp_gt_i64_e64 s[6:7], v[8:9], v[2:3]
	s_waitcnt vmcnt(0)
	v_subrev_u32_e32 v16, s38, v10
	v_cndmask_b32_e64 v7, v7, v5, s[6:7]
	v_ashrrev_i32_e32 v17, 31, v16
	v_cndmask_b32_e64 v6, v6, v4, s[6:7]
	v_cmp_eq_u64_e64 s[6:7], v[6:7], v[16:17]
	s_or_b64 s[6:7], s[6:7], vcc
	v_lshlrev_b32_e32 v10, 4, v29
                                        ; implicit-def: $vgpr2_vgpr3
	s_and_saveexec_b64 s[52:53], s[6:7]
	s_xor_b64 s[6:7], exec, s[52:53]
	s_cbranch_execz .LBB38_77
; %bb.76:                               ;   in Loop: Header=BB38_71 Depth=1
	ds_read_b128 v[2:5], v10
                                        ; implicit-def: $vgpr10
                                        ; implicit-def: $vgpr6_vgpr7
	s_waitcnt lgkmcnt(0)
	v_xor_b32_e32 v19, 0x80000000, v5
	v_mov_b32_e32 v18, v4
.LBB38_77:                              ;   in Loop: Header=BB38_71 Depth=1
	s_andn2_saveexec_b64 s[52:53], s[6:7]
	s_cbranch_execz .LBB38_70
; %bb.78:                               ;   in Loop: Header=BB38_71 Depth=1
	v_cmp_gt_i64_e32 vcc, s[8:9], v[16:17]
	v_cmp_le_i64_e64 s[6:7], s[30:31], v[16:17]
	s_or_b64 s[6:7], vcc, s[6:7]
	v_lshlrev_b64 v[6:7], 4, v[6:7]
                                        ; implicit-def: $vgpr2_vgpr3
                                        ; implicit-def: $vgpr18_vgpr19
	s_and_saveexec_b64 s[54:55], s[6:7]
	s_xor_b64 s[6:7], exec, s[54:55]
	s_cbranch_execz .LBB38_84
; %bb.79:                               ;   in Loop: Header=BB38_71 Depth=1
	v_mov_b32_e32 v5, s27
	v_add_co_u32_e32 v4, vcc, s26, v6
	v_lshlrev_b64 v[2:3], 4, v[16:17]
	v_addc_co_u32_e32 v5, vcc, v5, v7, vcc
	v_mov_b32_e32 v11, s35
	global_load_dwordx4 v[6:9], v[4:5], off
	v_add_co_u32_e32 v20, vcc, s34, v2
	v_addc_co_u32_e32 v21, vcc, v11, v3, vcc
	global_load_dwordx2 v[12:13], v[20:21], off
	ds_read_b128 v[2:5], v10
	s_mov_b64 s[54:55], 0
	s_waitcnt lgkmcnt(0)
	v_xor_b32_e32 v19, 0x80000000, v5
	v_mov_b32_e32 v18, v4
	s_waitcnt vmcnt(1)
	v_mul_f64 v[22:23], v[8:9], -v[4:5]
	v_fmac_f64_e32 v[22:23], v[2:3], v[6:7]
.LBB38_80:                              ;   Parent Loop BB38_71 Depth=1
                                        ; =>  This Inner Loop Header: Depth=2
	s_waitcnt vmcnt(0)
	v_add_f64 v[10:11], v[12:13], v[22:23]
	global_atomic_cmpswap_x2 v[10:11], v[20:21], v[10:13], off glc
	s_waitcnt vmcnt(0)
	v_cmp_eq_u64_e32 vcc, v[10:11], v[12:13]
	s_or_b64 s[54:55], vcc, s[54:55]
	v_pk_mov_b32 v[12:13], v[10:11], v[10:11] op_sel:[0,1]
	s_andn2_b64 exec, exec, s[54:55]
	s_cbranch_execnz .LBB38_80
; %bb.81:                               ;   in Loop: Header=BB38_71 Depth=1
	s_or_b64 exec, exec, s[54:55]
	global_load_dwordx2 v[10:11], v[20:21], off offset:8
	v_mul_f64 v[12:13], v[8:9], v[2:3]
	v_fmac_f64_e32 v[12:13], v[4:5], v[6:7]
	s_mov_b64 s[54:55], 0
.LBB38_82:                              ;   Parent Loop BB38_71 Depth=1
                                        ; =>  This Inner Loop Header: Depth=2
	s_waitcnt vmcnt(0)
	v_add_f64 v[8:9], v[10:11], v[12:13]
	global_atomic_cmpswap_x2 v[6:7], v[20:21], v[8:11], off offset:8 glc
	s_waitcnt vmcnt(0)
	v_cmp_eq_u64_e32 vcc, v[6:7], v[10:11]
	s_or_b64 s[54:55], vcc, s[54:55]
	v_pk_mov_b32 v[10:11], v[6:7], v[6:7] op_sel:[0,1]
	s_andn2_b64 exec, exec, s[54:55]
	s_cbranch_execnz .LBB38_82
; %bb.83:                               ;   in Loop: Header=BB38_71 Depth=1
	s_or_b64 exec, exec, s[54:55]
                                        ; implicit-def: $vgpr6_vgpr7
                                        ; implicit-def: $vgpr10
.LBB38_84:                              ;   in Loop: Header=BB38_71 Depth=1
	s_andn2_saveexec_b64 s[6:7], s[6:7]
	s_cbranch_execz .LBB38_69
; %bb.85:                               ;   in Loop: Header=BB38_71 Depth=1
	v_mov_b32_e32 v3, s27
	v_add_co_u32_e32 v2, vcc, s26, v6
	v_addc_co_u32_e32 v3, vcc, v3, v7, vcc
	global_load_dwordx4 v[6:9], v[2:3], off
	ds_read_b128 v[2:5], v10
	v_subrev_u32_e32 v10, s8, v16
	v_lshl_add_u32 v12, v10, 4, v28
	s_waitcnt lgkmcnt(0)
	v_xor_b32_e32 v19, 0x80000000, v5
	v_mov_b32_e32 v18, v4
	s_waitcnt vmcnt(0)
	v_mul_f64 v[10:11], v[8:9], -v[4:5]
	v_mul_f64 v[8:9], v[8:9], v[2:3]
	v_fmac_f64_e32 v[10:11], v[2:3], v[6:7]
	v_fmac_f64_e32 v[8:9], v[4:5], v[6:7]
	ds_add_f64 v12, v[10:11]
	ds_add_f64 v12, v[8:9] offset:8
	s_branch .LBB38_69
.LBB38_86:
	s_or_b64 exec, exec, s[42:43]
                                        ; implicit-def: $vgpr16_vgpr17
                                        ; implicit-def: $vgpr14
.LBB38_87:
	s_andn2_saveexec_b64 s[24:25], s[24:25]
	s_cbranch_execz .LBB38_145
; %bb.88:
	s_add_u32 s40, s30, -1
	s_addc_u32 s41, s31, -1
	s_add_u32 s4, s30, -2
	s_addc_u32 s5, s31, -1
	v_pk_mov_b32 v[2:3], s[28:29], s[28:29] op_sel:[0,1]
	s_cmp_eq_u64 s[4:5], s[28:29]
	v_cmp_le_i64_e32 vcc, s[40:41], v[2:3]
	s_cselect_b64 s[4:5], -1, 0
	s_or_b64 s[6:7], vcc, s[4:5]
	s_and_b64 vcc, exec, s[6:7]
	v_pk_mov_b32 v[4:5], s[40:41], s[40:41] op_sel:[0,1]
	s_cbranch_vccnz .LBB38_92
; %bb.89:
	s_mov_b64 s[42:43], 0
	v_pk_mov_b32 v[2:3], s[28:29], s[28:29] op_sel:[0,1]
	v_pk_mov_b32 v[4:5], s[40:41], s[40:41] op_sel:[0,1]
	v_mov_b32_e32 v6, s21
	v_mov_b32_e32 v7, s33
.LBB38_90:                              ; =>This Inner Loop Header: Depth=1
	v_add_co_u32_e32 v8, vcc, v4, v2
	v_addc_co_u32_e32 v9, vcc, v5, v3, vcc
	v_lshrrev_b32_e32 v10, 31, v9
	v_add_co_u32_e32 v8, vcc, v8, v10
	v_addc_co_u32_e32 v9, vcc, 0, v9, vcc
	v_ashrrev_i64 v[8:9], 1, v[8:9]
	v_lshlrev_b64 v[10:11], 3, v[8:9]
	v_add_co_u32_e32 v10, vcc, s20, v10
	v_addc_co_u32_e32 v11, vcc, v6, v11, vcc
	global_load_dwordx2 v[10:11], v[10:11], off
	s_waitcnt vmcnt(0)
	v_subrev_co_u32_e32 v10, vcc, s38, v10
	v_subb_co_u32_e32 v11, vcc, v11, v7, vcc
	v_cmp_gt_i64_e32 vcc, v[10:11], v[14:15]
	v_cndmask_b32_e32 v4, v4, v8, vcc
	v_cndmask_b32_e32 v5, v5, v9, vcc
	;; [unrolled: 1-line block ×3, first 2 shown]
	v_add_co_u32_e64 v8, s[4:5], -1, v4
	v_cndmask_b32_e32 v3, v9, v3, vcc
	v_addc_co_u32_e64 v9, s[4:5], -1, v5, s[4:5]
	v_cmp_ge_i64_e32 vcc, v[2:3], v[4:5]
	v_cmp_eq_u64_e64 s[4:5], v[2:3], v[8:9]
	s_or_b64 s[4:5], vcc, s[4:5]
	s_and_b64 s[4:5], exec, s[4:5]
	s_or_b64 s[42:43], s[4:5], s[42:43]
	s_andn2_b64 exec, exec, s[42:43]
	s_cbranch_execnz .LBB38_90
; %bb.91:
	s_or_b64 exec, exec, s[42:43]
.LBB38_92:
	v_lshlrev_b64 v[6:7], 3, v[4:5]
	v_mov_b32_e32 v8, s21
	v_add_co_u32_e32 v6, vcc, s20, v6
	v_addc_co_u32_e32 v7, vcc, v8, v7, vcc
	v_lshlrev_b64 v[8:9], 2, v[14:15]
	global_load_dwordx2 v[6:7], v[6:7], off
	v_mov_b32_e32 v10, s23
	v_add_co_u32_e32 v18, vcc, s22, v8
	v_addc_co_u32_e32 v19, vcc, v10, v9, vcc
	global_load_dword v8, v[18:19], off
	v_mov_b32_e32 v9, s33
	s_xor_b64 s[6:7], s[6:7], -1
	s_lshl_b64 s[4:5], s[30:31], 3
	s_add_u32 s22, s20, s4
	s_addc_u32 s23, s21, s5
	s_waitcnt vmcnt(1)
	v_subrev_co_u32_e32 v6, vcc, s38, v6
	v_subb_co_u32_e32 v7, vcc, v7, v9, vcc
	v_cmp_gt_i64_e32 vcc, v[6:7], v[14:15]
	v_cndmask_b32_e32 v3, v5, v3, vcc
	s_waitcnt vmcnt(0)
	v_subrev_u32_e32 v20, s38, v8
	v_cndmask_b32_e32 v2, v4, v2, vcc
	v_ashrrev_i32_e32 v21, 31, v20
	v_cmp_ne_u64_e32 vcc, v[2:3], v[20:21]
	s_and_saveexec_b64 s[42:43], vcc
	s_cbranch_execz .LBB38_102
; %bb.93:
	s_load_dwordx2 s[4:5], s[22:23], 0x0
	s_waitcnt lgkmcnt(0)
	s_sub_u32 s4, s4, s38
	s_subb_u32 s5, s5, 0
	v_cmp_gt_i64_e32 vcc, s[4:5], v[14:15]
	s_and_b64 exec, exec, vcc
	s_cbranch_execz .LBB38_102
; %bb.94:
	v_cmp_gt_i64_e32 vcc, s[8:9], v[20:21]
	v_cmp_le_i64_e64 s[4:5], s[30:31], v[20:21]
	s_or_b64 s[4:5], vcc, s[4:5]
	v_lshlrev_b64 v[2:3], 4, v[2:3]
	s_and_saveexec_b64 s[44:45], s[4:5]
	s_xor_b64 s[4:5], exec, s[44:45]
	s_cbranch_execz .LBB38_100
; %bb.95:
	v_mov_b32_e32 v4, s27
	v_add_co_u32_e32 v2, vcc, s26, v2
	v_lshlrev_b64 v[6:7], 4, v[20:21]
	v_addc_co_u32_e32 v3, vcc, v4, v3, vcc
	v_mov_b32_e32 v8, s35
	global_load_dwordx4 v[2:5], v[2:3], off
	v_add_co_u32_e32 v22, vcc, s34, v6
	v_addc_co_u32_e32 v23, vcc, v8, v7, vcc
	global_load_dwordx2 v[12:13], v[22:23], off
	ds_read_b128 v[6:9], v26
	s_mov_b64 s[44:45], 0
	s_waitcnt vmcnt(1) lgkmcnt(0)
	v_mul_f64 v[24:25], v[4:5], -v[8:9]
	v_fmac_f64_e32 v[24:25], v[6:7], v[2:3]
.LBB38_96:                              ; =>This Inner Loop Header: Depth=1
	s_waitcnt vmcnt(0)
	v_add_f64 v[10:11], v[12:13], v[24:25]
	global_atomic_cmpswap_x2 v[10:11], v[22:23], v[10:13], off glc
	s_waitcnt vmcnt(0)
	v_cmp_eq_u64_e32 vcc, v[10:11], v[12:13]
	s_or_b64 s[44:45], vcc, s[44:45]
	v_pk_mov_b32 v[12:13], v[10:11], v[10:11] op_sel:[0,1]
	s_andn2_b64 exec, exec, s[44:45]
	s_cbranch_execnz .LBB38_96
; %bb.97:
	s_or_b64 exec, exec, s[44:45]
	global_load_dwordx2 v[10:11], v[22:23], off offset:8
	v_mul_f64 v[4:5], v[4:5], v[6:7]
	v_fmac_f64_e32 v[4:5], v[8:9], v[2:3]
	s_mov_b64 s[44:45], 0
.LBB38_98:                              ; =>This Inner Loop Header: Depth=1
	s_waitcnt vmcnt(0)
	v_add_f64 v[8:9], v[10:11], v[4:5]
	global_atomic_cmpswap_x2 v[2:3], v[22:23], v[8:11], off offset:8 glc
	s_waitcnt vmcnt(0)
	v_cmp_eq_u64_e32 vcc, v[2:3], v[10:11]
	s_or_b64 s[44:45], vcc, s[44:45]
	v_pk_mov_b32 v[10:11], v[2:3], v[2:3] op_sel:[0,1]
	s_andn2_b64 exec, exec, s[44:45]
	s_cbranch_execnz .LBB38_98
; %bb.99:
	s_or_b64 exec, exec, s[44:45]
                                        ; implicit-def: $vgpr2_vgpr3
.LBB38_100:
	s_andn2_saveexec_b64 s[4:5], s[4:5]
	s_cbranch_execz .LBB38_102
; %bb.101:
	v_mov_b32_e32 v4, s27
	v_add_co_u32_e32 v2, vcc, s26, v2
	v_addc_co_u32_e32 v3, vcc, v4, v3, vcc
	global_load_dwordx4 v[2:5], v[2:3], off
	ds_read_b128 v[6:9], v26
	v_subrev_u32_e32 v10, s8, v20
	v_mov_b32_e32 v11, 0x4000
	v_lshl_add_u32 v12, v10, 4, v11
	s_waitcnt vmcnt(0) lgkmcnt(0)
	v_mul_f64 v[10:11], v[4:5], -v[8:9]
	v_mul_f64 v[4:5], v[4:5], v[6:7]
	v_fmac_f64_e32 v[10:11], v[6:7], v[2:3]
	v_fmac_f64_e32 v[4:5], v[8:9], v[2:3]
	ds_add_f64 v12, v[10:11]
	ds_add_f64 v12, v[4:5] offset:8
.LBB38_102:
	s_or_b64 exec, exec, s[42:43]
	v_lshlrev_b64 v[2:3], 4, v[20:21]
	v_mov_b32_e32 v4, s27
	v_add_co_u32_e32 v2, vcc, s26, v2
	v_addc_co_u32_e32 v3, vcc, v4, v3, vcc
	global_load_dwordx4 v[6:9], v[2:3], off
	ds_read_b128 v[10:13], v26
	v_add_co_u32_e32 v2, vcc, 0x100, v14
	v_cndmask_b32_e64 v20, 0, 1, s[6:7]
	v_addc_co_u32_e32 v3, vcc, 0, v15, vcc
	v_cmp_ne_u32_e64 s[4:5], 1, v20
	v_pk_mov_b32 v[4:5], s[28:29], s[28:29] op_sel:[0,1]
	s_andn2_b64 vcc, exec, s[6:7]
	s_waitcnt vmcnt(0) lgkmcnt(0)
	v_mul_f64 v[20:21], v[8:9], -v[12:13]
	v_mul_f64 v[22:23], v[8:9], v[10:11]
	v_fmac_f64_e32 v[20:21], v[10:11], v[6:7]
	v_fmac_f64_e32 v[22:23], v[12:13], v[6:7]
	v_pk_mov_b32 v[6:7], s[40:41], s[40:41] op_sel:[0,1]
	ds_write_b128 v26, v[20:23]
	s_cbranch_vccnz .LBB38_106
; %bb.103:
	s_mov_b64 s[42:43], 0
	v_pk_mov_b32 v[4:5], s[28:29], s[28:29] op_sel:[0,1]
	v_pk_mov_b32 v[6:7], s[40:41], s[40:41] op_sel:[0,1]
	v_mov_b32_e32 v8, s21
	v_mov_b32_e32 v9, s33
.LBB38_104:                             ; =>This Inner Loop Header: Depth=1
	v_add_co_u32_e32 v10, vcc, v6, v4
	v_addc_co_u32_e32 v11, vcc, v7, v5, vcc
	v_lshrrev_b32_e32 v12, 31, v11
	v_add_co_u32_e32 v10, vcc, v10, v12
	v_addc_co_u32_e32 v11, vcc, 0, v11, vcc
	v_ashrrev_i64 v[10:11], 1, v[10:11]
	v_lshlrev_b64 v[12:13], 3, v[10:11]
	v_add_co_u32_e32 v12, vcc, s20, v12
	v_addc_co_u32_e32 v13, vcc, v8, v13, vcc
	global_load_dwordx2 v[12:13], v[12:13], off
	s_waitcnt vmcnt(0)
	v_subrev_co_u32_e32 v12, vcc, s38, v12
	v_subb_co_u32_e32 v13, vcc, v13, v9, vcc
	v_cmp_gt_i64_e32 vcc, v[12:13], v[2:3]
	v_cndmask_b32_e32 v6, v6, v10, vcc
	v_cndmask_b32_e32 v7, v7, v11, vcc
	;; [unrolled: 1-line block ×3, first 2 shown]
	v_add_co_u32_e64 v10, s[6:7], -1, v6
	v_cndmask_b32_e32 v5, v11, v5, vcc
	v_addc_co_u32_e64 v11, s[6:7], -1, v7, s[6:7]
	v_cmp_ge_i64_e32 vcc, v[4:5], v[6:7]
	v_cmp_eq_u64_e64 s[6:7], v[4:5], v[10:11]
	s_or_b64 s[6:7], vcc, s[6:7]
	s_and_b64 s[6:7], exec, s[6:7]
	s_or_b64 s[42:43], s[6:7], s[42:43]
	s_andn2_b64 exec, exec, s[42:43]
	s_cbranch_execnz .LBB38_104
; %bb.105:
	s_or_b64 exec, exec, s[42:43]
.LBB38_106:
	v_lshlrev_b64 v[8:9], 3, v[6:7]
	v_mov_b32_e32 v10, s21
	v_add_co_u32_e32 v8, vcc, s20, v8
	v_addc_co_u32_e32 v9, vcc, v10, v9, vcc
	global_load_dwordx2 v[8:9], v[8:9], off
	v_mov_b32_e32 v10, s33
	global_load_dword v11, v[18:19], off offset:1024
	s_waitcnt vmcnt(1)
	v_subrev_co_u32_e32 v8, vcc, s38, v8
	v_subb_co_u32_e32 v9, vcc, v9, v10, vcc
	s_waitcnt vmcnt(0)
	v_subrev_u32_e32 v20, s38, v11
	v_cmp_gt_i64_e32 vcc, v[8:9], v[2:3]
	v_cndmask_b32_e32 v5, v7, v5, vcc
	v_cndmask_b32_e32 v4, v6, v4, vcc
	v_ashrrev_i32_e32 v21, 31, v20
	v_cmp_ne_u64_e32 vcc, v[4:5], v[20:21]
	s_and_saveexec_b64 s[42:43], vcc
	s_cbranch_execz .LBB38_116
; %bb.107:
	s_load_dwordx2 s[6:7], s[22:23], 0x0
	s_waitcnt lgkmcnt(0)
	s_sub_u32 s6, s6, s38
	s_subb_u32 s7, s7, 0
	v_cmp_gt_i64_e32 vcc, s[6:7], v[2:3]
	s_and_b64 exec, exec, vcc
	s_cbranch_execz .LBB38_116
; %bb.108:
	v_cmp_gt_i64_e32 vcc, s[8:9], v[20:21]
	v_cmp_le_i64_e64 s[6:7], s[30:31], v[20:21]
	s_or_b64 s[6:7], vcc, s[6:7]
	v_lshlrev_b64 v[2:3], 4, v[4:5]
	s_and_saveexec_b64 s[44:45], s[6:7]
	s_xor_b64 s[6:7], exec, s[44:45]
	s_cbranch_execz .LBB38_114
; %bb.109:
	v_mov_b32_e32 v4, s27
	v_add_co_u32_e32 v2, vcc, s26, v2
	v_lshlrev_b64 v[6:7], 4, v[20:21]
	v_addc_co_u32_e32 v3, vcc, v4, v3, vcc
	v_mov_b32_e32 v8, s35
	global_load_dwordx4 v[2:5], v[2:3], off
	v_add_co_u32_e32 v22, vcc, s34, v6
	v_addc_co_u32_e32 v23, vcc, v8, v7, vcc
	global_load_dwordx2 v[12:13], v[22:23], off
	ds_read_b128 v[6:9], v26 offset:4096
	s_mov_b64 s[44:45], 0
	s_waitcnt vmcnt(1) lgkmcnt(0)
	v_mul_f64 v[24:25], v[4:5], -v[8:9]
	v_fmac_f64_e32 v[24:25], v[6:7], v[2:3]
.LBB38_110:                             ; =>This Inner Loop Header: Depth=1
	s_waitcnt vmcnt(0)
	v_add_f64 v[10:11], v[12:13], v[24:25]
	global_atomic_cmpswap_x2 v[10:11], v[22:23], v[10:13], off glc
	s_waitcnt vmcnt(0)
	v_cmp_eq_u64_e32 vcc, v[10:11], v[12:13]
	s_or_b64 s[44:45], vcc, s[44:45]
	v_pk_mov_b32 v[12:13], v[10:11], v[10:11] op_sel:[0,1]
	s_andn2_b64 exec, exec, s[44:45]
	s_cbranch_execnz .LBB38_110
; %bb.111:
	s_or_b64 exec, exec, s[44:45]
	global_load_dwordx2 v[10:11], v[22:23], off offset:8
	v_mul_f64 v[4:5], v[4:5], v[6:7]
	v_fmac_f64_e32 v[4:5], v[8:9], v[2:3]
	s_mov_b64 s[44:45], 0
.LBB38_112:                             ; =>This Inner Loop Header: Depth=1
	s_waitcnt vmcnt(0)
	v_add_f64 v[8:9], v[10:11], v[4:5]
	global_atomic_cmpswap_x2 v[2:3], v[22:23], v[8:11], off offset:8 glc
	s_waitcnt vmcnt(0)
	v_cmp_eq_u64_e32 vcc, v[2:3], v[10:11]
	s_or_b64 s[44:45], vcc, s[44:45]
	v_pk_mov_b32 v[10:11], v[2:3], v[2:3] op_sel:[0,1]
	s_andn2_b64 exec, exec, s[44:45]
	s_cbranch_execnz .LBB38_112
; %bb.113:
	s_or_b64 exec, exec, s[44:45]
                                        ; implicit-def: $vgpr2_vgpr3
.LBB38_114:
	s_andn2_saveexec_b64 s[6:7], s[6:7]
	s_cbranch_execz .LBB38_116
; %bb.115:
	v_mov_b32_e32 v4, s27
	v_add_co_u32_e32 v2, vcc, s26, v2
	v_addc_co_u32_e32 v3, vcc, v4, v3, vcc
	global_load_dwordx4 v[2:5], v[2:3], off
	ds_read_b128 v[6:9], v26 offset:4096
	v_subrev_u32_e32 v10, s8, v20
	v_mov_b32_e32 v11, 0x4000
	v_lshl_add_u32 v12, v10, 4, v11
	s_waitcnt vmcnt(0) lgkmcnt(0)
	v_mul_f64 v[10:11], v[4:5], -v[8:9]
	v_mul_f64 v[4:5], v[4:5], v[6:7]
	v_fmac_f64_e32 v[10:11], v[6:7], v[2:3]
	v_fmac_f64_e32 v[4:5], v[8:9], v[2:3]
	ds_add_f64 v12, v[10:11]
	ds_add_f64 v12, v[4:5] offset:8
.LBB38_116:
	s_or_b64 exec, exec, s[42:43]
	v_lshlrev_b64 v[2:3], 4, v[20:21]
	v_mov_b32_e32 v4, s27
	v_add_co_u32_e32 v2, vcc, s26, v2
	v_addc_co_u32_e32 v3, vcc, v4, v3, vcc
	global_load_dwordx4 v[6:9], v[2:3], off
	ds_read_b128 v[10:13], v26 offset:4096
	v_add_co_u32_e32 v2, vcc, 0x200, v14
	v_addc_co_u32_e32 v3, vcc, 0, v15, vcc
	v_pk_mov_b32 v[4:5], s[28:29], s[28:29] op_sel:[0,1]
	s_and_b64 vcc, exec, s[4:5]
	s_waitcnt vmcnt(0) lgkmcnt(0)
	v_mul_f64 v[20:21], v[8:9], -v[12:13]
	v_mul_f64 v[22:23], v[8:9], v[10:11]
	v_fmac_f64_e32 v[20:21], v[10:11], v[6:7]
	v_fmac_f64_e32 v[22:23], v[12:13], v[6:7]
	v_pk_mov_b32 v[6:7], s[40:41], s[40:41] op_sel:[0,1]
	ds_write_b128 v26, v[20:23] offset:4096
	s_cbranch_vccnz .LBB38_120
; %bb.117:
	s_mov_b64 s[42:43], 0
	v_pk_mov_b32 v[4:5], s[28:29], s[28:29] op_sel:[0,1]
	v_pk_mov_b32 v[6:7], s[40:41], s[40:41] op_sel:[0,1]
	v_mov_b32_e32 v8, s21
	v_mov_b32_e32 v9, s33
.LBB38_118:                             ; =>This Inner Loop Header: Depth=1
	v_add_co_u32_e32 v10, vcc, v6, v4
	v_addc_co_u32_e32 v11, vcc, v7, v5, vcc
	v_lshrrev_b32_e32 v12, 31, v11
	v_add_co_u32_e32 v10, vcc, v10, v12
	v_addc_co_u32_e32 v11, vcc, 0, v11, vcc
	v_ashrrev_i64 v[10:11], 1, v[10:11]
	v_lshlrev_b64 v[12:13], 3, v[10:11]
	v_add_co_u32_e32 v12, vcc, s20, v12
	v_addc_co_u32_e32 v13, vcc, v8, v13, vcc
	global_load_dwordx2 v[12:13], v[12:13], off
	s_waitcnt vmcnt(0)
	v_subrev_co_u32_e32 v12, vcc, s38, v12
	v_subb_co_u32_e32 v13, vcc, v13, v9, vcc
	v_cmp_gt_i64_e32 vcc, v[12:13], v[2:3]
	v_cndmask_b32_e32 v6, v6, v10, vcc
	v_cndmask_b32_e32 v7, v7, v11, vcc
	;; [unrolled: 1-line block ×3, first 2 shown]
	v_add_co_u32_e64 v10, s[6:7], -1, v6
	v_cndmask_b32_e32 v5, v11, v5, vcc
	v_addc_co_u32_e64 v11, s[6:7], -1, v7, s[6:7]
	v_cmp_ge_i64_e32 vcc, v[4:5], v[6:7]
	v_cmp_eq_u64_e64 s[6:7], v[4:5], v[10:11]
	s_or_b64 s[6:7], vcc, s[6:7]
	s_and_b64 s[6:7], exec, s[6:7]
	s_or_b64 s[42:43], s[6:7], s[42:43]
	s_andn2_b64 exec, exec, s[42:43]
	s_cbranch_execnz .LBB38_118
; %bb.119:
	s_or_b64 exec, exec, s[42:43]
.LBB38_120:
	v_lshlrev_b64 v[8:9], 3, v[6:7]
	v_mov_b32_e32 v10, s21
	v_add_co_u32_e32 v8, vcc, s20, v8
	v_addc_co_u32_e32 v9, vcc, v10, v9, vcc
	global_load_dwordx2 v[8:9], v[8:9], off
	v_mov_b32_e32 v10, s33
	global_load_dword v11, v[18:19], off offset:2048
	s_waitcnt vmcnt(1)
	v_subrev_co_u32_e32 v8, vcc, s38, v8
	v_subb_co_u32_e32 v9, vcc, v9, v10, vcc
	s_waitcnt vmcnt(0)
	v_subrev_u32_e32 v14, s38, v11
	v_cmp_gt_i64_e32 vcc, v[8:9], v[2:3]
	v_cndmask_b32_e32 v5, v7, v5, vcc
	v_cndmask_b32_e32 v4, v6, v4, vcc
	v_ashrrev_i32_e32 v15, 31, v14
	v_cmp_ne_u64_e32 vcc, v[4:5], v[14:15]
	s_and_saveexec_b64 s[42:43], vcc
	s_cbranch_execz .LBB38_130
; %bb.121:
	s_load_dwordx2 s[6:7], s[22:23], 0x0
	s_waitcnt lgkmcnt(0)
	s_sub_u32 s6, s6, s38
	s_subb_u32 s7, s7, 0
	v_cmp_gt_i64_e32 vcc, s[6:7], v[2:3]
	s_and_b64 exec, exec, vcc
	s_cbranch_execz .LBB38_130
; %bb.122:
	v_cmp_gt_i64_e32 vcc, s[8:9], v[14:15]
	v_cmp_le_i64_e64 s[6:7], s[30:31], v[14:15]
	s_or_b64 s[6:7], vcc, s[6:7]
	v_lshlrev_b64 v[2:3], 4, v[4:5]
	s_and_saveexec_b64 s[44:45], s[6:7]
	s_xor_b64 s[6:7], exec, s[44:45]
	s_cbranch_execz .LBB38_128
; %bb.123:
	v_mov_b32_e32 v4, s27
	v_add_co_u32_e32 v2, vcc, s26, v2
	v_lshlrev_b64 v[6:7], 4, v[14:15]
	v_addc_co_u32_e32 v3, vcc, v4, v3, vcc
	v_mov_b32_e32 v8, s35
	global_load_dwordx4 v[2:5], v[2:3], off
	v_add_co_u32_e32 v20, vcc, s34, v6
	v_addc_co_u32_e32 v21, vcc, v8, v7, vcc
	global_load_dwordx2 v[12:13], v[20:21], off
	ds_read_b128 v[6:9], v26 offset:8192
	s_mov_b64 s[44:45], 0
	s_waitcnt vmcnt(1) lgkmcnt(0)
	v_mul_f64 v[22:23], v[4:5], -v[8:9]
	v_fmac_f64_e32 v[22:23], v[6:7], v[2:3]
.LBB38_124:                             ; =>This Inner Loop Header: Depth=1
	s_waitcnt vmcnt(0)
	v_add_f64 v[10:11], v[12:13], v[22:23]
	global_atomic_cmpswap_x2 v[10:11], v[20:21], v[10:13], off glc
	s_waitcnt vmcnt(0)
	v_cmp_eq_u64_e32 vcc, v[10:11], v[12:13]
	s_or_b64 s[44:45], vcc, s[44:45]
	v_pk_mov_b32 v[12:13], v[10:11], v[10:11] op_sel:[0,1]
	s_andn2_b64 exec, exec, s[44:45]
	s_cbranch_execnz .LBB38_124
; %bb.125:
	s_or_b64 exec, exec, s[44:45]
	global_load_dwordx2 v[10:11], v[20:21], off offset:8
	v_mul_f64 v[4:5], v[4:5], v[6:7]
	v_fmac_f64_e32 v[4:5], v[8:9], v[2:3]
	s_mov_b64 s[44:45], 0
.LBB38_126:                             ; =>This Inner Loop Header: Depth=1
	s_waitcnt vmcnt(0)
	v_add_f64 v[8:9], v[10:11], v[4:5]
	global_atomic_cmpswap_x2 v[2:3], v[20:21], v[8:11], off offset:8 glc
	s_waitcnt vmcnt(0)
	v_cmp_eq_u64_e32 vcc, v[2:3], v[10:11]
	s_or_b64 s[44:45], vcc, s[44:45]
	v_pk_mov_b32 v[10:11], v[2:3], v[2:3] op_sel:[0,1]
	s_andn2_b64 exec, exec, s[44:45]
	s_cbranch_execnz .LBB38_126
; %bb.127:
	s_or_b64 exec, exec, s[44:45]
                                        ; implicit-def: $vgpr2_vgpr3
.LBB38_128:
	s_andn2_saveexec_b64 s[6:7], s[6:7]
	s_cbranch_execz .LBB38_130
; %bb.129:
	v_mov_b32_e32 v4, s27
	v_add_co_u32_e32 v2, vcc, s26, v2
	v_addc_co_u32_e32 v3, vcc, v4, v3, vcc
	global_load_dwordx4 v[2:5], v[2:3], off
	ds_read_b128 v[6:9], v26 offset:8192
	v_subrev_u32_e32 v10, s8, v14
	v_mov_b32_e32 v11, 0x4000
	v_lshl_add_u32 v12, v10, 4, v11
	s_waitcnt vmcnt(0) lgkmcnt(0)
	v_mul_f64 v[10:11], v[4:5], -v[8:9]
	v_mul_f64 v[4:5], v[4:5], v[6:7]
	v_fmac_f64_e32 v[10:11], v[6:7], v[2:3]
	v_fmac_f64_e32 v[4:5], v[8:9], v[2:3]
	ds_add_f64 v12, v[10:11]
	ds_add_f64 v12, v[4:5] offset:8
.LBB38_130:
	s_or_b64 exec, exec, s[42:43]
	v_lshlrev_b64 v[2:3], 4, v[14:15]
	v_mov_b32_e32 v4, s27
	v_add_co_u32_e32 v2, vcc, s26, v2
	v_addc_co_u32_e32 v3, vcc, v4, v3, vcc
	global_load_dwordx4 v[4:7], v[2:3], off
	ds_read_b128 v[8:11], v26 offset:8192
	s_and_b64 vcc, exec, s[4:5]
	v_pk_mov_b32 v[2:3], s[28:29], s[28:29] op_sel:[0,1]
	s_waitcnt vmcnt(0) lgkmcnt(0)
	v_mul_f64 v[12:13], v[6:7], -v[10:11]
	v_mul_f64 v[14:15], v[6:7], v[8:9]
	v_fmac_f64_e32 v[12:13], v[8:9], v[4:5]
	v_fmac_f64_e32 v[14:15], v[10:11], v[4:5]
	v_pk_mov_b32 v[4:5], s[40:41], s[40:41] op_sel:[0,1]
	ds_write_b128 v26, v[12:15] offset:8192
	s_cbranch_vccnz .LBB38_134
; %bb.131:
	s_mov_b64 s[6:7], 0
	v_pk_mov_b32 v[2:3], s[28:29], s[28:29] op_sel:[0,1]
	v_pk_mov_b32 v[4:5], s[40:41], s[40:41] op_sel:[0,1]
	v_mov_b32_e32 v6, s21
	v_mov_b32_e32 v7, s33
.LBB38_132:                             ; =>This Inner Loop Header: Depth=1
	v_add_co_u32_e32 v8, vcc, v4, v2
	v_addc_co_u32_e32 v9, vcc, v5, v3, vcc
	v_lshrrev_b32_e32 v10, 31, v9
	v_add_co_u32_e32 v8, vcc, v8, v10
	v_addc_co_u32_e32 v9, vcc, 0, v9, vcc
	v_ashrrev_i64 v[8:9], 1, v[8:9]
	v_lshlrev_b64 v[10:11], 3, v[8:9]
	v_add_co_u32_e32 v10, vcc, s20, v10
	v_addc_co_u32_e32 v11, vcc, v6, v11, vcc
	global_load_dwordx2 v[10:11], v[10:11], off
	s_waitcnt vmcnt(0)
	v_subrev_co_u32_e32 v10, vcc, s38, v10
	v_subb_co_u32_e32 v11, vcc, v11, v7, vcc
	v_cmp_gt_i64_e32 vcc, v[10:11], v[16:17]
	v_cndmask_b32_e32 v4, v4, v8, vcc
	v_cndmask_b32_e32 v5, v5, v9, vcc
	;; [unrolled: 1-line block ×3, first 2 shown]
	v_add_co_u32_e64 v8, s[4:5], -1, v4
	v_cndmask_b32_e32 v3, v9, v3, vcc
	v_addc_co_u32_e64 v9, s[4:5], -1, v5, s[4:5]
	v_cmp_ge_i64_e32 vcc, v[2:3], v[4:5]
	v_cmp_eq_u64_e64 s[4:5], v[2:3], v[8:9]
	s_or_b64 s[4:5], vcc, s[4:5]
	s_and_b64 s[4:5], exec, s[4:5]
	s_or_b64 s[6:7], s[4:5], s[6:7]
	s_andn2_b64 exec, exec, s[6:7]
	s_cbranch_execnz .LBB38_132
; %bb.133:
	s_or_b64 exec, exec, s[6:7]
.LBB38_134:
	v_lshlrev_b64 v[6:7], 3, v[4:5]
	v_mov_b32_e32 v8, s21
	v_add_co_u32_e32 v6, vcc, s20, v6
	v_addc_co_u32_e32 v7, vcc, v8, v7, vcc
	global_load_dwordx2 v[6:7], v[6:7], off
	v_mov_b32_e32 v8, s33
	global_load_dword v9, v[18:19], off offset:3072
	s_waitcnt vmcnt(1)
	v_subrev_co_u32_e32 v6, vcc, s38, v6
	v_subb_co_u32_e32 v7, vcc, v7, v8, vcc
	s_waitcnt vmcnt(0)
	v_subrev_u32_e32 v14, s38, v9
	v_cmp_gt_i64_e32 vcc, v[6:7], v[16:17]
	v_cndmask_b32_e32 v3, v5, v3, vcc
	v_cndmask_b32_e32 v2, v4, v2, vcc
	v_ashrrev_i32_e32 v15, 31, v14
	v_cmp_ne_u64_e32 vcc, v[2:3], v[14:15]
	s_and_saveexec_b64 s[6:7], vcc
	s_cbranch_execz .LBB38_144
; %bb.135:
	s_load_dwordx2 s[4:5], s[22:23], 0x0
	s_waitcnt lgkmcnt(0)
	s_sub_u32 s4, s4, s38
	s_subb_u32 s5, s5, 0
	v_cmp_gt_i64_e32 vcc, s[4:5], v[16:17]
	s_and_b64 exec, exec, vcc
	s_cbranch_execz .LBB38_144
; %bb.136:
	v_cmp_gt_i64_e32 vcc, s[8:9], v[14:15]
	v_cmp_le_i64_e64 s[4:5], s[30:31], v[14:15]
	s_or_b64 s[4:5], vcc, s[4:5]
	v_lshlrev_b64 v[2:3], 4, v[2:3]
	s_and_saveexec_b64 s[22:23], s[4:5]
	s_xor_b64 s[4:5], exec, s[22:23]
	s_cbranch_execz .LBB38_142
; %bb.137:
	v_mov_b32_e32 v4, s27
	v_add_co_u32_e32 v2, vcc, s26, v2
	v_lshlrev_b64 v[6:7], 4, v[14:15]
	v_addc_co_u32_e32 v3, vcc, v4, v3, vcc
	v_mov_b32_e32 v8, s35
	global_load_dwordx4 v[2:5], v[2:3], off
	v_add_co_u32_e32 v16, vcc, s34, v6
	v_addc_co_u32_e32 v17, vcc, v8, v7, vcc
	global_load_dwordx2 v[12:13], v[16:17], off
	ds_read_b128 v[6:9], v26 offset:12288
	s_mov_b64 s[22:23], 0
	s_waitcnt vmcnt(1) lgkmcnt(0)
	v_mul_f64 v[18:19], v[4:5], -v[8:9]
	v_fmac_f64_e32 v[18:19], v[6:7], v[2:3]
.LBB38_138:                             ; =>This Inner Loop Header: Depth=1
	s_waitcnt vmcnt(0)
	v_add_f64 v[10:11], v[12:13], v[18:19]
	global_atomic_cmpswap_x2 v[10:11], v[16:17], v[10:13], off glc
	s_waitcnt vmcnt(0)
	v_cmp_eq_u64_e32 vcc, v[10:11], v[12:13]
	s_or_b64 s[22:23], vcc, s[22:23]
	v_pk_mov_b32 v[12:13], v[10:11], v[10:11] op_sel:[0,1]
	s_andn2_b64 exec, exec, s[22:23]
	s_cbranch_execnz .LBB38_138
; %bb.139:
	s_or_b64 exec, exec, s[22:23]
	global_load_dwordx2 v[10:11], v[16:17], off offset:8
	v_mul_f64 v[4:5], v[4:5], v[6:7]
	v_fmac_f64_e32 v[4:5], v[8:9], v[2:3]
	s_mov_b64 s[22:23], 0
.LBB38_140:                             ; =>This Inner Loop Header: Depth=1
	s_waitcnt vmcnt(0)
	v_add_f64 v[8:9], v[10:11], v[4:5]
	global_atomic_cmpswap_x2 v[2:3], v[16:17], v[8:11], off offset:8 glc
	s_waitcnt vmcnt(0)
	v_cmp_eq_u64_e32 vcc, v[2:3], v[10:11]
	s_or_b64 s[22:23], vcc, s[22:23]
	v_pk_mov_b32 v[10:11], v[2:3], v[2:3] op_sel:[0,1]
	s_andn2_b64 exec, exec, s[22:23]
	s_cbranch_execnz .LBB38_140
; %bb.141:
	s_or_b64 exec, exec, s[22:23]
                                        ; implicit-def: $vgpr2_vgpr3
.LBB38_142:
	s_andn2_saveexec_b64 s[4:5], s[4:5]
	s_cbranch_execz .LBB38_144
; %bb.143:
	v_mov_b32_e32 v4, s27
	v_add_co_u32_e32 v2, vcc, s26, v2
	v_addc_co_u32_e32 v3, vcc, v4, v3, vcc
	global_load_dwordx4 v[2:5], v[2:3], off
	ds_read_b128 v[6:9], v26 offset:12288
	v_subrev_u32_e32 v10, s8, v14
	v_mov_b32_e32 v11, 0x4000
	v_lshl_add_u32 v12, v10, 4, v11
	s_waitcnt vmcnt(0) lgkmcnt(0)
	v_mul_f64 v[10:11], v[4:5], -v[8:9]
	v_mul_f64 v[4:5], v[4:5], v[6:7]
	v_fmac_f64_e32 v[10:11], v[6:7], v[2:3]
	v_fmac_f64_e32 v[4:5], v[8:9], v[2:3]
	ds_add_f64 v12, v[10:11]
	ds_add_f64 v12, v[4:5] offset:8
.LBB38_144:
	s_or_b64 exec, exec, s[6:7]
	v_lshlrev_b64 v[2:3], 4, v[14:15]
	v_mov_b32_e32 v4, s27
	v_add_co_u32_e32 v2, vcc, s26, v2
	v_addc_co_u32_e32 v3, vcc, v4, v3, vcc
	global_load_dwordx4 v[2:5], v[2:3], off
	ds_read_b128 v[6:9], v26 offset:12288
	s_waitcnt vmcnt(0) lgkmcnt(0)
	v_mul_f64 v[10:11], v[4:5], -v[8:9]
	v_mul_f64 v[12:13], v[4:5], v[6:7]
	v_fmac_f64_e32 v[10:11], v[6:7], v[2:3]
	v_fmac_f64_e32 v[12:13], v[8:9], v[2:3]
	ds_write_b128 v26, v[10:13] offset:12288
.LBB38_145:
	s_or_b64 exec, exec, s[24:25]
	v_pk_mov_b32 v[2:3], s[10:11], s[10:11] op_sel:[0,1]
	v_cmp_lt_i64_e32 vcc, s[30:31], v[2:3]
	s_and_b64 s[4:5], vcc, exec
	s_cselect_b32 s19, s30, s10
	s_cselect_b32 s4, s31, s11
	s_sub_u32 s6, s19, s36
	s_subb_u32 s7, s4, s37
	v_cmp_gt_i64_e32 vcc, s[6:7], v[0:1]
	s_waitcnt lgkmcnt(0)
	s_barrier
	s_and_saveexec_b64 s[4:5], vcc
	s_cbranch_execz .LBB38_152
; %bb.146:
	s_lshl_b64 s[8:9], s[8:9], 4
	s_add_u32 s22, s34, s8
	s_addc_u32 s10, s35, s9
	s_mov_b64 s[8:9], 0
	v_mov_b32_e32 v14, s10
	v_mov_b32_e32 v15, 0x4000
	v_pk_mov_b32 v[10:11], v[0:1], v[0:1] op_sel:[0,1]
.LBB38_147:                             ; =>This Loop Header: Depth=1
                                        ;     Child Loop BB38_148 Depth 2
                                        ;     Child Loop BB38_150 Depth 2
	v_lshlrev_b64 v[2:3], 4, v[10:11]
	v_add_co_u32_e32 v12, vcc, s22, v2
	v_addc_co_u32_e32 v13, vcc, v14, v3, vcc
	global_load_dwordx2 v[8:9], v[12:13], off
	v_lshl_add_u32 v2, v10, 4, v15
	ds_read2_b64 v[2:5], v2 offset1:1
	s_mov_b64 s[10:11], 0
.LBB38_148:                             ;   Parent Loop BB38_147 Depth=1
                                        ; =>  This Inner Loop Header: Depth=2
	s_waitcnt vmcnt(0) lgkmcnt(0)
	v_add_f64 v[6:7], v[8:9], v[2:3]
	global_atomic_cmpswap_x2 v[6:7], v[12:13], v[6:9], off glc
	s_waitcnt vmcnt(0)
	v_cmp_eq_u64_e32 vcc, v[6:7], v[8:9]
	s_or_b64 s[10:11], vcc, s[10:11]
	v_pk_mov_b32 v[8:9], v[6:7], v[6:7] op_sel:[0,1]
	s_andn2_b64 exec, exec, s[10:11]
	s_cbranch_execnz .LBB38_148
; %bb.149:                              ;   in Loop: Header=BB38_147 Depth=1
	s_or_b64 exec, exec, s[10:11]
	global_load_dwordx2 v[8:9], v[12:13], off offset:8
	s_mov_b64 s[10:11], 0
.LBB38_150:                             ;   Parent Loop BB38_147 Depth=1
                                        ; =>  This Inner Loop Header: Depth=2
	s_waitcnt vmcnt(0)
	v_add_f64 v[6:7], v[8:9], v[4:5]
	global_atomic_cmpswap_x2 v[2:3], v[12:13], v[6:9], off offset:8 glc
	s_waitcnt vmcnt(0)
	v_cmp_eq_u64_e32 vcc, v[2:3], v[8:9]
	s_or_b64 s[10:11], vcc, s[10:11]
	v_pk_mov_b32 v[8:9], v[2:3], v[2:3] op_sel:[0,1]
	s_andn2_b64 exec, exec, s[10:11]
	s_cbranch_execnz .LBB38_150
; %bb.151:                              ;   in Loop: Header=BB38_147 Depth=1
	s_or_b64 exec, exec, s[10:11]
	v_add_co_u32_e32 v10, vcc, 0x100, v10
	v_addc_co_u32_e32 v11, vcc, 0, v11, vcc
	v_cmp_le_i64_e32 vcc, s[6:7], v[10:11]
	s_or_b64 s[8:9], vcc, s[8:9]
	s_andn2_b64 exec, exec, s[8:9]
	s_cbranch_execnz .LBB38_147
.LBB38_152:
	s_or_b64 exec, exec, s[4:5]
	s_add_i32 s4, s18, -1
	s_ashr_i32 s5, s4, 1
	s_or_b32 s4, s5, s4
	s_ashr_i32 s5, s4, 2
	s_or_b32 s4, s5, s4
	;; [unrolled: 2-line block ×5, first 2 shown]
	s_add_i32 s7, s7, 1
	s_ashr_i32 s22, s7, 1
	v_mov_b32_e32 v2, s29
	v_add_co_u32_e32 v10, vcc, s28, v0
	v_addc_co_u32_e32 v11, vcc, 0, v2, vcc
	s_cmp_gt_i32 s22, 1
	s_mov_b64 s[4:5], -1
	s_barrier
	s_cbranch_scc1 .LBB38_165
; %bb.153:
	v_cmp_gt_i64_e32 vcc, s[30:31], v[10:11]
	s_and_saveexec_b64 s[4:5], vcc
	s_cbranch_execz .LBB38_164
; %bb.154:
	s_sub_i32 s8, s19, s30
	s_lshl_b32 s8, s8, 4
	s_add_i32 s23, s8, 0x4000
	s_lshl_b32 s8, s12, 4
	s_sub_i32 s24, 0, s8
	s_mov_b64 s[8:9], 0
	v_mov_b32_e32 v18, s21
	v_mov_b32_e32 v19, s35
	v_mov_b32_e32 v20, s17
	v_pk_mov_b32 v[12:13], v[10:11], v[10:11] op_sel:[0,1]
.LBB38_155:                             ; =>This Loop Header: Depth=1
                                        ;     Child Loop BB38_157 Depth 2
                                        ;     Child Loop BB38_160 Depth 2
	;; [unrolled: 1-line block ×3, first 2 shown]
	v_lshlrev_b64 v[2:3], 3, v[12:13]
	v_add_co_u32_e32 v2, vcc, s20, v2
	v_addc_co_u32_e32 v3, vcc, v18, v3, vcc
	global_load_dwordx4 v[2:5], v[2:3], off
	v_pk_mov_b32 v[14:15], 0, 0
	v_pk_mov_b32 v[6:7], v[14:15], v[14:15] op_sel:[0,1]
	s_waitcnt vmcnt(0)
	v_cmp_lt_i64_e32 vcc, v[2:3], v[4:5]
	s_and_saveexec_b64 s[10:11], vcc
	s_cbranch_execz .LBB38_159
; %bb.156:                              ;   in Loop: Header=BB38_155 Depth=1
	v_mov_b32_e32 v6, s13
	v_subrev_co_u32_e32 v4, vcc, s12, v4
	v_subb_co_u32_e32 v5, vcc, v5, v6, vcc
	v_subrev_co_u32_e32 v8, vcc, s12, v2
	v_pk_mov_b32 v[14:15], 0, 0
	v_subb_co_u32_e32 v9, vcc, v3, v6, vcc
	v_lshl_add_u32 v2, v2, 4, s24
	s_mov_b64 s[18:19], 0
	v_pk_mov_b32 v[6:7], v[14:15], v[14:15] op_sel:[0,1]
.LBB38_157:                             ;   Parent Loop BB38_155 Depth=1
                                        ; =>  This Inner Loop Header: Depth=2
	ds_read_b128 v[22:25], v2
	v_add_co_u32_e32 v8, vcc, 1, v8
	v_addc_co_u32_e32 v9, vcc, 0, v9, vcc
	v_cmp_ge_i64_e32 vcc, v[8:9], v[4:5]
	v_add_u32_e32 v2, 16, v2
	s_or_b64 s[18:19], vcc, s[18:19]
	s_waitcnt lgkmcnt(0)
	v_add_f64 v[6:7], v[6:7], v[22:23]
	v_add_f64 v[14:15], v[14:15], v[24:25]
	s_andn2_b64 exec, exec, s[18:19]
	s_cbranch_execnz .LBB38_157
; %bb.158:                              ;   in Loop: Header=BB38_155 Depth=1
	s_or_b64 exec, exec, s[18:19]
.LBB38_159:                             ;   in Loop: Header=BB38_155 Depth=1
	s_or_b64 exec, exec, s[10:11]
	v_lshlrev_b64 v[2:3], 4, v[12:13]
	v_add_co_u32_e32 v16, vcc, s34, v2
	v_addc_co_u32_e32 v17, vcc, v19, v3, vcc
	global_load_dwordx2 v[8:9], v[16:17], off
	v_lshl_add_u32 v2, v12, 4, s23
	ds_read2_b64 v[2:5], v2 offset1:1
	s_mov_b64 s[10:11], 0
	s_waitcnt lgkmcnt(0)
	v_add_f64 v[2:3], v[6:7], v[2:3]
.LBB38_160:                             ;   Parent Loop BB38_155 Depth=1
                                        ; =>  This Inner Loop Header: Depth=2
	s_waitcnt vmcnt(0)
	v_add_f64 v[6:7], v[8:9], v[2:3]
	global_atomic_cmpswap_x2 v[6:7], v[16:17], v[6:9], off glc
	s_waitcnt vmcnt(0)
	v_cmp_eq_u64_e32 vcc, v[6:7], v[8:9]
	s_or_b64 s[10:11], vcc, s[10:11]
	v_pk_mov_b32 v[8:9], v[6:7], v[6:7] op_sel:[0,1]
	s_andn2_b64 exec, exec, s[10:11]
	s_cbranch_execnz .LBB38_160
; %bb.161:                              ;   in Loop: Header=BB38_155 Depth=1
	s_or_b64 exec, exec, s[10:11]
	global_load_dwordx2 v[6:7], v[16:17], off offset:8
	v_add_f64 v[2:3], v[14:15], v[4:5]
	s_mov_b64 s[10:11], 0
.LBB38_162:                             ;   Parent Loop BB38_155 Depth=1
                                        ; =>  This Inner Loop Header: Depth=2
	s_waitcnt vmcnt(0)
	v_add_f64 v[4:5], v[6:7], v[2:3]
	global_atomic_cmpswap_x2 v[4:5], v[16:17], v[4:7], off offset:8 glc
	s_waitcnt vmcnt(0)
	v_cmp_eq_u64_e32 vcc, v[4:5], v[6:7]
	s_or_b64 s[10:11], vcc, s[10:11]
	v_pk_mov_b32 v[6:7], v[4:5], v[4:5] op_sel:[0,1]
	s_andn2_b64 exec, exec, s[10:11]
	s_cbranch_execnz .LBB38_162
; %bb.163:                              ;   in Loop: Header=BB38_155 Depth=1
	s_or_b64 exec, exec, s[10:11]
	v_add_co_u32_e32 v12, vcc, s16, v12
	v_addc_co_u32_e32 v13, vcc, v13, v20, vcc
	v_cmp_le_i64_e32 vcc, s[30:31], v[12:13]
	s_or_b64 s[8:9], vcc, s[8:9]
	s_andn2_b64 exec, exec, s[8:9]
	s_cbranch_execnz .LBB38_155
.LBB38_164:
	s_or_b64 exec, exec, s[4:5]
	s_mov_b64 s[4:5], 0
.LBB38_165:
	s_andn2_b64 vcc, exec, s[4:5]
	s_cbranch_vccnz .LBB38_196
; %bb.166:
	v_cvt_f32_u32_e32 v14, s22
	s_sub_i32 s10, 0, s22
	v_mov_b32_e32 v7, 0
	v_mov_b32_e32 v4, s15
	v_rcp_iflag_f32_e32 v2, v14
	v_mov_b32_e32 v12, s13
	v_mul_f32_e32 v2, 0x4f7ffffe, v2
	v_cvt_u32_f32_e32 v2, v2
	v_mul_lo_u32 v3, s10, v2
	v_mul_hi_u32 v3, v2, v3
	v_add_u32_e32 v2, v2, v3
	v_mul_hi_u32 v2, v0, v2
	v_mul_lo_u32 v3, v2, s22
	v_sub_u32_e32 v3, v0, v3
	v_add_u32_e32 v5, 1, v2
	v_cmp_le_u32_e32 vcc, s22, v3
	v_cndmask_b32_e32 v2, v2, v5, vcc
	v_subrev_u32_e32 v5, s22, v3
	v_cndmask_b32_e32 v3, v3, v5, vcc
	v_add_u32_e32 v5, 1, v2
	v_cmp_le_u32_e32 vcc, s22, v3
	v_cndmask_b32_e32 v6, v2, v5, vcc
	v_lshlrev_b64 v[2:3], 3, v[6:7]
	v_add_co_u32_e32 v2, vcc, s14, v2
	v_addc_co_u32_e32 v3, vcc, v4, v3, vcc
	global_load_dwordx4 v[2:5], v[2:3], off
	s_waitcnt vmcnt(0)
	v_subrev_co_u32_e32 v8, vcc, s12, v2
	v_subb_co_u32_e32 v9, vcc, v3, v12, vcc
	v_subrev_co_u32_e32 v20, vcc, s12, v4
	v_subb_co_u32_e32 v21, vcc, v5, v12, vcc
	v_sub_co_u32_e32 v3, vcc, v20, v8
	v_subb_co_u32_e32 v5, vcc, v21, v9, vcc
	v_mov_b32_e32 v4, v7
	v_cmp_ne_u64_e32 vcc, 0, v[4:5]
                                        ; implicit-def: $vgpr12_vgpr13
	s_and_saveexec_b64 s[4:5], vcc
	s_xor_b64 s[8:9], exec, s[4:5]
	s_cbranch_execz .LBB38_168
; %bb.167:
	v_cvt_f32_ubyte0_e32 v4, 0
	v_madmk_f32 v4, v4, 0x4f800000, v14
	v_rcp_f32_e32 v4, v4
	s_sub_u32 s4, 0, s22
	s_subb_u32 s5, 0, 0
	v_mul_f32_e32 v4, 0x5f7ffffc, v4
	v_mul_f32_e32 v12, 0x2f800000, v4
	v_trunc_f32_e32 v12, v12
	v_madmk_f32 v4, v12, 0xcf800000, v4
	v_cvt_u32_f32_e32 v12, v12
	v_cvt_u32_f32_e32 v4, v4
	v_mul_lo_u32 v13, s4, v12
	v_mul_hi_u32 v15, s4, v4
	v_mul_lo_u32 v14, s5, v4
	v_add_u32_e32 v13, v15, v13
	v_add_u32_e32 v13, v13, v14
	v_mul_lo_u32 v16, s4, v4
	v_mul_lo_u32 v15, v4, v13
	v_mul_hi_u32 v17, v4, v16
	v_mul_hi_u32 v14, v4, v13
	v_add_co_u32_e32 v15, vcc, v17, v15
	v_addc_co_u32_e32 v14, vcc, 0, v14, vcc
	v_mul_hi_u32 v18, v12, v16
	v_mul_lo_u32 v16, v12, v16
	v_add_co_u32_e32 v15, vcc, v15, v16
	v_mul_hi_u32 v17, v12, v13
	v_addc_co_u32_e32 v14, vcc, v14, v18, vcc
	v_addc_co_u32_e32 v15, vcc, 0, v17, vcc
	v_mul_lo_u32 v13, v12, v13
	v_add_co_u32_e32 v13, vcc, v14, v13
	v_addc_co_u32_e32 v14, vcc, 0, v15, vcc
	v_add_co_u32_e32 v4, vcc, v4, v13
	v_addc_co_u32_e32 v12, vcc, v12, v14, vcc
	v_mul_lo_u32 v13, s4, v12
	v_mul_hi_u32 v14, s4, v4
	v_add_u32_e32 v13, v14, v13
	v_mul_lo_u32 v14, s5, v4
	v_add_u32_e32 v13, v13, v14
	v_mul_lo_u32 v15, s4, v4
	v_mul_hi_u32 v16, v12, v15
	v_mul_lo_u32 v17, v12, v15
	v_mul_lo_u32 v19, v4, v13
	v_mul_hi_u32 v15, v4, v15
	v_mul_hi_u32 v18, v4, v13
	v_add_co_u32_e32 v15, vcc, v15, v19
	v_addc_co_u32_e32 v18, vcc, 0, v18, vcc
	v_add_co_u32_e32 v15, vcc, v15, v17
	v_mul_hi_u32 v14, v12, v13
	v_addc_co_u32_e32 v15, vcc, v18, v16, vcc
	v_addc_co_u32_e32 v14, vcc, 0, v14, vcc
	v_mul_lo_u32 v13, v12, v13
	v_add_co_u32_e32 v13, vcc, v15, v13
	v_addc_co_u32_e32 v14, vcc, 0, v14, vcc
	v_add_co_u32_e32 v13, vcc, v4, v13
	v_addc_co_u32_e32 v12, vcc, v12, v14, vcc
	v_ashrrev_i32_e32 v14, 31, v5
	v_add_co_u32_e32 v3, vcc, v3, v14
	v_addc_co_u32_e32 v4, vcc, v5, v14, vcc
	v_xor_b32_e32 v3, v3, v14
	v_xor_b32_e32 v15, v4, v14
	v_mad_u64_u32 v[4:5], s[4:5], v3, v12, 0
	v_mul_hi_u32 v16, v3, v13
	v_add_co_u32_e32 v16, vcc, v16, v4
	v_addc_co_u32_e32 v17, vcc, 0, v5, vcc
	v_mad_u64_u32 v[4:5], s[4:5], v15, v12, 0
	v_mad_u64_u32 v[12:13], s[4:5], v15, v13, 0
	v_add_co_u32_e32 v12, vcc, v16, v12
	v_addc_co_u32_e32 v12, vcc, v17, v13, vcc
	v_addc_co_u32_e32 v5, vcc, 0, v5, vcc
	v_add_co_u32_e32 v16, vcc, v12, v4
	v_addc_co_u32_e32 v17, vcc, 0, v5, vcc
	v_mad_u64_u32 v[4:5], s[4:5], s22, v16, 0
	v_mov_b32_e32 v12, v5
	v_mad_u64_u32 v[12:13], s[4:5], s22, v17, v[12:13]
	v_sub_co_u32_e32 v3, vcc, v3, v4
	v_subb_co_u32_e32 v4, vcc, v15, v12, vcc
	v_subrev_co_u32_e32 v5, vcc, s22, v3
	v_subbrev_co_u32_e32 v12, vcc, 0, v4, vcc
	v_cmp_le_u32_e32 vcc, s22, v5
	v_cndmask_b32_e64 v5, 0, -1, vcc
	v_cmp_eq_u32_e32 vcc, 0, v12
	v_cndmask_b32_e32 v5, -1, v5, vcc
	v_add_co_u32_e32 v12, vcc, 2, v16
	v_addc_co_u32_e32 v13, vcc, 0, v17, vcc
	v_add_co_u32_e32 v15, vcc, 1, v16
	v_cmp_le_u32_e64 s[4:5], s22, v3
	v_addc_co_u32_e32 v18, vcc, 0, v17, vcc
	v_cndmask_b32_e64 v3, 0, -1, s[4:5]
	v_cmp_eq_u32_e64 s[4:5], 0, v4
	v_cmp_ne_u32_e32 vcc, 0, v5
	v_cndmask_b32_e64 v3, -1, v3, s[4:5]
	v_cmp_ne_u32_e64 s[4:5], 0, v3
	v_cndmask_b32_e32 v4, v15, v12, vcc
	v_cndmask_b32_e32 v5, v18, v13, vcc
	v_cndmask_b32_e64 v4, v16, v4, s[4:5]
	v_cndmask_b32_e64 v3, v17, v5, s[4:5]
	v_xor_b32_e32 v4, v4, v14
	v_xor_b32_e32 v3, v3, v14
	v_sub_co_u32_e32 v12, vcc, v4, v14
	v_subb_co_u32_e32 v13, vcc, v3, v14, vcc
                                        ; implicit-def: $vgpr3
.LBB38_168:
	s_andn2_saveexec_b64 s[4:5], s[8:9]
	s_cbranch_execz .LBB38_170
; %bb.169:
	v_cvt_f32_u32_e32 v4, s22
	v_mov_b32_e32 v13, 0
	v_rcp_iflag_f32_e32 v4, v4
	v_mul_f32_e32 v4, 0x4f7ffffe, v4
	v_cvt_u32_f32_e32 v4, v4
	v_mul_lo_u32 v5, s10, v4
	v_mul_hi_u32 v5, v4, v5
	v_add_u32_e32 v4, v4, v5
	v_mul_hi_u32 v4, v3, v4
	v_mul_lo_u32 v5, v4, s22
	v_sub_u32_e32 v3, v3, v5
	v_add_u32_e32 v12, 1, v4
	v_subrev_u32_e32 v5, s22, v3
	v_cmp_le_u32_e32 vcc, s22, v3
	v_cndmask_b32_e32 v3, v3, v5, vcc
	v_cndmask_b32_e32 v4, v4, v12, vcc
	v_add_u32_e32 v5, 1, v4
	v_cmp_le_u32_e32 vcc, s22, v3
	v_cndmask_b32_e32 v12, v4, v5, vcc
.LBB38_170:
	s_or_b64 exec, exec, s[4:5]
	v_cmp_gt_i64_e32 vcc, s[36:37], v[6:7]
	v_pk_mov_b32 v[6:7], 0, 0
	v_pk_mov_b32 v[4:5], v[6:7], v[6:7] op_sel:[0,1]
	s_and_saveexec_b64 s[4:5], vcc
	s_cbranch_execz .LBB38_184
; %bb.171:
	s_add_i32 s8, s22, -1
	v_pk_mov_b32 v[6:7], 0, 0
	v_and_b32_e32 v14, s8, v0
	v_cmp_lt_i64_e32 vcc, 0, v[12:13]
	v_pk_mov_b32 v[4:5], v[6:7], v[6:7] op_sel:[0,1]
	s_and_saveexec_b64 s[8:9], vcc
	s_cbranch_execz .LBB38_181
; %bb.172:
	v_pk_mov_b32 v[4:5], 0, 0
	v_cmp_lt_u64_e32 vcc, 3, v[12:13]
	v_pk_mov_b32 v[16:17], 0, 0
	v_pk_mov_b32 v[6:7], v[4:5], v[4:5] op_sel:[0,1]
	s_and_saveexec_b64 s[10:11], vcc
	s_cbranch_execz .LBB38_176
; %bb.173:
	v_add_u32_e32 v3, v14, v2
	v_subrev_u32_e32 v3, s12, v3
	v_pk_mov_b32 v[6:7], 0, 0
	v_and_b32_e32 v17, 0x7fffffff, v13
	v_and_b32_e32 v16, -4, v12
	v_lshlrev_b32_e32 v3, 4, v3
	s_lshl_b32 s13, s22, 6
	s_lshl_b32 s18, s22, 4
	s_mov_b64 s[14:15], 0
	s_mov_b64 s[16:17], 0
	v_pk_mov_b32 v[4:5], v[6:7], v[6:7] op_sel:[0,1]
.LBB38_174:                             ; =>This Inner Loop Header: Depth=1
	ds_read_b128 v[22:25], v3
	v_add_u32_e32 v15, s18, v3
	v_add_u32_e32 v18, s18, v15
	ds_read_b128 v[28:31], v15
	ds_read_b128 v[32:35], v18
	v_add_u32_e32 v15, s18, v18
	ds_read_b128 v[36:39], v15
	s_add_u32 s16, s16, 4
	s_waitcnt lgkmcnt(3)
	v_add_f64 v[4:5], v[4:5], v[22:23]
	v_add_f64 v[6:7], v[6:7], v[24:25]
	s_addc_u32 s17, s17, 0
	s_waitcnt lgkmcnt(2)
	v_add_f64 v[4:5], v[4:5], v[28:29]
	v_add_f64 v[6:7], v[6:7], v[30:31]
	v_cmp_eq_u64_e32 vcc, s[16:17], v[16:17]
	s_waitcnt lgkmcnt(1)
	v_add_f64 v[4:5], v[4:5], v[32:33]
	v_add_f64 v[6:7], v[6:7], v[34:35]
	v_add_u32_e32 v3, s13, v3
	s_or_b64 s[14:15], vcc, s[14:15]
	s_waitcnt lgkmcnt(0)
	v_add_f64 v[4:5], v[4:5], v[36:37]
	v_add_f64 v[6:7], v[6:7], v[38:39]
	s_andn2_b64 exec, exec, s[14:15]
	s_cbranch_execnz .LBB38_174
; %bb.175:
	s_or_b64 exec, exec, s[14:15]
.LBB38_176:
	s_or_b64 exec, exec, s[10:11]
	v_and_b32_e32 v18, 3, v12
	v_mov_b32_e32 v19, 0
	s_mov_b64 s[14:15], 0
	v_cmp_ne_u64_e32 vcc, 0, v[18:19]
	s_and_saveexec_b64 s[10:11], vcc
	s_cbranch_execz .LBB38_180
; %bb.177:
	v_mul_lo_u32 v3, s22, v16
	v_add3_u32 v2, v14, v3, v2
	v_subrev_u32_e32 v2, s12, v2
	v_lshlrev_b32_e32 v2, 4, v2
	s_lshl_b32 s12, s22, 4
.LBB38_178:                             ; =>This Inner Loop Header: Depth=1
	ds_read_b128 v[22:25], v2
	v_add_co_u32_e32 v18, vcc, -1, v18
	v_addc_co_u32_e32 v19, vcc, -1, v19, vcc
	v_cmp_eq_u64_e32 vcc, 0, v[18:19]
	v_add_u32_e32 v2, s12, v2
	s_or_b64 s[14:15], vcc, s[14:15]
	s_waitcnt lgkmcnt(0)
	v_add_f64 v[4:5], v[4:5], v[22:23]
	v_add_f64 v[6:7], v[6:7], v[24:25]
	s_andn2_b64 exec, exec, s[14:15]
	s_cbranch_execnz .LBB38_178
; %bb.179:
	s_or_b64 exec, exec, s[14:15]
.LBB38_180:
	s_or_b64 exec, exec, s[10:11]
.LBB38_181:
	s_or_b64 exec, exec, s[8:9]
	v_mad_u64_u32 v[2:3], s[8:9], v12, s22, v[8:9]
	v_mov_b32_e32 v8, v3
	v_mad_u64_u32 v[8:9], s[8:9], v13, s22, v[8:9]
	v_mov_b32_e32 v3, v8
	v_sub_co_u32_e32 v8, vcc, v20, v2
	v_mov_b32_e32 v15, 0
	v_subb_co_u32_e32 v9, vcc, v21, v3, vcc
	v_cmp_gt_i64_e32 vcc, v[8:9], v[14:15]
	s_and_saveexec_b64 s[8:9], vcc
	s_cbranch_execz .LBB38_183
; %bb.182:
	v_add_lshl_u32 v2, v14, v2, 4
	ds_read_b128 v[12:15], v2
	s_waitcnt lgkmcnt(0)
	v_add_f64 v[4:5], v[4:5], v[12:13]
	v_add_f64 v[6:7], v[6:7], v[14:15]
.LBB38_183:
	s_or_b64 exec, exec, s[8:9]
.LBB38_184:
	s_or_b64 exec, exec, s[4:5]
	v_cmp_gt_i64_e32 vcc, s[36:37], v[0:1]
	s_barrier
	ds_write_b128 v26, v[4:7]
	s_waitcnt lgkmcnt(0)
	s_barrier
	s_and_b64 exec, exec, vcc
	s_cbranch_execz .LBB38_196
; %bb.185:
	v_mul_lo_u32 v1, s22, v0
	s_cmp_lt_u32 s22, 8
	v_pk_mov_b32 v[4:5], 0, 0
	s_cbranch_scc1 .LBB38_188
; %bb.186:
	v_pk_mov_b32 v[8:9], 0, 0
	s_and_b32 s4, s22, 0x7ffffff8
	v_lshlrev_b32_e32 v2, 4, v1
	s_mov_b32 s5, 0
	v_pk_mov_b32 v[4:5], v[8:9], v[8:9] op_sel:[0,1]
.LBB38_187:                             ; =>This Inner Loop Header: Depth=1
	ds_read_b128 v[12:15], v2
	ds_read_b128 v[16:19], v2 offset:16
	ds_read_b128 v[20:23], v2 offset:32
	;; [unrolled: 1-line block ×7, first 2 shown]
	s_waitcnt lgkmcnt(7)
	v_add_f64 v[4:5], v[4:5], v[12:13]
	v_add_f64 v[6:7], v[8:9], v[14:15]
	s_waitcnt lgkmcnt(6)
	v_add_f64 v[4:5], v[4:5], v[16:17]
	v_add_f64 v[6:7], v[6:7], v[18:19]
	;; [unrolled: 3-line block ×6, first 2 shown]
	s_add_i32 s5, s5, 8
	s_waitcnt lgkmcnt(1)
	v_add_f64 v[4:5], v[4:5], v[36:37]
	v_add_f64 v[6:7], v[6:7], v[38:39]
	v_add_u32_e32 v2, 0x80, v2
	s_cmp_eq_u32 s4, s5
	s_waitcnt lgkmcnt(0)
	v_add_f64 v[4:5], v[4:5], v[40:41]
	v_add_f64 v[8:9], v[6:7], v[42:43]
	s_cbranch_scc0 .LBB38_187
	s_branch .LBB38_189
.LBB38_188:
	s_mov_b32 s4, 0
	v_pk_mov_b32 v[8:9], v[4:5], v[4:5] op_sel:[0,1]
.LBB38_189:
	s_bfe_u32 s5, s7, 0x30001
	s_cmp_eq_u32 s5, 0
	s_cbranch_scc1 .LBB38_192
; %bb.190:
	v_add_lshl_u32 v1, s4, v1, 4
.LBB38_191:                             ; =>This Inner Loop Header: Depth=1
	ds_read_b128 v[12:15], v1
	s_add_i32 s5, s5, -1
	v_add_u32_e32 v1, 16, v1
	s_cmp_lg_u32 s5, 0
	s_waitcnt lgkmcnt(0)
	v_add_f64 v[4:5], v[4:5], v[12:13]
	v_add_f64 v[8:9], v[8:9], v[14:15]
	s_cbranch_scc1 .LBB38_191
.LBB38_192:
	v_lshlrev_b64 v[2:3], 4, v[10:11]
	v_mov_b32_e32 v1, s35
	v_add_co_u32_e32 v10, vcc, s34, v2
	v_addc_co_u32_e32 v11, vcc, v1, v3, vcc
	global_load_dwordx2 v[6:7], v[10:11], off
	s_lshl_b32 s4, s6, 4
	s_addk_i32 s4, 0x4000
	v_lshl_add_u32 v0, v0, 4, s4
	ds_read2_b64 v[0:3], v0 offset1:1
	s_mov_b64 s[4:5], 0
	s_waitcnt lgkmcnt(0)
	v_add_f64 v[0:1], v[4:5], v[0:1]
.LBB38_193:                             ; =>This Inner Loop Header: Depth=1
	s_waitcnt vmcnt(0)
	v_add_f64 v[4:5], v[6:7], v[0:1]
	global_atomic_cmpswap_x2 v[4:5], v[10:11], v[4:7], off glc
	s_waitcnt vmcnt(0)
	v_cmp_eq_u64_e32 vcc, v[4:5], v[6:7]
	s_or_b64 s[4:5], vcc, s[4:5]
	v_pk_mov_b32 v[6:7], v[4:5], v[4:5] op_sel:[0,1]
	s_andn2_b64 exec, exec, s[4:5]
	s_cbranch_execnz .LBB38_193
; %bb.194:
	s_or_b64 exec, exec, s[4:5]
	global_load_dwordx2 v[4:5], v[10:11], off offset:8
	v_add_f64 v[0:1], v[8:9], v[2:3]
	s_mov_b64 s[4:5], 0
.LBB38_195:                             ; =>This Inner Loop Header: Depth=1
	s_waitcnt vmcnt(0)
	v_add_f64 v[2:3], v[4:5], v[0:1]
	global_atomic_cmpswap_x2 v[2:3], v[10:11], v[2:5], off offset:8 glc
	s_waitcnt vmcnt(0)
	v_cmp_eq_u64_e32 vcc, v[2:3], v[4:5]
	s_or_b64 s[4:5], vcc, s[4:5]
	v_pk_mov_b32 v[4:5], v[2:3], v[2:3] op_sel:[0,1]
	s_andn2_b64 exec, exec, s[4:5]
	s_cbranch_execnz .LBB38_195
.LBB38_196:
	s_endpgm
	.section	.rodata,"a",@progbits
	.p2align	6, 0x0
	.amdhsa_kernel _ZN9rocsparseL27csrmvn_symm_adaptive_kernelIli21rocsparse_complex_numIdES2_S2_S2_EEvbT_S3_PKS3_NS_24const_host_device_scalarIT4_EES5_PKT0_PKT1_PKT2_S8_PT3_21rocsparse_index_base_b
		.amdhsa_group_segment_fixed_size 16384
		.amdhsa_private_segment_fixed_size 24
		.amdhsa_kernarg_size 368
		.amdhsa_user_sgpr_count 8
		.amdhsa_user_sgpr_private_segment_buffer 1
		.amdhsa_user_sgpr_dispatch_ptr 0
		.amdhsa_user_sgpr_queue_ptr 0
		.amdhsa_user_sgpr_kernarg_segment_ptr 1
		.amdhsa_user_sgpr_dispatch_id 0
		.amdhsa_user_sgpr_flat_scratch_init 1
		.amdhsa_user_sgpr_kernarg_preload_length 0
		.amdhsa_user_sgpr_kernarg_preload_offset 0
		.amdhsa_user_sgpr_private_segment_size 0
		.amdhsa_uses_dynamic_stack 0
		.amdhsa_system_sgpr_private_segment_wavefront_offset 1
		.amdhsa_system_sgpr_workgroup_id_x 1
		.amdhsa_system_sgpr_workgroup_id_y 0
		.amdhsa_system_sgpr_workgroup_id_z 0
		.amdhsa_system_sgpr_workgroup_info 0
		.amdhsa_system_vgpr_workitem_id 0
		.amdhsa_next_free_vgpr 44
		.amdhsa_next_free_sgpr 58
		.amdhsa_accum_offset 44
		.amdhsa_reserve_vcc 1
		.amdhsa_reserve_flat_scratch 1
		.amdhsa_float_round_mode_32 0
		.amdhsa_float_round_mode_16_64 0
		.amdhsa_float_denorm_mode_32 3
		.amdhsa_float_denorm_mode_16_64 3
		.amdhsa_dx10_clamp 1
		.amdhsa_ieee_mode 1
		.amdhsa_fp16_overflow 0
		.amdhsa_tg_split 0
		.amdhsa_exception_fp_ieee_invalid_op 0
		.amdhsa_exception_fp_denorm_src 0
		.amdhsa_exception_fp_ieee_div_zero 0
		.amdhsa_exception_fp_ieee_overflow 0
		.amdhsa_exception_fp_ieee_underflow 0
		.amdhsa_exception_fp_ieee_inexact 0
		.amdhsa_exception_int_div_zero 0
	.end_amdhsa_kernel
	.section	.text._ZN9rocsparseL27csrmvn_symm_adaptive_kernelIli21rocsparse_complex_numIdES2_S2_S2_EEvbT_S3_PKS3_NS_24const_host_device_scalarIT4_EES5_PKT0_PKT1_PKT2_S8_PT3_21rocsparse_index_base_b,"axG",@progbits,_ZN9rocsparseL27csrmvn_symm_adaptive_kernelIli21rocsparse_complex_numIdES2_S2_S2_EEvbT_S3_PKS3_NS_24const_host_device_scalarIT4_EES5_PKT0_PKT1_PKT2_S8_PT3_21rocsparse_index_base_b,comdat
.Lfunc_end38:
	.size	_ZN9rocsparseL27csrmvn_symm_adaptive_kernelIli21rocsparse_complex_numIdES2_S2_S2_EEvbT_S3_PKS3_NS_24const_host_device_scalarIT4_EES5_PKT0_PKT1_PKT2_S8_PT3_21rocsparse_index_base_b, .Lfunc_end38-_ZN9rocsparseL27csrmvn_symm_adaptive_kernelIli21rocsparse_complex_numIdES2_S2_S2_EEvbT_S3_PKS3_NS_24const_host_device_scalarIT4_EES5_PKT0_PKT1_PKT2_S8_PT3_21rocsparse_index_base_b
                                        ; -- End function
	.section	.AMDGPU.csdata,"",@progbits
; Kernel info:
; codeLenInByte = 10424
; NumSgprs: 64
; NumVgprs: 44
; NumAgprs: 0
; TotalNumVgprs: 44
; ScratchSize: 24
; MemoryBound: 0
; FloatMode: 240
; IeeeMode: 1
; LDSByteSize: 16384 bytes/workgroup (compile time only)
; SGPRBlocks: 7
; VGPRBlocks: 5
; NumSGPRsForWavesPerEU: 64
; NumVGPRsForWavesPerEU: 44
; AccumOffset: 44
; Occupancy: 4
; WaveLimiterHint : 1
; COMPUTE_PGM_RSRC2:SCRATCH_EN: 1
; COMPUTE_PGM_RSRC2:USER_SGPR: 8
; COMPUTE_PGM_RSRC2:TRAP_HANDLER: 0
; COMPUTE_PGM_RSRC2:TGID_X_EN: 1
; COMPUTE_PGM_RSRC2:TGID_Y_EN: 0
; COMPUTE_PGM_RSRC2:TGID_Z_EN: 0
; COMPUTE_PGM_RSRC2:TIDIG_COMP_CNT: 0
; COMPUTE_PGM_RSRC3_GFX90A:ACCUM_OFFSET: 10
; COMPUTE_PGM_RSRC3_GFX90A:TG_SPLIT: 0
	.section	.text._ZL33csrmvn_symm_large_adaptive_kernelIli21rocsparse_complex_numIdES1_S1_S1_EvbT_PKS2_N9rocsparse24const_host_device_scalarIT4_EES4_PKT0_PKT1_PKT2_S8_PT3_21rocsparse_index_base_b,"axG",@progbits,_ZL33csrmvn_symm_large_adaptive_kernelIli21rocsparse_complex_numIdES1_S1_S1_EvbT_PKS2_N9rocsparse24const_host_device_scalarIT4_EES4_PKT0_PKT1_PKT2_S8_PT3_21rocsparse_index_base_b,comdat
	.globl	_ZL33csrmvn_symm_large_adaptive_kernelIli21rocsparse_complex_numIdES1_S1_S1_EvbT_PKS2_N9rocsparse24const_host_device_scalarIT4_EES4_PKT0_PKT1_PKT2_S8_PT3_21rocsparse_index_base_b ; -- Begin function _ZL33csrmvn_symm_large_adaptive_kernelIli21rocsparse_complex_numIdES1_S1_S1_EvbT_PKS2_N9rocsparse24const_host_device_scalarIT4_EES4_PKT0_PKT1_PKT2_S8_PT3_21rocsparse_index_base_b
	.p2align	8
	.type	_ZL33csrmvn_symm_large_adaptive_kernelIli21rocsparse_complex_numIdES1_S1_S1_EvbT_PKS2_N9rocsparse24const_host_device_scalarIT4_EES4_PKT0_PKT1_PKT2_S8_PT3_21rocsparse_index_base_b,@function
_ZL33csrmvn_symm_large_adaptive_kernelIli21rocsparse_complex_numIdES1_S1_S1_EvbT_PKS2_N9rocsparse24const_host_device_scalarIT4_EES4_PKT0_PKT1_PKT2_S8_PT3_21rocsparse_index_base_b: ; @_ZL33csrmvn_symm_large_adaptive_kernelIli21rocsparse_complex_numIdES1_S1_S1_EvbT_PKS2_N9rocsparse24const_host_device_scalarIT4_EES4_PKT0_PKT1_PKT2_S8_PT3_21rocsparse_index_base_b
; %bb.0:
	s_add_u32 flat_scratch_lo, s6, s9
	s_addc_u32 flat_scratch_hi, s7, 0
	s_load_dwordx2 s[34:35], s[4:5], 0x60
	s_load_dwordx4 s[16:19], s[4:5], 0x18
	s_load_dwordx4 s[12:15], s[4:5], 0x48
	s_add_u32 s0, s0, s9
	s_addc_u32 s1, s1, 0
	s_waitcnt lgkmcnt(0)
	s_bitcmp1_b32 s35, 0
	v_mov_b32_e32 v1, 0
	v_mov_b32_e32 v3, s16
	s_cselect_b64 s[6:7], -1, 0
	v_cndmask_b32_e64 v2, v3, v1, s[6:7]
	v_mov_b32_e32 v1, s17
	s_mov_b64 s[10:11], src_private_base
	s_and_b64 vcc, s[6:7], exec
	buffer_store_dword v1, off, s[0:3], 0 offset:4
	buffer_store_dword v3, off, s[0:3], 0
	v_mov_b32_e32 v1, s13
	s_cselect_b32 s9, s11, s17
	buffer_store_dword v1, off, s[0:3], 0 offset:12
	v_mov_b32_e32 v1, s12
	buffer_store_dword v1, off, s[0:3], 0 offset:8
	v_mov_b32_e32 v3, s9
	flat_load_dwordx2 v[8:9], v[2:3]
	s_xor_b64 s[20:21], s[6:7], -1
	v_pk_mov_b32 v[10:11], s[18:19], s[18:19] op_sel:[0,1]
	s_cbranch_vccnz .LBB39_2
; %bb.1:
	v_pk_mov_b32 v[2:3], s[16:17], s[16:17] op_sel:[0,1]
	flat_load_dwordx2 v[10:11], v[2:3] offset:8
.LBB39_2:
	s_and_b64 s[16:17], s[6:7], exec
	s_cselect_b32 s9, s11, s13
	v_mov_b32_e32 v1, 8
	v_mov_b32_e32 v2, s12
	v_cndmask_b32_e64 v2, v2, v1, s[6:7]
	v_mov_b32_e32 v3, s9
	flat_load_dwordx2 v[2:3], v[2:3]
	s_andn2_b64 vcc, exec, s[20:21]
	v_pk_mov_b32 v[4:5], s[14:15], s[14:15] op_sel:[0,1]
	s_cbranch_vccnz .LBB39_4
; %bb.3:
	v_pk_mov_b32 v[4:5], s[12:13], s[12:13] op_sel:[0,1]
	flat_load_dwordx2 v[4:5], v[4:5] offset:8
.LBB39_4:
	s_waitcnt vmcnt(0) lgkmcnt(0)
	v_cmp_eq_f64_e32 vcc, 0, v[8:9]
	v_cmp_eq_f64_e64 s[6:7], 0, v[10:11]
	s_and_b64 s[12:13], vcc, s[6:7]
	s_mov_b64 s[6:7], -1
	s_and_saveexec_b64 s[10:11], s[12:13]
; %bb.5:
	v_cmp_neq_f64_e32 vcc, 1.0, v[2:3]
	v_cmp_neq_f64_e64 s[6:7], 0, v[4:5]
	s_or_b64 s[6:7], vcc, s[6:7]
	s_orn2_b64 s[6:7], s[6:7], exec
; %bb.6:
	s_or_b64 exec, exec, s[10:11]
	s_and_saveexec_b64 s[10:11], s[6:7]
	s_cbranch_execz .LBB39_51
; %bb.7:
	s_load_dword s9, s[4:5], 0x0
	s_load_dwordx2 s[6:7], s[4:5], 0x10
	s_mov_b32 s12, 0
	s_mov_b32 s13, s12
	;; [unrolled: 1-line block ×3, first 2 shown]
	s_waitcnt lgkmcnt(0)
	s_bitcmp1_b32 s9, 0
	s_cselect_b64 s[16:17], -1, 0
	s_ashr_i32 s9, s8, 31
	s_lshl_b64 s[8:9], s[8:9], 3
	s_mov_b32 s15, s12
	v_pk_mov_b32 v[2:3], s[12:13], s[12:13] op_sel:[0,1]
	s_add_u32 s6, s6, s8
	v_lshlrev_b32_e32 v14, 4, v0
	v_pk_mov_b32 v[4:5], s[14:15], s[14:15] op_sel:[0,1]
	s_addc_u32 s7, s7, s9
	ds_write_b128 v14, v[2:5]
	ds_write_b128 v14, v[2:5] offset:4096
	ds_write_b128 v14, v[2:5] offset:8192
	;; [unrolled: 1-line block ×3, first 2 shown]
	s_waitcnt lgkmcnt(0)
	s_barrier
	s_load_dwordx4 s[28:31], s[6:7], 0x0
	s_load_dwordx2 s[18:19], s[4:5], 0x58
	s_load_dwordx8 s[20:27], s[4:5], 0x28
	v_subrev_co_u32_e64 v15, s[4:5], s34, v0
	s_waitcnt lgkmcnt(0)
	v_pk_mov_b32 v[2:3], s[30:31], s[30:31] op_sel:[0,1]
	v_cmp_lt_i64_e32 vcc, s[28:29], v[2:3]
	s_mov_b32 s33, s12
	v_subb_co_u32_e64 v16, s[4:5], 0, 0, s[4:5]
	s_cbranch_vccnz .LBB39_9
; %bb.8:
	s_lshl_b64 s[4:5], s[28:29], 3
	s_add_u32 s4, s20, s4
	s_addc_u32 s5, s21, s5
	s_load_dwordx2 s[36:37], s[4:5], 0x0
	s_cbranch_execz .LBB39_10
	s_branch .LBB39_39
.LBB39_9:
                                        ; implicit-def: $sgpr36_sgpr37
.LBB39_10:
	s_lshl_b64 s[4:5], s[28:29], 3
	s_add_u32 s4, s20, s4
	s_addc_u32 s5, s21, s5
	s_waitcnt lgkmcnt(0)
	s_load_dwordx2 s[36:37], s[4:5], 0x0
	s_add_u32 s48, s20, 8
	s_addc_u32 s49, s21, 0
	s_movk_i32 s35, 0x100
	s_add_u32 s50, s24, 8
	v_cmp_gt_u32_e64 s[6:7], s35, v0
	v_cmp_gt_u32_e64 s[8:9], 64, v0
	;; [unrolled: 1-line block ×4, first 2 shown]
	v_cmp_eq_u32_e64 s[14:15], 0, v0
	s_addc_u32 s51, s25, 0
	v_mov_b32_e32 v17, s27
	v_mov_b32_e32 v18, 0
	s_waitcnt lgkmcnt(0)
	s_mov_b64 s[40:41], s[36:37]
	s_mov_b64 s[38:39], s[28:29]
	s_branch .LBB39_12
.LBB39_11:                              ;   in Loop: Header=BB39_12 Depth=1
	s_or_b64 exec, exec, s[4:5]
	s_add_u32 s38, s38, 1
	s_addc_u32 s39, s39, 0
	v_pk_mov_b32 v[0:1], s[30:31], s[30:31] op_sel:[0,1]
	v_cmp_ge_i64_e32 vcc, s[38:39], v[0:1]
	s_cbranch_vccnz .LBB39_39
.LBB39_12:                              ; =>This Loop Header: Depth=1
                                        ;     Child Loop BB39_14 Depth 2
                                        ;     Child Loop BB39_28 Depth 2
	;; [unrolled: 1-line block ×5, first 2 shown]
	s_mov_b64 s[4:5], s[40:41]
	s_lshl_b64 s[40:41], s[38:39], 3
	s_add_u32 s40, s48, s40
	s_addc_u32 s41, s49, s41
	s_load_dwordx2 s[40:41], s[40:41], 0x0
	v_mov_b32_e32 v0, s5
	v_add_co_u32_e32 v4, vcc, s4, v15
	v_addc_co_u32_e32 v5, vcc, v0, v16, vcc
	s_waitcnt lgkmcnt(0)
	s_sub_u32 s42, s40, s34
	s_subb_u32 s43, s41, 0
	v_pk_mov_b32 v[2:3], 0, 0
	v_cmp_gt_i64_e32 vcc, s[42:43], v[4:5]
	v_pk_mov_b32 v[0:1], v[2:3], v[2:3] op_sel:[0,1]
	s_and_saveexec_b64 s[44:45], vcc
	s_cbranch_execz .LBB39_16
; %bb.13:                               ;   in Loop: Header=BB39_12 Depth=1
	v_lshlrev_b64 v[0:1], 2, v[4:5]
	v_mov_b32_e32 v2, s23
	v_add_co_u32_e32 v6, vcc, s22, v0
	v_addc_co_u32_e32 v7, vcc, v2, v1, vcc
	v_lshlrev_b64 v[0:1], 4, v[4:5]
	v_mov_b32_e32 v2, s51
	v_add_co_u32_e32 v12, vcc, s50, v0
	v_addc_co_u32_e32 v13, vcc, v2, v1, vcc
	v_pk_mov_b32 v[2:3], 0, 0
	s_mov_b64 s[46:47], 0
	v_pk_mov_b32 v[0:1], v[2:3], v[2:3] op_sel:[0,1]
.LBB39_14:                              ;   Parent Loop BB39_12 Depth=1
                                        ; =>  This Inner Loop Header: Depth=2
	global_load_dword v19, v[6:7], off
	global_load_dwordx4 v[20:23], v[12:13], off offset:-8
	s_waitcnt vmcnt(1)
	v_subrev_u32_e32 v24, s34, v19
	v_ashrrev_i32_e32 v25, 31, v24
	v_lshlrev_b64 v[24:25], 4, v[24:25]
	v_add_co_u32_e32 v24, vcc, s26, v24
	v_addc_co_u32_e32 v25, vcc, v17, v25, vcc
	global_load_dwordx4 v[24:27], v[24:25], off
	v_add_co_u32_e32 v4, vcc, s35, v4
	v_addc_co_u32_e32 v5, vcc, 0, v5, vcc
	v_add_co_u32_e32 v6, vcc, 0x400, v6
	s_waitcnt vmcnt(1)
	v_xor_b32_e32 v19, 0x80000000, v23
	v_addc_co_u32_e32 v7, vcc, 0, v7, vcc
	v_cndmask_b32_e64 v23, v23, v19, s[16:17]
	v_add_co_u32_e32 v12, vcc, 0x1000, v12
	v_cmp_le_i64_e64 s[4:5], s[42:43], v[4:5]
	v_addc_co_u32_e32 v13, vcc, 0, v13, vcc
	s_or_b64 s[46:47], s[4:5], s[46:47]
	s_waitcnt vmcnt(0)
	v_fmac_f64_e32 v[0:1], v[20:21], v[24:25]
	v_fmac_f64_e32 v[2:3], v[22:23], v[24:25]
	v_fma_f64 v[0:1], -v[22:23], v[26:27], v[0:1]
	v_fmac_f64_e32 v[2:3], v[20:21], v[26:27]
	s_andn2_b64 exec, exec, s[46:47]
	s_cbranch_execnz .LBB39_14
; %bb.15:                               ;   in Loop: Header=BB39_12 Depth=1
	s_or_b64 exec, exec, s[46:47]
.LBB39_16:                              ;   in Loop: Header=BB39_12 Depth=1
	s_or_b64 exec, exec, s[44:45]
	ds_write_b128 v14, v[0:3]
	s_waitcnt lgkmcnt(0)
	s_barrier
	s_and_saveexec_b64 s[4:5], s[6:7]
	s_cbranch_execz .LBB39_18
; %bb.17:                               ;   in Loop: Header=BB39_12 Depth=1
	ds_read_b128 v[0:3], v14 offset:4096
	ds_read_b128 v[4:7], v14 offset:8192
	ds_read_b128 v[20:23], v14 offset:12288
	ds_read_b128 v[24:27], v14
	s_waitcnt lgkmcnt(2)
	v_add_f64 v[0:1], v[4:5], v[0:1]
	v_add_f64 v[2:3], v[6:7], v[2:3]
	s_waitcnt lgkmcnt(1)
	v_add_f64 v[0:1], v[0:1], v[20:21]
	v_add_f64 v[2:3], v[2:3], v[22:23]
	s_waitcnt lgkmcnt(0)
	v_add_f64 v[0:1], v[0:1], v[24:25]
	v_add_f64 v[2:3], v[2:3], v[26:27]
	ds_write_b128 v14, v[0:3]
.LBB39_18:                              ;   in Loop: Header=BB39_12 Depth=1
	s_or_b64 exec, exec, s[4:5]
	s_waitcnt lgkmcnt(0)
	s_barrier
	s_and_saveexec_b64 s[4:5], s[8:9]
	s_cbranch_execz .LBB39_20
; %bb.19:                               ;   in Loop: Header=BB39_12 Depth=1
	ds_read_b128 v[0:3], v14 offset:1024
	ds_read_b128 v[4:7], v14 offset:2048
	ds_read_b128 v[20:23], v14 offset:3072
	ds_read_b128 v[24:27], v14
	s_waitcnt lgkmcnt(2)
	v_add_f64 v[0:1], v[4:5], v[0:1]
	v_add_f64 v[2:3], v[6:7], v[2:3]
	s_waitcnt lgkmcnt(1)
	v_add_f64 v[0:1], v[0:1], v[20:21]
	v_add_f64 v[2:3], v[2:3], v[22:23]
	s_waitcnt lgkmcnt(0)
	v_add_f64 v[0:1], v[0:1], v[24:25]
	v_add_f64 v[2:3], v[2:3], v[26:27]
	ds_write_b128 v14, v[0:3]
.LBB39_20:                              ;   in Loop: Header=BB39_12 Depth=1
	s_or_b64 exec, exec, s[4:5]
	;; [unrolled: 21-line block ×5, first 2 shown]
	s_waitcnt lgkmcnt(0)
	s_barrier
	s_and_saveexec_b64 s[4:5], s[14:15]
	s_cbranch_execz .LBB39_11
; %bb.27:                               ;   in Loop: Header=BB39_12 Depth=1
	ds_read_b128 v[0:3], v18
	v_mov_b32_e32 v12, 0
	s_mov_b64 s[42:43], exec
	v_bfrev_b32_e32 v13, 1
	s_waitcnt lgkmcnt(0)
	v_mul_f64 v[4:5], v[2:3], -v[10:11]
	v_fmac_f64_e32 v[4:5], v[8:9], v[0:1]
.LBB39_28:                              ;   Parent Loop BB39_12 Depth=1
                                        ; =>  This Inner Loop Header: Depth=2
	s_ff1_i32_b64 s46, s[42:43]
	v_readlane_b32 s45, v5, s46
	v_readlane_b32 s44, v4, s46
	s_lshl_b64 s[46:47], 1, s46
	s_andn2_b64 s[42:43], s[42:43], s[46:47]
	s_cmp_lg_u64 s[42:43], 0
	v_add_f64 v[12:13], v[12:13], s[44:45]
	s_cbranch_scc1 .LBB39_28
; %bb.29:                               ;   in Loop: Header=BB39_12 Depth=1
	s_lshl_b64 s[42:43], s[38:39], 4
	v_mbcnt_lo_u32_b32 v4, exec_lo, 0
	s_add_u32 s42, s18, s42
	v_mbcnt_hi_u32_b32 v4, exec_hi, v4
	s_addc_u32 s43, s19, s43
	v_cmp_eq_u32_e32 vcc, 0, v4
	s_and_saveexec_b64 s[44:45], vcc
	s_xor_b64 s[44:45], exec, s[44:45]
	s_cbranch_execz .LBB39_33
; %bb.30:                               ;   in Loop: Header=BB39_12 Depth=1
	global_load_dwordx2 v[6:7], v18, s[42:43]
	s_mov_b64 s[46:47], 0
.LBB39_31:                              ;   Parent Loop BB39_12 Depth=1
                                        ; =>  This Inner Loop Header: Depth=2
	s_waitcnt vmcnt(0)
	v_add_f64 v[4:5], v[6:7], v[12:13]
	global_atomic_cmpswap_x2 v[4:5], v18, v[4:7], s[42:43] glc
	s_waitcnt vmcnt(0)
	v_cmp_eq_u64_e32 vcc, v[4:5], v[6:7]
	s_or_b64 s[46:47], vcc, s[46:47]
	v_pk_mov_b32 v[6:7], v[4:5], v[4:5] op_sel:[0,1]
	s_andn2_b64 exec, exec, s[46:47]
	s_cbranch_execnz .LBB39_31
; %bb.32:                               ;   in Loop: Header=BB39_12 Depth=1
	s_or_b64 exec, exec, s[46:47]
.LBB39_33:                              ;   in Loop: Header=BB39_12 Depth=1
	s_or_b64 exec, exec, s[44:45]
	v_mul_f64 v[2:3], v[8:9], v[2:3]
	v_mov_b32_e32 v4, 0
	s_mov_b64 s[44:45], exec
	v_fmac_f64_e32 v[2:3], v[10:11], v[0:1]
	v_bfrev_b32_e32 v5, 1
.LBB39_34:                              ;   Parent Loop BB39_12 Depth=1
                                        ; =>  This Inner Loop Header: Depth=2
	s_ff1_i32_b64 s52, s[44:45]
	v_readlane_b32 s47, v3, s52
	v_readlane_b32 s46, v2, s52
	s_lshl_b64 s[52:53], 1, s52
	s_andn2_b64 s[44:45], s[44:45], s[52:53]
	s_cmp_lg_u64 s[44:45], 0
	v_add_f64 v[4:5], v[4:5], s[46:47]
	s_cbranch_scc1 .LBB39_34
; %bb.35:                               ;   in Loop: Header=BB39_12 Depth=1
	v_mbcnt_lo_u32_b32 v0, exec_lo, 0
	v_mbcnt_hi_u32_b32 v0, exec_hi, v0
	v_cmp_eq_u32_e32 vcc, 0, v0
	s_and_saveexec_b64 s[44:45], vcc
	s_xor_b64 s[44:45], exec, s[44:45]
	s_cbranch_execz .LBB39_11
; %bb.36:                               ;   in Loop: Header=BB39_12 Depth=1
	global_load_dwordx2 v[2:3], v18, s[42:43] offset:8
	s_mov_b64 s[44:45], 0
.LBB39_37:                              ;   Parent Loop BB39_12 Depth=1
                                        ; =>  This Inner Loop Header: Depth=2
	s_waitcnt vmcnt(0)
	v_add_f64 v[0:1], v[2:3], v[4:5]
	global_atomic_cmpswap_x2 v[0:1], v18, v[0:3], s[42:43] offset:8 glc
	s_waitcnt vmcnt(0)
	v_cmp_eq_u64_e32 vcc, v[0:1], v[2:3]
	s_or_b64 s[44:45], vcc, s[44:45]
	v_pk_mov_b32 v[2:3], v[0:1], v[0:1] op_sel:[0,1]
	s_andn2_b64 exec, exec, s[44:45]
	s_cbranch_execnz .LBB39_37
; %bb.38:                               ;   in Loop: Header=BB39_12 Depth=1
	s_or_b64 exec, exec, s[44:45]
	s_branch .LBB39_11
.LBB39_39:
	s_lshl_b64 s[4:5], s[30:31], 3
	s_add_u32 s4, s20, s4
	s_addc_u32 s5, s21, s5
	s_load_dwordx2 s[4:5], s[4:5], 0x0
	s_waitcnt lgkmcnt(0)
	v_mov_b32_e32 v0, s37
	v_add_co_u32_e32 v12, vcc, s36, v15
	v_addc_co_u32_e32 v13, vcc, v0, v16, vcc
	s_sub_u32 s8, s4, s34
	s_subb_u32 s9, s5, 0
	v_cmp_gt_i64_e32 vcc, s[8:9], v[12:13]
	s_and_b64 exec, exec, vcc
	s_cbranch_execz .LBB39_51
; %bb.40:
	s_add_u32 s10, s30, -1
	s_addc_u32 s11, s31, -1
	s_add_u32 s4, s30, -2
	s_addc_u32 s5, s31, -1
	v_pk_mov_b32 v[0:1], s[28:29], s[28:29] op_sel:[0,1]
	s_cmp_lg_u64 s[4:5], s[28:29]
	v_cmp_gt_i64_e32 vcc, s[10:11], v[0:1]
	s_cselect_b64 s[4:5], -1, 0
	s_and_b64 s[4:5], vcc, s[4:5]
	v_cndmask_b32_e64 v0, 0, 1, s[4:5]
	s_mov_b64 s[12:13], 0
	v_cmp_ne_u32_e64 s[6:7], 1, v0
	v_mov_b32_e32 v22, s21
	v_mov_b32_e32 v23, s33
	;; [unrolled: 1-line block ×3, first 2 shown]
	s_branch .LBB39_42
.LBB39_41:                              ;   in Loop: Header=BB39_42 Depth=1
	s_or_b64 exec, exec, s[4:5]
	v_add_co_u32_e32 v12, vcc, 0x100, v12
	v_addc_co_u32_e32 v13, vcc, 0, v13, vcc
	v_cmp_le_i64_e32 vcc, s[8:9], v[12:13]
	s_or_b64 s[12:13], vcc, s[12:13]
	s_andn2_b64 exec, exec, s[12:13]
	s_cbranch_execz .LBB39_51
.LBB39_42:                              ; =>This Loop Header: Depth=1
                                        ;     Child Loop BB39_44 Depth 2
                                        ;     Child Loop BB39_48 Depth 2
	;; [unrolled: 1-line block ×3, first 2 shown]
	s_and_b64 vcc, exec, s[6:7]
	v_pk_mov_b32 v[0:1], s[28:29], s[28:29] op_sel:[0,1]
	v_pk_mov_b32 v[2:3], s[10:11], s[10:11] op_sel:[0,1]
	s_cbranch_vccnz .LBB39_46
; %bb.43:                               ;   in Loop: Header=BB39_42 Depth=1
	s_mov_b64 s[14:15], 0
	v_pk_mov_b32 v[0:1], s[28:29], s[28:29] op_sel:[0,1]
	v_pk_mov_b32 v[2:3], s[10:11], s[10:11] op_sel:[0,1]
.LBB39_44:                              ;   Parent Loop BB39_42 Depth=1
                                        ; =>  This Inner Loop Header: Depth=2
	v_add_co_u32_e32 v4, vcc, v2, v0
	v_addc_co_u32_e32 v5, vcc, v3, v1, vcc
	v_lshrrev_b32_e32 v6, 31, v5
	v_add_co_u32_e32 v4, vcc, v4, v6
	v_addc_co_u32_e32 v5, vcc, 0, v5, vcc
	v_ashrrev_i64 v[4:5], 1, v[4:5]
	v_lshlrev_b64 v[6:7], 3, v[4:5]
	v_mov_b32_e32 v14, s21
	v_add_co_u32_e32 v6, vcc, s20, v6
	v_addc_co_u32_e32 v7, vcc, v14, v7, vcc
	global_load_dwordx2 v[6:7], v[6:7], off
	v_mov_b32_e32 v14, s33
	s_waitcnt vmcnt(0)
	v_subrev_co_u32_e32 v6, vcc, s34, v6
	v_subb_co_u32_e32 v7, vcc, v7, v14, vcc
	v_cmp_gt_i64_e32 vcc, v[6:7], v[12:13]
	v_cndmask_b32_e32 v2, v2, v4, vcc
	v_cndmask_b32_e32 v3, v3, v5, vcc
	;; [unrolled: 1-line block ×3, first 2 shown]
	v_add_co_u32_e64 v4, s[4:5], -1, v2
	v_cndmask_b32_e32 v1, v5, v1, vcc
	v_addc_co_u32_e64 v5, s[4:5], -1, v3, s[4:5]
	v_cmp_ge_i64_e32 vcc, v[0:1], v[2:3]
	v_cmp_eq_u64_e64 s[4:5], v[0:1], v[4:5]
	s_or_b64 s[4:5], vcc, s[4:5]
	s_and_b64 s[4:5], exec, s[4:5]
	s_or_b64 s[14:15], s[4:5], s[14:15]
	s_andn2_b64 exec, exec, s[14:15]
	s_cbranch_execnz .LBB39_44
; %bb.45:                               ;   in Loop: Header=BB39_42 Depth=1
	s_or_b64 exec, exec, s[14:15]
.LBB39_46:                              ;   in Loop: Header=BB39_42 Depth=1
	v_lshlrev_b64 v[4:5], 3, v[2:3]
	v_add_co_u32_e32 v4, vcc, s20, v4
	v_addc_co_u32_e32 v5, vcc, v22, v5, vcc
	v_lshlrev_b64 v[6:7], 2, v[12:13]
	global_load_dwordx2 v[4:5], v[4:5], off
	v_add_co_u32_e32 v6, vcc, s22, v6
	v_addc_co_u32_e32 v7, vcc, v24, v7, vcc
	global_load_dword v14, v[6:7], off
	s_waitcnt vmcnt(1)
	v_subrev_co_u32_e32 v6, vcc, s34, v4
	v_subb_co_u32_e32 v7, vcc, v5, v23, vcc
	v_cmp_gt_i64_e32 vcc, v[6:7], v[12:13]
	s_waitcnt vmcnt(0)
	v_subrev_u32_e32 v4, s34, v14
	v_cndmask_b32_e32 v1, v3, v1, vcc
	v_cndmask_b32_e32 v0, v2, v0, vcc
	v_ashrrev_i32_e32 v5, 31, v4
	v_cmp_ne_u64_e32 vcc, v[0:1], v[4:5]
	s_and_saveexec_b64 s[4:5], vcc
	s_cbranch_execz .LBB39_41
; %bb.47:                               ;   in Loop: Header=BB39_42 Depth=1
	v_lshlrev_b64 v[2:3], 4, v[12:13]
	v_mov_b32_e32 v7, s25
	v_add_co_u32_e32 v2, vcc, s24, v2
	v_addc_co_u32_e32 v3, vcc, v7, v3, vcc
	global_load_dwordx4 v[26:29], v[2:3], off
	v_lshlrev_b64 v[0:1], 4, v[0:1]
	v_mov_b32_e32 v2, s27
	v_add_co_u32_e32 v0, vcc, s26, v0
	v_lshlrev_b64 v[4:5], 4, v[4:5]
	v_addc_co_u32_e32 v1, vcc, v2, v1, vcc
	v_mov_b32_e32 v6, s19
	global_load_dwordx4 v[0:3], v[0:1], off
	v_add_co_u32_e32 v14, vcc, s18, v4
	v_addc_co_u32_e32 v15, vcc, v6, v5, vcc
	global_load_dwordx2 v[6:7], v[14:15], off
	s_mov_b64 s[14:15], 0
	s_waitcnt vmcnt(2)
	v_xor_b32_e32 v4, 0x80000000, v29
	v_cndmask_b32_e64 v29, v29, v4, s[16:17]
	v_mul_f64 v[18:19], v[8:9], v[28:29]
	v_mul_f64 v[16:17], v[28:29], -v[10:11]
	v_fmac_f64_e32 v[18:19], v[10:11], v[26:27]
	v_fmac_f64_e32 v[16:17], v[8:9], v[26:27]
	s_waitcnt vmcnt(1)
	v_mul_f64 v[20:21], v[2:3], -v[18:19]
	v_fmac_f64_e32 v[20:21], v[16:17], v[0:1]
.LBB39_48:                              ;   Parent Loop BB39_42 Depth=1
                                        ; =>  This Inner Loop Header: Depth=2
	s_waitcnt vmcnt(0)
	v_add_f64 v[4:5], v[6:7], v[20:21]
	global_atomic_cmpswap_x2 v[4:5], v[14:15], v[4:7], off glc
	s_waitcnt vmcnt(0)
	v_cmp_eq_u64_e32 vcc, v[4:5], v[6:7]
	s_or_b64 s[14:15], vcc, s[14:15]
	v_pk_mov_b32 v[6:7], v[4:5], v[4:5] op_sel:[0,1]
	s_andn2_b64 exec, exec, s[14:15]
	s_cbranch_execnz .LBB39_48
; %bb.49:                               ;   in Loop: Header=BB39_42 Depth=1
	s_or_b64 exec, exec, s[14:15]
	global_load_dwordx2 v[4:5], v[14:15], off offset:8
	v_mul_f64 v[6:7], v[2:3], v[16:17]
	v_fmac_f64_e32 v[6:7], v[18:19], v[0:1]
	s_mov_b64 s[14:15], 0
.LBB39_50:                              ;   Parent Loop BB39_42 Depth=1
                                        ; =>  This Inner Loop Header: Depth=2
	s_waitcnt vmcnt(0)
	v_add_f64 v[2:3], v[4:5], v[6:7]
	global_atomic_cmpswap_x2 v[0:1], v[14:15], v[2:5], off offset:8 glc
	s_waitcnt vmcnt(0)
	v_cmp_eq_u64_e32 vcc, v[0:1], v[4:5]
	s_or_b64 s[14:15], vcc, s[14:15]
	v_pk_mov_b32 v[4:5], v[0:1], v[0:1] op_sel:[0,1]
	s_andn2_b64 exec, exec, s[14:15]
	s_cbranch_execnz .LBB39_50
	s_branch .LBB39_41
.LBB39_51:
	s_endpgm
	.section	.rodata,"a",@progbits
	.p2align	6, 0x0
	.amdhsa_kernel _ZL33csrmvn_symm_large_adaptive_kernelIli21rocsparse_complex_numIdES1_S1_S1_EvbT_PKS2_N9rocsparse24const_host_device_scalarIT4_EES4_PKT0_PKT1_PKT2_S8_PT3_21rocsparse_index_base_b
		.amdhsa_group_segment_fixed_size 16384
		.amdhsa_private_segment_fixed_size 24
		.amdhsa_kernarg_size 104
		.amdhsa_user_sgpr_count 8
		.amdhsa_user_sgpr_private_segment_buffer 1
		.amdhsa_user_sgpr_dispatch_ptr 0
		.amdhsa_user_sgpr_queue_ptr 0
		.amdhsa_user_sgpr_kernarg_segment_ptr 1
		.amdhsa_user_sgpr_dispatch_id 0
		.amdhsa_user_sgpr_flat_scratch_init 1
		.amdhsa_user_sgpr_kernarg_preload_length 0
		.amdhsa_user_sgpr_kernarg_preload_offset 0
		.amdhsa_user_sgpr_private_segment_size 0
		.amdhsa_uses_dynamic_stack 0
		.amdhsa_system_sgpr_private_segment_wavefront_offset 1
		.amdhsa_system_sgpr_workgroup_id_x 1
		.amdhsa_system_sgpr_workgroup_id_y 0
		.amdhsa_system_sgpr_workgroup_id_z 0
		.amdhsa_system_sgpr_workgroup_info 0
		.amdhsa_system_vgpr_workitem_id 0
		.amdhsa_next_free_vgpr 30
		.amdhsa_next_free_sgpr 54
		.amdhsa_accum_offset 32
		.amdhsa_reserve_vcc 1
		.amdhsa_reserve_flat_scratch 1
		.amdhsa_float_round_mode_32 0
		.amdhsa_float_round_mode_16_64 0
		.amdhsa_float_denorm_mode_32 3
		.amdhsa_float_denorm_mode_16_64 3
		.amdhsa_dx10_clamp 1
		.amdhsa_ieee_mode 1
		.amdhsa_fp16_overflow 0
		.amdhsa_tg_split 0
		.amdhsa_exception_fp_ieee_invalid_op 0
		.amdhsa_exception_fp_denorm_src 0
		.amdhsa_exception_fp_ieee_div_zero 0
		.amdhsa_exception_fp_ieee_overflow 0
		.amdhsa_exception_fp_ieee_underflow 0
		.amdhsa_exception_fp_ieee_inexact 0
		.amdhsa_exception_int_div_zero 0
	.end_amdhsa_kernel
	.section	.text._ZL33csrmvn_symm_large_adaptive_kernelIli21rocsparse_complex_numIdES1_S1_S1_EvbT_PKS2_N9rocsparse24const_host_device_scalarIT4_EES4_PKT0_PKT1_PKT2_S8_PT3_21rocsparse_index_base_b,"axG",@progbits,_ZL33csrmvn_symm_large_adaptive_kernelIli21rocsparse_complex_numIdES1_S1_S1_EvbT_PKS2_N9rocsparse24const_host_device_scalarIT4_EES4_PKT0_PKT1_PKT2_S8_PT3_21rocsparse_index_base_b,comdat
.Lfunc_end39:
	.size	_ZL33csrmvn_symm_large_adaptive_kernelIli21rocsparse_complex_numIdES1_S1_S1_EvbT_PKS2_N9rocsparse24const_host_device_scalarIT4_EES4_PKT0_PKT1_PKT2_S8_PT3_21rocsparse_index_base_b, .Lfunc_end39-_ZL33csrmvn_symm_large_adaptive_kernelIli21rocsparse_complex_numIdES1_S1_S1_EvbT_PKS2_N9rocsparse24const_host_device_scalarIT4_EES4_PKT0_PKT1_PKT2_S8_PT3_21rocsparse_index_base_b
                                        ; -- End function
	.section	.AMDGPU.csdata,"",@progbits
; Kernel info:
; codeLenInByte = 2648
; NumSgprs: 60
; NumVgprs: 30
; NumAgprs: 0
; TotalNumVgprs: 30
; ScratchSize: 24
; MemoryBound: 0
; FloatMode: 240
; IeeeMode: 1
; LDSByteSize: 16384 bytes/workgroup (compile time only)
; SGPRBlocks: 7
; VGPRBlocks: 3
; NumSGPRsForWavesPerEU: 60
; NumVGPRsForWavesPerEU: 30
; AccumOffset: 32
; Occupancy: 4
; WaveLimiterHint : 1
; COMPUTE_PGM_RSRC2:SCRATCH_EN: 1
; COMPUTE_PGM_RSRC2:USER_SGPR: 8
; COMPUTE_PGM_RSRC2:TRAP_HANDLER: 0
; COMPUTE_PGM_RSRC2:TGID_X_EN: 1
; COMPUTE_PGM_RSRC2:TGID_Y_EN: 0
; COMPUTE_PGM_RSRC2:TGID_Z_EN: 0
; COMPUTE_PGM_RSRC2:TIDIG_COMP_CNT: 0
; COMPUTE_PGM_RSRC3_GFX90A:ACCUM_OFFSET: 7
; COMPUTE_PGM_RSRC3_GFX90A:TG_SPLIT: 0
	.section	.text._ZN9rocsparseL22csrmvn_adaptive_kernelIll21rocsparse_complex_numIdES2_S2_S2_EEvbT_PKS3_PjPKT0_NS_24const_host_device_scalarIT4_EES5_S9_PKT1_PKT2_SC_PT3_21rocsparse_index_base_b,"axG",@progbits,_ZN9rocsparseL22csrmvn_adaptive_kernelIll21rocsparse_complex_numIdES2_S2_S2_EEvbT_PKS3_PjPKT0_NS_24const_host_device_scalarIT4_EES5_S9_PKT1_PKT2_SC_PT3_21rocsparse_index_base_b,comdat
	.globl	_ZN9rocsparseL22csrmvn_adaptive_kernelIll21rocsparse_complex_numIdES2_S2_S2_EEvbT_PKS3_PjPKT0_NS_24const_host_device_scalarIT4_EES5_S9_PKT1_PKT2_SC_PT3_21rocsparse_index_base_b ; -- Begin function _ZN9rocsparseL22csrmvn_adaptive_kernelIll21rocsparse_complex_numIdES2_S2_S2_EEvbT_PKS3_PjPKT0_NS_24const_host_device_scalarIT4_EES5_S9_PKT1_PKT2_SC_PT3_21rocsparse_index_base_b
	.p2align	8
	.type	_ZN9rocsparseL22csrmvn_adaptive_kernelIll21rocsparse_complex_numIdES2_S2_S2_EEvbT_PKS3_PjPKT0_NS_24const_host_device_scalarIT4_EES5_S9_PKT1_PKT2_SC_PT3_21rocsparse_index_base_b,@function
_ZN9rocsparseL22csrmvn_adaptive_kernelIll21rocsparse_complex_numIdES2_S2_S2_EEvbT_PKS3_PjPKT0_NS_24const_host_device_scalarIT4_EES5_S9_PKT1_PKT2_SC_PT3_21rocsparse_index_base_b: ; @_ZN9rocsparseL22csrmvn_adaptive_kernelIll21rocsparse_complex_numIdES2_S2_S2_EEvbT_PKS3_PjPKT0_NS_24const_host_device_scalarIT4_EES5_S9_PKT1_PKT2_SC_PT3_21rocsparse_index_base_b
; %bb.0:
	s_add_u32 flat_scratch_lo, s6, s9
	s_load_dwordx2 s[50:51], s[4:5], 0x70
	s_load_dwordx4 s[16:19], s[4:5], 0x28
	s_addc_u32 flat_scratch_hi, s7, 0
	s_add_u32 s0, s0, s9
	s_load_dwordx4 s[12:15], s[4:5], 0x58
	s_addc_u32 s1, s1, 0
	s_waitcnt lgkmcnt(0)
	s_bitcmp1_b32 s51, 0
	v_mov_b32_e32 v1, 0
	v_mov_b32_e32 v3, s16
	s_cselect_b64 s[6:7], -1, 0
	v_cndmask_b32_e64 v2, v3, v1, s[6:7]
	v_mov_b32_e32 v1, s17
	s_mov_b64 s[10:11], src_private_base
	s_and_b64 vcc, s[6:7], exec
	buffer_store_dword v1, off, s[0:3], 0 offset:4
	buffer_store_dword v3, off, s[0:3], 0
	v_mov_b32_e32 v1, s13
	s_cselect_b32 s9, s11, s17
	buffer_store_dword v1, off, s[0:3], 0 offset:12
	v_mov_b32_e32 v1, s12
	buffer_store_dword v1, off, s[0:3], 0 offset:8
	v_mov_b32_e32 v3, s9
	flat_load_dwordx2 v[14:15], v[2:3]
	s_xor_b64 s[20:21], s[6:7], -1
	v_pk_mov_b32 v[16:17], s[18:19], s[18:19] op_sel:[0,1]
	s_cbranch_vccnz .LBB40_2
; %bb.1:
	v_pk_mov_b32 v[2:3], s[16:17], s[16:17] op_sel:[0,1]
	flat_load_dwordx2 v[16:17], v[2:3] offset:8
.LBB40_2:
	s_and_b64 s[16:17], s[6:7], exec
	s_cselect_b32 s9, s11, s13
	v_mov_b32_e32 v1, 8
	v_mov_b32_e32 v2, s12
	v_cndmask_b32_e64 v2, v2, v1, s[6:7]
	v_mov_b32_e32 v3, s9
	flat_load_dwordx2 v[10:11], v[2:3]
	s_andn2_b64 vcc, exec, s[20:21]
	v_pk_mov_b32 v[12:13], s[14:15], s[14:15] op_sel:[0,1]
	s_cbranch_vccnz .LBB40_4
; %bb.3:
	v_pk_mov_b32 v[2:3], s[12:13], s[12:13] op_sel:[0,1]
	flat_load_dwordx2 v[12:13], v[2:3] offset:8
.LBB40_4:
	s_waitcnt vmcnt(0) lgkmcnt(0)
	v_cmp_eq_f64_e32 vcc, 0, v[14:15]
	v_cmp_eq_f64_e64 s[6:7], 0, v[16:17]
	s_and_b64 s[12:13], vcc, s[6:7]
	s_mov_b64 s[6:7], -1
	s_and_saveexec_b64 s[10:11], s[12:13]
; %bb.5:
	v_cmp_neq_f64_e32 vcc, 1.0, v[10:11]
	v_cmp_neq_f64_e64 s[6:7], 0, v[12:13]
	s_or_b64 s[6:7], vcc, s[6:7]
	s_orn2_b64 s[6:7], s[6:7], exec
; %bb.6:
	s_or_b64 exec, exec, s[10:11]
	s_and_saveexec_b64 s[10:11], s[6:7]
	s_cbranch_execz .LBB40_121
; %bb.7:
	s_load_dwordx2 s[12:13], s[4:5], 0x20
	s_load_dword s6, s[4:5], 0x0
	s_load_dwordx2 s[10:11], s[4:5], 0x10
	s_waitcnt lgkmcnt(0)
	s_bitcmp1_b32 s6, 0
	s_cselect_b64 s[6:7], -1, 0
	s_ashr_i32 s9, s8, 31
	s_lshl_b64 s[14:15], s[8:9], 3
	s_add_u32 s10, s10, s14
	s_addc_u32 s11, s11, s15
	s_load_dwordx4 s[28:31], s[10:11], 0x0
	s_load_dwordx2 s[34:35], s[4:5], 0x68
	s_load_dwordx8 s[36:43], s[4:5], 0x38
	s_waitcnt lgkmcnt(0)
	s_sub_u32 s10, s30, s28
	s_subb_u32 s11, s31, s29
	s_add_u32 s12, s12, s14
	s_addc_u32 s13, s13, s15
	s_lshl_b64 s[14:15], s[28:29], 3
	s_add_u32 s48, s36, s14
	s_addc_u32 s49, s37, s15
	s_load_dwordx2 s[44:45], s[12:13], 0x0
	s_load_dwordx2 s[46:47], s[48:49], 0x0
	v_cmp_lt_i64_e64 s[14:15], s[10:11], 2
	s_mov_b64 s[12:13], -1
	s_and_b64 vcc, exec, s[14:15]
	s_cbranch_vccz .LBB40_77
; %bb.8:
	s_cmp_lg_u64 s[10:11], 1
	s_cselect_b64 s[10:11], -1, 0
	s_waitcnt lgkmcnt(0)
	s_cmp_lg_u64 s[44:45], 0
	s_cselect_b64 s[12:13], -1, 0
	s_or_b64 s[12:13], s[10:11], s[12:13]
	s_mov_b64 s[10:11], -1
	s_and_b64 vcc, exec, s[12:13]
	s_cbranch_vccnz .LBB40_37
; %bb.9:
	v_pk_mov_b32 v[2:3], s[28:29], s[28:29] op_sel:[0,1]
	v_cmp_le_i64_e32 vcc, s[30:31], v[2:3]
	s_cbranch_vccnz .LBB40_36
; %bb.10:
	v_subrev_co_u32_e32 v1, vcc, s50, v0
	v_subb_co_u32_e64 v20, s[10:11], 0, 0, vcc
	v_cmp_neq_f64_e32 vcc, 0, v[10:11]
	v_cmp_neq_f64_e64 s[26:27], 0, v[12:13]
	s_or_b64 s[52:53], vcc, s[26:27]
	s_add_u32 s33, s36, 8
	s_addc_u32 s51, s37, 0
	s_mov_b32 s54, 0
	s_movk_i32 s10, 0x80
	s_add_u32 s64, s40, 8
	v_lshlrev_b32_e32 v21, 4, v0
	v_cmp_gt_u32_e64 s[10:11], s10, v0
	v_cmp_gt_u32_e64 s[12:13], 64, v0
	;; [unrolled: 1-line block ×7, first 2 shown]
	v_cmp_eq_u32_e64 s[24:25], 0, v0
	s_addc_u32 s65, s41, 0
	v_mov_b32_e32 v22, s54
	v_mov_b32_e32 v23, s43
	s_movk_i32 s66, 0x100
	v_mov_b32_e32 v24, 0
	s_mov_b64 s[56:57], s[46:47]
	s_mov_b64 s[54:55], s[28:29]
	s_branch .LBB40_13
.LBB40_11:                              ;   in Loop: Header=BB40_13 Depth=1
	s_or_b64 exec, exec, s[58:59]
	s_lshl_b64 s[58:59], s[54:55], 4
	s_add_u32 s58, s34, s58
	s_addc_u32 s59, s35, s59
	s_waitcnt lgkmcnt(0)
	global_store_dwordx4 v24, v[2:5], s[58:59]
.LBB40_12:                              ;   in Loop: Header=BB40_13 Depth=1
	s_or_b64 exec, exec, s[26:27]
	s_add_u32 s54, s54, 1
	s_addc_u32 s55, s55, 0
	v_pk_mov_b32 v[2:3], s[30:31], s[30:31] op_sel:[0,1]
	v_cmp_ge_i64_e32 vcc, s[54:55], v[2:3]
	s_cbranch_vccnz .LBB40_36
.LBB40_13:                              ; =>This Loop Header: Depth=1
                                        ;     Child Loop BB40_15 Depth 2
	s_mov_b64 s[26:27], s[56:57]
	s_lshl_b64 s[56:57], s[54:55], 3
	s_add_u32 s56, s33, s56
	s_addc_u32 s57, s51, s57
	s_load_dwordx2 s[56:57], s[56:57], 0x0
	v_mov_b32_e32 v2, s27
	v_add_co_u32_e32 v6, vcc, s26, v1
	v_addc_co_u32_e32 v7, vcc, v2, v20, vcc
	s_waitcnt lgkmcnt(0)
	s_sub_u32 s58, s56, s50
	s_subb_u32 s59, s57, 0
	v_pk_mov_b32 v[4:5], 0, 0
	v_cmp_gt_i64_e32 vcc, s[58:59], v[6:7]
	v_pk_mov_b32 v[2:3], v[4:5], v[4:5] op_sel:[0,1]
	s_and_saveexec_b64 s[60:61], vcc
	s_cbranch_execz .LBB40_17
; %bb.14:                               ;   in Loop: Header=BB40_13 Depth=1
	v_lshlrev_b64 v[2:3], 4, v[6:7]
	v_mov_b32_e32 v4, s65
	v_add_co_u32_e32 v8, vcc, s64, v2
	v_addc_co_u32_e32 v9, vcc, v4, v3, vcc
	v_lshlrev_b64 v[2:3], 3, v[6:7]
	v_mov_b32_e32 v4, s39
	v_add_co_u32_e32 v18, vcc, s38, v2
	v_addc_co_u32_e32 v19, vcc, v4, v3, vcc
	v_pk_mov_b32 v[4:5], 0, 0
	s_mov_b64 s[62:63], 0
	v_pk_mov_b32 v[2:3], v[4:5], v[4:5] op_sel:[0,1]
.LBB40_15:                              ;   Parent Loop BB40_13 Depth=1
                                        ; =>  This Inner Loop Header: Depth=2
	global_load_dwordx2 v[30:31], v[18:19], off
	global_load_dwordx4 v[26:29], v[8:9], off offset:-8
	s_waitcnt vmcnt(1)
	v_subrev_co_u32_e32 v30, vcc, s50, v30
	v_subb_co_u32_e32 v31, vcc, v31, v22, vcc
	v_lshlrev_b64 v[30:31], 4, v[30:31]
	v_add_co_u32_e32 v30, vcc, s42, v30
	v_addc_co_u32_e32 v31, vcc, v23, v31, vcc
	global_load_dwordx4 v[30:33], v[30:31], off
	v_add_co_u32_e32 v6, vcc, s66, v6
	s_waitcnt vmcnt(1)
	v_xor_b32_e32 v25, 0x80000000, v29
	v_addc_co_u32_e32 v7, vcc, 0, v7, vcc
	v_cndmask_b32_e64 v29, v29, v25, s[6:7]
	v_add_co_u32_e32 v8, vcc, 0x1000, v8
	v_mul_f64 v[34:35], v[28:29], -v[16:17]
	v_mul_f64 v[28:29], v[14:15], v[28:29]
	v_addc_co_u32_e32 v9, vcc, 0, v9, vcc
	v_fmac_f64_e32 v[34:35], v[14:15], v[26:27]
	v_fmac_f64_e32 v[28:29], v[16:17], v[26:27]
	v_add_co_u32_e32 v18, vcc, 0x800, v18
	v_cmp_le_i64_e64 s[26:27], s[58:59], v[6:7]
	v_addc_co_u32_e32 v19, vcc, 0, v19, vcc
	s_or_b64 s[62:63], s[26:27], s[62:63]
	s_waitcnt vmcnt(0)
	v_fmac_f64_e32 v[2:3], v[34:35], v[30:31]
	v_fmac_f64_e32 v[4:5], v[28:29], v[30:31]
	v_fma_f64 v[2:3], -v[28:29], v[32:33], v[2:3]
	v_fmac_f64_e32 v[4:5], v[34:35], v[32:33]
	s_andn2_b64 exec, exec, s[62:63]
	s_cbranch_execnz .LBB40_15
; %bb.16:                               ;   in Loop: Header=BB40_13 Depth=1
	s_or_b64 exec, exec, s[62:63]
.LBB40_17:                              ;   in Loop: Header=BB40_13 Depth=1
	s_or_b64 exec, exec, s[60:61]
	ds_write_b128 v21, v[2:5]
	s_waitcnt lgkmcnt(0)
	s_barrier
	s_and_saveexec_b64 s[26:27], s[10:11]
	s_cbranch_execz .LBB40_19
; %bb.18:                               ;   in Loop: Header=BB40_13 Depth=1
	ds_read_b128 v[2:5], v21 offset:2048
	ds_read_b128 v[6:9], v21
	s_waitcnt lgkmcnt(0)
	v_add_f64 v[2:3], v[2:3], v[6:7]
	v_add_f64 v[4:5], v[4:5], v[8:9]
	ds_write_b128 v21, v[2:5]
.LBB40_19:                              ;   in Loop: Header=BB40_13 Depth=1
	s_or_b64 exec, exec, s[26:27]
	s_waitcnt lgkmcnt(0)
	s_barrier
	s_and_saveexec_b64 s[26:27], s[12:13]
	s_cbranch_execz .LBB40_21
; %bb.20:                               ;   in Loop: Header=BB40_13 Depth=1
	ds_read_b128 v[2:5], v21 offset:1024
	ds_read_b128 v[6:9], v21
	s_waitcnt lgkmcnt(0)
	v_add_f64 v[2:3], v[2:3], v[6:7]
	v_add_f64 v[4:5], v[4:5], v[8:9]
	ds_write_b128 v21, v[2:5]
.LBB40_21:                              ;   in Loop: Header=BB40_13 Depth=1
	s_or_b64 exec, exec, s[26:27]
	;; [unrolled: 13-line block ×6, first 2 shown]
	s_waitcnt lgkmcnt(0)
	s_barrier
	s_and_saveexec_b64 s[26:27], s[22:23]
	s_cbranch_execz .LBB40_31
; %bb.30:                               ;   in Loop: Header=BB40_13 Depth=1
	ds_read_b128 v[2:5], v21
	ds_read_b128 v[6:9], v21 offset:32
	s_waitcnt lgkmcnt(0)
	v_add_f64 v[2:3], v[6:7], v[2:3]
	v_add_f64 v[4:5], v[8:9], v[4:5]
	ds_write_b128 v21, v[2:5]
.LBB40_31:                              ;   in Loop: Header=BB40_13 Depth=1
	s_or_b64 exec, exec, s[26:27]
	s_waitcnt lgkmcnt(0)
	s_barrier
	s_and_saveexec_b64 s[26:27], s[24:25]
	s_cbranch_execz .LBB40_33
; %bb.32:                               ;   in Loop: Header=BB40_13 Depth=1
	ds_read_b128 v[2:5], v24
	ds_read_b128 v[6:9], v24 offset:16
	s_waitcnt lgkmcnt(0)
	v_add_f64 v[2:3], v[6:7], v[2:3]
	v_add_f64 v[4:5], v[8:9], v[4:5]
	ds_write_b128 v24, v[2:5]
.LBB40_33:                              ;   in Loop: Header=BB40_13 Depth=1
	s_or_b64 exec, exec, s[26:27]
	s_waitcnt lgkmcnt(0)
	s_barrier
	s_and_saveexec_b64 s[26:27], s[24:25]
	s_cbranch_execz .LBB40_12
; %bb.34:                               ;   in Loop: Header=BB40_13 Depth=1
	ds_read_b128 v[2:5], v24
	s_and_saveexec_b64 s[58:59], s[52:53]
	s_cbranch_execz .LBB40_11
; %bb.35:                               ;   in Loop: Header=BB40_13 Depth=1
	s_lshl_b64 s[60:61], s[54:55], 4
	s_add_u32 s60, s34, s60
	s_addc_u32 s61, s35, s61
	global_load_dwordx4 v[6:9], v24, s[60:61]
	s_waitcnt vmcnt(0) lgkmcnt(0)
	v_fmac_f64_e32 v[2:3], v[10:11], v[6:7]
	v_fmac_f64_e32 v[4:5], v[12:13], v[6:7]
	v_fma_f64 v[2:3], -v[12:13], v[8:9], v[2:3]
	v_fmac_f64_e32 v[4:5], v[10:11], v[8:9]
	s_branch .LBB40_11
.LBB40_36:
	s_mov_b64 s[10:11], 0
.LBB40_37:
	s_andn2_b64 vcc, exec, s[10:11]
	s_cbranch_vccnz .LBB40_76
; %bb.38:
	s_load_dwordx2 s[14:15], s[4:5], 0x18
	s_sub_u32 s16, s8, s44
	s_subb_u32 s17, s9, s45
	s_lshl_b64 s[8:9], s[8:9], 2
	v_pk_mov_b32 v[2:3], 0, 0
	s_waitcnt lgkmcnt(0)
	s_add_u32 s12, s14, s8
	s_addc_u32 s13, s15, s9
	s_load_dword s26, s[12:13], 0x0
	s_cmp_eq_u64 s[44:45], 0
	s_cselect_b64 s[10:11], -1, 0
	s_cmp_lg_u64 s[44:45], 0
	v_cmp_eq_u32_e64 s[8:9], 0, v0
	s_cselect_b64 s[18:19], -1, 0
	s_mov_b32 s27, 0
	s_and_b64 s[20:21], s[8:9], s[10:11]
	v_pk_mov_b32 v[4:5], v[2:3], v[2:3] op_sel:[0,1]
	s_and_saveexec_b64 s[10:11], s[20:21]
	s_cbranch_execz .LBB40_42
; %bb.39:
	s_lshl_b64 s[22:23], s[28:29], 4
	s_add_u32 s22, s34, s22
	s_addc_u32 s23, s35, s23
	v_mov_b32_e32 v1, 0
	global_load_dwordx4 v[6:9], v1, s[22:23]
	s_mov_b64 s[20:21], exec
	v_mbcnt_lo_u32_b32 v2, s20, 0
	v_add_f64 v[18:19], v[10:11], -1.0
	v_mbcnt_hi_u32_b32 v20, s21, v2
	v_cmp_eq_u32_e32 vcc, 0, v20
	s_waitcnt vmcnt(0) expcnt(0) lgkmcnt(0)
	v_mul_f64 v[2:3], v[8:9], -v[12:13]
	v_mul_f64 v[4:5], v[18:19], v[8:9]
	s_and_saveexec_b64 s[22:23], vcc
	s_cbranch_execz .LBB40_41
; %bb.40:
	s_lshl_b64 s[24:25], s[16:17], 2
	s_add_u32 s24, s14, s24
	s_addc_u32 s25, s15, s25
	s_bcnt1_i32_b64 s20, s[20:21]
	s_and_b32 s20, s20, 1
	v_mov_b32_e32 v8, s20
	global_atomic_xor v1, v8, s[24:25]
.LBB40_41:
	s_or_b64 exec, exec, s[22:23]
	v_fmac_f64_e32 v[2:3], v[18:19], v[6:7]
	v_fmac_f64_e32 v[4:5], v[12:13], v[6:7]
.LBB40_42:
	s_or_b64 exec, exec, s[10:11]
	s_mul_i32 s10, s45, 0xc00
	s_mul_hi_u32 s11, s44, 0xc00
	s_add_i32 s20, s11, s10
	s_load_dwordx2 s[10:11], s[48:49], 0x8
	s_sub_u32 s22, s46, s50
	s_mul_i32 s21, s44, 0xc00
	s_subb_u32 s23, s47, 0
	s_add_u32 s22, s22, s21
	s_addc_u32 s23, s23, s20
	s_waitcnt lgkmcnt(0)
	s_sub_u32 s10, s10, s50
	v_mov_b32_e32 v1, s23
	v_add_co_u32_e32 v6, vcc, s22, v0
	s_subb_u32 s11, s11, 0
	v_addc_co_u32_e32 v7, vcc, 0, v1, vcc
	v_cmp_gt_i64_e32 vcc, s[10:11], v[6:7]
	s_and_saveexec_b64 s[20:21], vcc
	s_cbranch_execz .LBB40_46
; %bb.43:
	s_add_u32 s22, s22, 0xc00
	s_addc_u32 s23, s23, 0
	v_pk_mov_b32 v[8:9], s[10:11], s[10:11] op_sel:[0,1]
	v_cmp_lt_i64_e32 vcc, s[22:23], v[8:9]
	v_lshlrev_b64 v[8:9], 4, v[6:7]
	s_and_b64 s[24:25], vcc, exec
	v_mov_b32_e32 v1, s41
	v_add_co_u32_e32 v8, vcc, s40, v8
	v_addc_co_u32_e32 v1, vcc, v9, v1, vcc
	v_add_co_u32_e32 v8, vcc, 8, v8
	v_addc_co_u32_e32 v9, vcc, 0, v1, vcc
	v_lshlrev_b64 v[18:19], 3, v[6:7]
	v_mov_b32_e32 v1, s39
	v_add_co_u32_e32 v18, vcc, s38, v18
	s_cselect_b32 s23, s23, s11
	s_cselect_b32 s22, s22, s10
	v_addc_co_u32_e32 v19, vcc, v1, v19, vcc
	s_mov_b64 s[24:25], 0
	v_mov_b32_e32 v1, s27
	v_mov_b32_e32 v20, s43
	s_movk_i32 s27, 0x100
.LBB40_44:                              ; =>This Inner Loop Header: Depth=1
	global_load_dwordx2 v[26:27], v[18:19], off
	global_load_dwordx4 v[22:25], v[8:9], off offset:-8
	s_waitcnt vmcnt(1)
	v_subrev_co_u32_e32 v26, vcc, s50, v26
	v_subb_co_u32_e32 v27, vcc, v27, v1, vcc
	v_lshlrev_b64 v[26:27], 4, v[26:27]
	v_add_co_u32_e32 v26, vcc, s42, v26
	v_addc_co_u32_e32 v27, vcc, v20, v27, vcc
	global_load_dwordx4 v[26:29], v[26:27], off
	v_add_co_u32_e32 v6, vcc, s27, v6
	s_waitcnt vmcnt(1)
	v_xor_b32_e32 v21, 0x80000000, v25
	v_addc_co_u32_e32 v7, vcc, 0, v7, vcc
	v_cndmask_b32_e64 v25, v25, v21, s[6:7]
	v_add_co_u32_e32 v8, vcc, 0x1000, v8
	v_mul_f64 v[30:31], v[24:25], -v[16:17]
	v_mul_f64 v[24:25], v[14:15], v[24:25]
	v_addc_co_u32_e32 v9, vcc, 0, v9, vcc
	v_fmac_f64_e32 v[30:31], v[14:15], v[22:23]
	v_fmac_f64_e32 v[24:25], v[16:17], v[22:23]
	v_add_co_u32_e32 v18, vcc, 0x800, v18
	v_cmp_le_i64_e64 s[10:11], s[22:23], v[6:7]
	v_addc_co_u32_e32 v19, vcc, 0, v19, vcc
	s_or_b64 s[24:25], s[10:11], s[24:25]
	s_waitcnt vmcnt(0)
	v_fmac_f64_e32 v[2:3], v[30:31], v[26:27]
	v_fmac_f64_e32 v[4:5], v[24:25], v[26:27]
	v_fma_f64 v[2:3], -v[24:25], v[28:29], v[2:3]
	v_fmac_f64_e32 v[4:5], v[30:31], v[28:29]
	s_andn2_b64 exec, exec, s[24:25]
	s_cbranch_execnz .LBB40_44
; %bb.45:
	s_or_b64 exec, exec, s[24:25]
.LBB40_46:
	s_or_b64 exec, exec, s[20:21]
	s_movk_i32 s10, 0x80
	v_lshlrev_b32_e32 v1, 4, v0
	v_cmp_gt_u32_e32 vcc, s10, v0
	ds_write_b128 v1, v[2:5]
	s_waitcnt lgkmcnt(0)
	s_barrier
	s_and_saveexec_b64 s[10:11], vcc
	s_cbranch_execz .LBB40_48
; %bb.47:
	ds_read_b128 v[2:5], v1 offset:2048
	ds_read_b128 v[6:9], v1
	s_waitcnt lgkmcnt(0)
	v_add_f64 v[2:3], v[2:3], v[6:7]
	v_add_f64 v[4:5], v[4:5], v[8:9]
	ds_write_b128 v1, v[2:5]
.LBB40_48:
	s_or_b64 exec, exec, s[10:11]
	v_cmp_gt_u32_e32 vcc, 64, v0
	s_waitcnt lgkmcnt(0)
	s_barrier
	s_and_saveexec_b64 s[10:11], vcc
	s_cbranch_execz .LBB40_50
; %bb.49:
	ds_read_b128 v[2:5], v1 offset:1024
	ds_read_b128 v[6:9], v1
	s_waitcnt lgkmcnt(0)
	v_add_f64 v[2:3], v[2:3], v[6:7]
	v_add_f64 v[4:5], v[4:5], v[8:9]
	ds_write_b128 v1, v[2:5]
.LBB40_50:
	s_or_b64 exec, exec, s[10:11]
	v_cmp_gt_u32_e32 vcc, 32, v0
	;; [unrolled: 14-line block ×6, first 2 shown]
	s_waitcnt lgkmcnt(0)
	s_barrier
	s_and_saveexec_b64 s[10:11], vcc
	s_cbranch_execz .LBB40_60
; %bb.59:
	ds_read_b128 v[2:5], v1
	ds_read_b128 v[6:9], v1 offset:32
	s_waitcnt lgkmcnt(0)
	v_add_f64 v[2:3], v[6:7], v[2:3]
	v_add_f64 v[4:5], v[8:9], v[4:5]
	ds_write_b128 v1, v[2:5]
.LBB40_60:
	s_or_b64 exec, exec, s[10:11]
	s_waitcnt lgkmcnt(0)
	s_barrier
	s_and_saveexec_b64 s[10:11], s[8:9]
	s_cbranch_execz .LBB40_62
; %bb.61:
	v_mov_b32_e32 v1, 0
	ds_read_b128 v[2:5], v1
	ds_read_b128 v[6:9], v1 offset:16
	s_waitcnt lgkmcnt(0)
	v_add_f64 v[2:3], v[6:7], v[2:3]
	v_add_f64 v[4:5], v[8:9], v[4:5]
	ds_write_b128 v1, v[2:5]
.LBB40_62:
	s_or_b64 exec, exec, s[10:11]
	s_waitcnt lgkmcnt(0)
	s_barrier
	s_and_saveexec_b64 s[10:11], s[8:9]
	s_cbranch_execz .LBB40_75
; %bb.63:
	s_andn2_b64 vcc, exec, s[18:19]
	s_cbranch_vccnz .LBB40_69
; %bb.64:
	s_lshl_b64 s[8:9], s[16:17], 2
	s_add_u32 s8, s14, s8
	s_addc_u32 s9, s15, s9
	v_mov_b32_e32 v1, 0
	s_branch .LBB40_66
.LBB40_65:                              ;   in Loop: Header=BB40_66 Depth=1
	s_or_b64 exec, exec, s[14:15]
	s_waitcnt vmcnt(0)
	v_readfirstlane_b32 s14, v2
	s_cmp_eq_u32 s14, s26
	s_cbranch_scc0 .LBB40_68
.LBB40_66:                              ; =>This Inner Loop Header: Depth=1
	v_mbcnt_lo_u32_b32 v2, exec_lo, 0
	v_mbcnt_hi_u32_b32 v2, exec_hi, v2
	v_cmp_eq_u32_e32 vcc, 0, v2
                                        ; implicit-def: $vgpr2
	s_and_saveexec_b64 s[14:15], vcc
	s_cbranch_execz .LBB40_65
; %bb.67:                               ;   in Loop: Header=BB40_66 Depth=1
	global_load_dword v2, v1, s[8:9] glc
	s_branch .LBB40_65
.LBB40_68:
	v_mov_b32_e32 v1, 0
	global_load_dword v2, v1, s[12:13]
	s_waitcnt vmcnt(0)
	v_xor_b32_e32 v2, 1, v2
	global_store_dword v1, v2, s[12:13]
.LBB40_69:
	v_mov_b32_e32 v1, 0
	ds_read_b128 v[2:5], v1
	s_mov_b64 s[14:15], exec
	s_lshl_b64 s[8:9], s[28:29], 4
	v_mbcnt_lo_u32_b32 v6, s14, 0
	s_add_u32 s8, s34, s8
	v_mbcnt_hi_u32_b32 v6, s15, v6
	s_addc_u32 s9, s35, s9
	v_cmp_eq_u32_e32 vcc, 0, v6
	s_and_saveexec_b64 s[12:13], vcc
	s_cbranch_execz .LBB40_72
; %bb.70:
	global_load_dwordx2 v[8:9], v1, s[8:9]
	s_bcnt1_i32_b64 s14, s[14:15]
	v_cvt_f64_u32_e32 v[6:7], s14
	s_waitcnt lgkmcnt(0)
	v_mul_f64 v[2:3], v[2:3], v[6:7]
	s_mov_b64 s[14:15], 0
.LBB40_71:                              ; =>This Inner Loop Header: Depth=1
	s_waitcnt vmcnt(0)
	v_add_f64 v[6:7], v[8:9], v[2:3]
	global_atomic_cmpswap_x2 v[6:7], v1, v[6:9], s[8:9] glc
	s_waitcnt vmcnt(0)
	v_cmp_eq_u64_e32 vcc, v[6:7], v[8:9]
	s_or_b64 s[14:15], vcc, s[14:15]
	v_pk_mov_b32 v[8:9], v[6:7], v[6:7] op_sel:[0,1]
	s_andn2_b64 exec, exec, s[14:15]
	s_cbranch_execnz .LBB40_71
.LBB40_72:
	s_or_b64 exec, exec, s[12:13]
	s_mov_b64 s[12:13], exec
	v_mbcnt_lo_u32_b32 v1, s12, 0
	v_mbcnt_hi_u32_b32 v1, s13, v1
	v_cmp_eq_u32_e32 vcc, 0, v1
	s_and_b64 s[14:15], exec, vcc
	s_mov_b64 exec, s[14:15]
	s_cbranch_execz .LBB40_75
; %bb.73:
	v_mov_b32_e32 v1, 0
	global_load_dwordx2 v[6:7], v1, s[8:9] offset:8
	s_bcnt1_i32_b64 s12, s[12:13]
	s_waitcnt lgkmcnt(0)
	v_cvt_f64_u32_e32 v[2:3], s12
	v_mul_f64 v[2:3], v[4:5], v[2:3]
	s_mov_b64 s[12:13], 0
.LBB40_74:                              ; =>This Inner Loop Header: Depth=1
	s_waitcnt vmcnt(0)
	v_add_f64 v[4:5], v[6:7], v[2:3]
	global_atomic_cmpswap_x2 v[4:5], v1, v[4:7], s[8:9] offset:8 glc
	s_waitcnt vmcnt(0)
	v_cmp_eq_u64_e32 vcc, v[4:5], v[6:7]
	s_or_b64 s[12:13], vcc, s[12:13]
	v_pk_mov_b32 v[6:7], v[4:5], v[4:5] op_sel:[0,1]
	s_andn2_b64 exec, exec, s[12:13]
	s_cbranch_execnz .LBB40_74
.LBB40_75:
	s_or_b64 exec, exec, s[10:11]
.LBB40_76:
	s_mov_b64 s[12:13], 0
.LBB40_77:
	s_andn2_b64 vcc, exec, s[12:13]
	s_cbranch_vccnz .LBB40_121
; %bb.78:
	s_load_dwordx2 s[4:5], s[4:5], 0x8
	v_subrev_co_u32_e32 v1, vcc, s50, v0
	s_waitcnt lgkmcnt(0)
	v_subb_co_u32_e64 v3, s[8:9], 0, 0, vcc
	v_mov_b32_e32 v4, s47
	v_add_co_u32_e32 v2, vcc, s46, v1
	v_addc_co_u32_e32 v3, vcc, v4, v3, vcc
	v_add_co_u32_e32 v4, vcc, 0x300, v2
	v_addc_co_u32_e32 v5, vcc, 0, v3, vcc
	s_mov_b32 s16, 0
	v_cmp_le_i64_e32 vcc, s[4:5], v[4:5]
	s_and_saveexec_b64 s[4:5], vcc
	s_xor_b64 s[8:9], exec, s[4:5]
	s_cbranch_execz .LBB40_83
; %bb.79:
	s_lshl_b64 s[4:5], s[30:31], 3
	s_add_u32 s4, s36, s4
	s_addc_u32 s5, s37, s5
	s_load_dwordx2 s[4:5], s[4:5], 0x0
	s_waitcnt lgkmcnt(0)
	s_sub_u32 s10, s4, s50
	s_subb_u32 s11, s5, 0
	v_cmp_gt_i64_e32 vcc, s[10:11], v[2:3]
	s_and_saveexec_b64 s[12:13], vcc
	s_cbranch_execz .LBB40_82
; %bb.80:
	v_lshlrev_b64 v[4:5], 4, v[2:3]
	v_mov_b32_e32 v6, s41
	v_add_co_u32_e32 v4, vcc, s40, v4
	v_addc_co_u32_e32 v5, vcc, v5, v6, vcc
	v_add_co_u32_e32 v4, vcc, 8, v4
	v_addc_co_u32_e32 v5, vcc, 0, v5, vcc
	v_lshlrev_b64 v[6:7], 3, v[2:3]
	v_mov_b32_e32 v8, s39
	v_add_co_u32_e32 v6, vcc, s38, v6
	v_lshlrev_b32_e32 v1, 4, v0
	v_addc_co_u32_e32 v7, vcc, v8, v7, vcc
	s_mov_b64 s[14:15], 0
	v_mov_b32_e32 v8, s16
	v_mov_b32_e32 v9, s43
	s_movk_i32 s17, 0x100
.LBB40_81:                              ; =>This Inner Loop Header: Depth=1
	global_load_dwordx2 v[22:23], v[6:7], off
	global_load_dwordx4 v[18:21], v[4:5], off offset:-8
	s_waitcnt vmcnt(1)
	v_subrev_co_u32_e32 v22, vcc, s50, v22
	v_subb_co_u32_e32 v23, vcc, v23, v8, vcc
	v_lshlrev_b64 v[22:23], 4, v[22:23]
	v_add_co_u32_e32 v22, vcc, s42, v22
	v_addc_co_u32_e32 v23, vcc, v9, v23, vcc
	global_load_dwordx4 v[22:25], v[22:23], off
	s_waitcnt vmcnt(1)
	v_xor_b32_e32 v26, 0x80000000, v21
	v_add_co_u32_e32 v2, vcc, s17, v2
	v_cndmask_b32_e64 v21, v21, v26, s[6:7]
	v_addc_co_u32_e32 v3, vcc, 0, v3, vcc
	v_mul_f64 v[26:27], v[20:21], -v[16:17]
	v_mul_f64 v[28:29], v[14:15], v[20:21]
	v_add_co_u32_e32 v4, vcc, 0x1000, v4
	v_fmac_f64_e32 v[26:27], v[14:15], v[18:19]
	v_fmac_f64_e32 v[28:29], v[16:17], v[18:19]
	v_addc_co_u32_e32 v5, vcc, 0, v5, vcc
	v_add_co_u32_e32 v6, vcc, 0x800, v6
	v_cmp_le_i64_e64 s[4:5], s[10:11], v[2:3]
	v_addc_co_u32_e32 v7, vcc, 0, v7, vcc
	s_or_b64 s[14:15], s[4:5], s[14:15]
	s_waitcnt vmcnt(0)
	v_mul_f64 v[18:19], v[24:25], -v[28:29]
	v_mul_f64 v[20:21], v[26:27], v[24:25]
	v_fmac_f64_e32 v[18:19], v[26:27], v[22:23]
	v_fmac_f64_e32 v[20:21], v[28:29], v[22:23]
	ds_write_b128 v1, v[18:21]
	v_add_u32_e32 v1, 0x1000, v1
	s_andn2_b64 exec, exec, s[14:15]
	s_cbranch_execnz .LBB40_81
.LBB40_82:
	s_or_b64 exec, exec, s[12:13]
                                        ; implicit-def: $vgpr2_vgpr3
                                        ; implicit-def: $vgpr16_vgpr17
                                        ; implicit-def: $vgpr14_vgpr15
.LBB40_83:
	s_or_saveexec_b64 s[4:5], s[8:9]
	v_lshlrev_b32_e32 v18, 4, v0
	s_xor_b64 exec, exec, s[4:5]
	s_cbranch_execz .LBB40_85
; %bb.84:
	v_lshlrev_b64 v[4:5], 3, v[2:3]
	v_mov_b32_e32 v1, s39
	v_add_co_u32_e32 v4, vcc, s38, v4
	v_addc_co_u32_e32 v5, vcc, v1, v5, vcc
	global_load_dwordx2 v[28:29], v[4:5], off
	global_load_dwordx2 v[30:31], v[4:5], off offset:2048
	s_movk_i32 s8, 0x1000
	v_add_co_u32_e32 v4, vcc, s8, v4
	v_addc_co_u32_e32 v5, vcc, 0, v5, vcc
	global_load_dwordx2 v[32:33], v[4:5], off
	global_load_dwordx2 v[34:35], v[4:5], off offset:2048
	v_lshlrev_b64 v[2:3], 4, v[2:3]
	v_mov_b32_e32 v1, s41
	v_add_co_u32_e32 v6, vcc, s40, v2
	s_movk_i32 s8, 0x2000
	v_addc_co_u32_e32 v7, vcc, v1, v3, vcc
	v_add_co_u32_e32 v36, vcc, s8, v6
	s_movk_i32 s9, 0x3000
	v_addc_co_u32_e32 v37, vcc, 0, v7, vcc
	v_add_co_u32_e32 v38, vcc, s9, v6
	v_addc_co_u32_e32 v39, vcc, 0, v7, vcc
	v_mov_b32_e32 v19, s16
	v_mov_b32_e32 v44, s43
	global_load_dwordx4 v[2:5], v[6:7], off
	s_nop 0
	global_load_dwordx4 v[6:9], v[36:37], off offset:-4096
	global_load_dwordx4 v[20:23], v[36:37], off
	global_load_dwordx4 v[24:27], v[38:39], off
	s_waitcnt vmcnt(7)
	v_subrev_co_u32_e32 v28, vcc, s50, v28
	v_subb_co_u32_e32 v29, vcc, v29, v19, vcc
	s_waitcnt vmcnt(6)
	v_subrev_co_u32_e32 v30, vcc, s50, v30
	v_subb_co_u32_e32 v31, vcc, v31, v19, vcc
	;; [unrolled: 3-line block ×3, first 2 shown]
	s_waitcnt vmcnt(4)
	v_subrev_co_u32_e32 v34, vcc, s50, v34
	v_lshlrev_b64 v[28:29], 4, v[28:29]
	v_subb_co_u32_e32 v35, vcc, v35, v19, vcc
	v_add_co_u32_e32 v36, vcc, s42, v28
	v_lshlrev_b64 v[30:31], 4, v[30:31]
	v_addc_co_u32_e32 v37, vcc, v44, v29, vcc
	v_add_co_u32_e32 v38, vcc, s42, v30
	v_addc_co_u32_e32 v39, vcc, v44, v31, vcc
	v_lshlrev_b64 v[40:41], 4, v[32:33]
	v_lshlrev_b64 v[42:43], 4, v[34:35]
	global_load_dwordx4 v[28:31], v[36:37], off
	global_load_dwordx4 v[32:35], v[38:39], off
	v_add_co_u32_e32 v36, vcc, s42, v40
	v_addc_co_u32_e32 v37, vcc, v44, v41, vcc
	v_add_co_u32_e32 v40, vcc, s42, v42
	global_load_dwordx4 v[36:39], v[36:37], off
	v_addc_co_u32_e32 v41, vcc, v44, v43, vcc
	global_load_dwordx4 v[40:43], v[40:41], off
	s_waitcnt vmcnt(7)
	v_xor_b32_e32 v1, 0x80000000, v5
	s_waitcnt vmcnt(5)
	v_xor_b32_e32 v19, 0x80000000, v23
	v_cndmask_b32_e64 v5, v5, v1, s[6:7]
	v_xor_b32_e32 v1, 0x80000000, v9
	s_waitcnt vmcnt(4)
	v_xor_b32_e32 v48, 0x80000000, v27
	v_cndmask_b32_e64 v23, v23, v19, s[6:7]
	v_mul_f64 v[44:45], v[4:5], -v[16:17]
	v_mul_f64 v[46:47], v[14:15], v[4:5]
	v_cndmask_b32_e64 v9, v9, v1, s[6:7]
	v_cndmask_b32_e64 v27, v27, v48, s[6:7]
	v_mul_f64 v[52:53], v[22:23], -v[16:17]
	v_mul_f64 v[54:55], v[14:15], v[22:23]
	v_fmac_f64_e32 v[44:45], v[14:15], v[2:3]
	v_fmac_f64_e32 v[46:47], v[16:17], v[2:3]
	v_mul_f64 v[48:49], v[8:9], -v[16:17]
	v_mul_f64 v[50:51], v[14:15], v[8:9]
	v_mul_f64 v[56:57], v[26:27], -v[16:17]
	v_mul_f64 v[26:27], v[14:15], v[26:27]
	v_fmac_f64_e32 v[52:53], v[14:15], v[20:21]
	v_fmac_f64_e32 v[54:55], v[16:17], v[20:21]
	;; [unrolled: 1-line block ×6, first 2 shown]
	s_waitcnt vmcnt(3)
	v_mul_f64 v[2:3], v[30:31], -v[46:47]
	v_mul_f64 v[4:5], v[44:45], v[30:31]
	s_waitcnt vmcnt(2)
	v_mul_f64 v[6:7], v[34:35], -v[50:51]
	v_mul_f64 v[8:9], v[48:49], v[34:35]
	v_fmac_f64_e32 v[2:3], v[44:45], v[28:29]
	v_fmac_f64_e32 v[4:5], v[46:47], v[28:29]
	v_fmac_f64_e32 v[6:7], v[48:49], v[32:33]
	v_fmac_f64_e32 v[8:9], v[50:51], v[32:33]
	s_waitcnt vmcnt(1)
	v_mul_f64 v[14:15], v[38:39], -v[54:55]
	v_mul_f64 v[16:17], v[52:53], v[38:39]
	v_fmac_f64_e32 v[14:15], v[52:53], v[36:37]
	s_waitcnt vmcnt(0)
	v_mul_f64 v[20:21], v[42:43], -v[26:27]
	v_mul_f64 v[22:23], v[56:57], v[42:43]
	v_fmac_f64_e32 v[16:17], v[54:55], v[36:37]
	ds_write_b128 v18, v[2:5]
	ds_write_b128 v18, v[6:9] offset:4096
	v_fmac_f64_e32 v[20:21], v[56:57], v[40:41]
	v_fmac_f64_e32 v[22:23], v[26:27], v[40:41]
	ds_write_b128 v18, v[14:17] offset:8192
	ds_write_b128 v18, v[20:23] offset:12288
.LBB40_85:
	s_or_b64 exec, exec, s[4:5]
	v_cmp_lt_i64_e64 s[6:7], s[44:45], 2
	s_mov_b64 s[4:5], -1
	s_and_b64 vcc, exec, s[6:7]
	s_waitcnt lgkmcnt(0)
	s_barrier
	s_cbranch_vccz .LBB40_96
; %bb.86:
	v_mov_b32_e32 v1, s29
	v_add_co_u32_e32 v14, vcc, s28, v0
	v_addc_co_u32_e32 v15, vcc, 0, v1, vcc
	v_cmp_gt_i64_e32 vcc, s[30:31], v[14:15]
	s_and_saveexec_b64 s[6:7], vcc
	s_cbranch_execz .LBB40_95
; %bb.87:
	v_cmp_neq_f64_e32 vcc, 0, v[10:11]
	v_cmp_neq_f64_e64 s[4:5], 0, v[12:13]
	s_lshl_b32 s10, s46, 4
	s_mov_b64 s[8:9], 0
	s_or_b64 s[4:5], vcc, s[4:5]
	s_sub_i32 s14, 0, s10
	v_mov_b32_e32 v1, s37
	v_mov_b32_e32 v19, s35
	s_branch .LBB40_89
.LBB40_88:                              ;   in Loop: Header=BB40_89 Depth=1
	s_or_b64 exec, exec, s[10:11]
	v_add_co_u32_e32 v6, vcc, s34, v6
	v_addc_co_u32_e32 v7, vcc, v19, v7, vcc
	v_add_co_u32_e32 v14, vcc, 0x100, v14
	v_addc_co_u32_e32 v15, vcc, 0, v15, vcc
	v_cmp_le_i64_e32 vcc, s[30:31], v[14:15]
	s_or_b64 s[8:9], vcc, s[8:9]
	global_store_dwordx4 v[6:7], v[2:5], off
	s_andn2_b64 exec, exec, s[8:9]
	s_cbranch_execz .LBB40_95
.LBB40_89:                              ; =>This Loop Header: Depth=1
                                        ;     Child Loop BB40_91 Depth 2
	v_lshlrev_b64 v[2:3], 3, v[14:15]
	v_add_co_u32_e32 v2, vcc, s36, v2
	v_addc_co_u32_e32 v3, vcc, v1, v3, vcc
	global_load_dwordx4 v[6:9], v[2:3], off
	v_pk_mov_b32 v[4:5], 0, 0
	v_pk_mov_b32 v[2:3], v[4:5], v[4:5] op_sel:[0,1]
	s_waitcnt vmcnt(0)
	v_cmp_lt_i64_e32 vcc, v[6:7], v[8:9]
	s_and_saveexec_b64 s[10:11], vcc
	s_cbranch_execz .LBB40_93
; %bb.90:                               ;   in Loop: Header=BB40_89 Depth=1
	v_mov_b32_e32 v2, s47
	v_subrev_co_u32_e32 v8, vcc, s46, v8
	v_subb_co_u32_e32 v9, vcc, v9, v2, vcc
	v_subrev_co_u32_e32 v16, vcc, s46, v6
	v_pk_mov_b32 v[4:5], 0, 0
	v_subb_co_u32_e32 v17, vcc, v7, v2, vcc
	v_lshl_add_u32 v6, v6, 4, s14
	s_mov_b64 s[12:13], 0
	v_pk_mov_b32 v[2:3], v[4:5], v[4:5] op_sel:[0,1]
.LBB40_91:                              ;   Parent Loop BB40_89 Depth=1
                                        ; =>  This Inner Loop Header: Depth=2
	ds_read_b128 v[20:23], v6
	v_add_co_u32_e32 v16, vcc, 1, v16
	v_addc_co_u32_e32 v17, vcc, 0, v17, vcc
	v_cmp_ge_i64_e32 vcc, v[16:17], v[8:9]
	v_add_u32_e32 v6, 16, v6
	s_or_b64 s[12:13], vcc, s[12:13]
	s_waitcnt lgkmcnt(0)
	v_add_f64 v[2:3], v[2:3], v[20:21]
	v_add_f64 v[4:5], v[4:5], v[22:23]
	s_andn2_b64 exec, exec, s[12:13]
	s_cbranch_execnz .LBB40_91
; %bb.92:                               ;   in Loop: Header=BB40_89 Depth=1
	s_or_b64 exec, exec, s[12:13]
.LBB40_93:                              ;   in Loop: Header=BB40_89 Depth=1
	s_or_b64 exec, exec, s[10:11]
	v_lshlrev_b64 v[6:7], 4, v[14:15]
	s_and_saveexec_b64 s[10:11], s[4:5]
	s_cbranch_execz .LBB40_88
; %bb.94:                               ;   in Loop: Header=BB40_89 Depth=1
	v_mov_b32_e32 v9, s35
	v_add_co_u32_e32 v8, vcc, s34, v6
	v_addc_co_u32_e32 v9, vcc, v9, v7, vcc
	global_load_dwordx4 v[20:23], v[8:9], off
	s_waitcnt vmcnt(0)
	v_fmac_f64_e32 v[2:3], v[10:11], v[20:21]
	v_fmac_f64_e32 v[4:5], v[12:13], v[20:21]
	v_fma_f64 v[2:3], -v[12:13], v[22:23], v[2:3]
	v_fmac_f64_e32 v[4:5], v[10:11], v[22:23]
	s_branch .LBB40_88
.LBB40_95:
	s_or_b64 exec, exec, s[6:7]
	s_mov_b64 s[4:5], 0
.LBB40_96:
	s_andn2_b64 vcc, exec, s[4:5]
	s_cbranch_vccnz .LBB40_121
; %bb.97:
	s_flbit_i32_b32 s4, s44
	s_min_u32 s4, s4, 32
	s_sub_i32 s4, 31, s4
	v_lshrrev_b32_e32 v8, s4, v0
	v_mov_b32_e32 v1, s29
	v_add_co_u32_e32 v4, vcc, s28, v8
	s_add_i32 s4, s44, -1
	v_addc_co_u32_e32 v5, vcc, 0, v1, vcc
	v_and_b32_e32 v6, s4, v0
	v_pk_mov_b32 v[0:1], 0, 0
	v_and_b32_e64 v7, s4, 0
	v_cmp_le_i64_e64 s[4:5], s[30:31], v[4:5]
	v_cmp_gt_i64_e32 vcc, s[30:31], v[4:5]
	v_pk_mov_b32 v[2:3], v[0:1], v[0:1] op_sel:[0,1]
	s_and_saveexec_b64 s[6:7], vcc
	s_cbranch_execz .LBB40_103
; %bb.98:
	v_lshlrev_b32_e32 v0, 3, v8
	global_load_dwordx4 v[14:17], v0, s[48:49]
	v_mov_b32_e32 v0, s47
	v_subrev_co_u32_e32 v1, vcc, s46, v6
	v_subb_co_u32_e32 v19, vcc, v7, v0, vcc
	v_pk_mov_b32 v[2:3], 0, 0
	s_waitcnt vmcnt(0)
	v_subrev_co_u32_e32 v8, vcc, s46, v16
	v_subb_co_u32_e32 v9, vcc, v17, v0, vcc
	v_add_co_u32_e32 v14, vcc, v14, v1
	v_addc_co_u32_e32 v15, vcc, v15, v19, vcc
	v_cmp_lt_i64_e32 vcc, v[14:15], v[8:9]
	v_pk_mov_b32 v[0:1], v[2:3], v[2:3] op_sel:[0,1]
	s_and_saveexec_b64 s[8:9], vcc
	s_cbranch_execz .LBB40_102
; %bb.99:
	v_pk_mov_b32 v[2:3], 0, 0
	v_lshlrev_b32_e32 v16, 4, v14
	s_lshl_b32 s12, s44, 4
	s_mov_b64 s[10:11], 0
	v_mov_b32_e32 v17, s45
	v_pk_mov_b32 v[0:1], v[2:3], v[2:3] op_sel:[0,1]
.LBB40_100:                             ; =>This Inner Loop Header: Depth=1
	ds_read_b128 v[20:23], v16
	v_add_co_u32_e32 v14, vcc, s44, v14
	v_addc_co_u32_e32 v15, vcc, v15, v17, vcc
	v_cmp_ge_i64_e32 vcc, v[14:15], v[8:9]
	v_add_u32_e32 v16, s12, v16
	s_or_b64 s[10:11], vcc, s[10:11]
	s_waitcnt lgkmcnt(0)
	v_add_f64 v[0:1], v[0:1], v[20:21]
	v_add_f64 v[2:3], v[2:3], v[22:23]
	s_andn2_b64 exec, exec, s[10:11]
	s_cbranch_execnz .LBB40_100
; %bb.101:
	s_or_b64 exec, exec, s[10:11]
.LBB40_102:
	s_or_b64 exec, exec, s[8:9]
.LBB40_103:
	s_or_b64 exec, exec, s[6:7]
	v_mov_b32_e32 v8, 0x81
	v_mov_b32_e32 v9, 0
	v_cmp_lt_i64_e32 vcc, s[44:45], v[8:9]
	s_and_b64 vcc, exec, vcc
	s_barrier
	ds_write_b128 v18, v[0:3]
	s_waitcnt lgkmcnt(0)
	s_barrier
	s_cbranch_vccnz .LBB40_105
; %bb.104:
	ds_read_b128 v[14:17], v18 offset:2048
	s_waitcnt lgkmcnt(0)
	s_barrier
	v_add_f64 v[0:1], v[0:1], v[14:15]
	v_add_f64 v[2:3], v[2:3], v[16:17]
	ds_write_b128 v18, v[0:3]
.LBB40_105:
	v_mov_b32_e32 v8, 0x41
	v_mov_b32_e32 v9, 0
	v_cmp_lt_i64_e32 vcc, s[44:45], v[8:9]
	s_waitcnt lgkmcnt(0)
	s_barrier
	s_cbranch_vccnz .LBB40_107
; %bb.106:
	ds_read_b128 v[14:17], v18 offset:1024
	s_waitcnt lgkmcnt(0)
	s_barrier
	v_add_f64 v[0:1], v[0:1], v[14:15]
	v_add_f64 v[2:3], v[2:3], v[16:17]
	ds_write_b128 v18, v[0:3]
.LBB40_107:
	v_cmp_lt_i64_e64 s[6:7], s[44:45], 33
	s_and_b64 vcc, exec, s[6:7]
	s_waitcnt lgkmcnt(0)
	s_barrier
	s_cbranch_vccnz .LBB40_109
; %bb.108:
	ds_read_b128 v[14:17], v18 offset:512
	s_waitcnt lgkmcnt(0)
	s_barrier
	v_add_f64 v[0:1], v[0:1], v[14:15]
	v_add_f64 v[2:3], v[2:3], v[16:17]
	ds_write_b128 v18, v[0:3]
.LBB40_109:
	v_cmp_lt_i64_e64 s[6:7], s[44:45], 17
	s_and_b64 vcc, exec, s[6:7]
	;; [unrolled: 13-line block ×4, first 2 shown]
	s_waitcnt lgkmcnt(0)
	s_barrier
	s_cbranch_vccnz .LBB40_115
; %bb.114:
	ds_read_b128 v[14:17], v18 offset:64
	s_waitcnt lgkmcnt(0)
	s_barrier
	v_add_f64 v[0:1], v[0:1], v[14:15]
	v_add_f64 v[2:3], v[2:3], v[16:17]
	ds_write_b128 v18, v[0:3]
.LBB40_115:
	s_cmp_eq_u64 s[44:45], 2
	s_waitcnt lgkmcnt(0)
	s_barrier
	s_cbranch_scc1 .LBB40_117
; %bb.116:
	ds_read_b128 v[14:17], v18 offset:32
	s_waitcnt lgkmcnt(0)
	s_barrier
	v_add_f64 v[0:1], v[0:1], v[14:15]
	v_add_f64 v[2:3], v[2:3], v[16:17]
	ds_write_b128 v18, v[0:3]
.LBB40_117:
	s_waitcnt lgkmcnt(0)
	s_barrier
	ds_read_b128 v[14:17], v18 offset:16
	v_cmp_eq_u64_e32 vcc, 0, v[6:7]
	s_xor_b64 s[4:5], s[4:5], -1
	s_and_b64 s[4:5], vcc, s[4:5]
	s_waitcnt lgkmcnt(0)
	v_add_f64 v[0:1], v[0:1], v[14:15]
	v_add_f64 v[2:3], v[2:3], v[16:17]
	s_barrier
	ds_write_b128 v18, v[0:3]
	s_and_b64 exec, exec, s[4:5]
	s_cbranch_execz .LBB40_121
; %bb.118:
	v_cmp_neq_f64_e32 vcc, 0, v[10:11]
	v_cmp_neq_f64_e64 s[4:5], 0, v[12:13]
	s_or_b64 s[6:7], vcc, s[4:5]
	v_lshlrev_b64 v[4:5], 4, v[4:5]
	s_and_saveexec_b64 s[4:5], s[6:7]
	s_cbranch_execz .LBB40_120
; %bb.119:
	v_mov_b32_e32 v7, s35
	v_add_co_u32_e32 v6, vcc, s34, v4
	v_addc_co_u32_e32 v7, vcc, v7, v5, vcc
	global_load_dwordx4 v[6:9], v[6:7], off
	s_waitcnt vmcnt(0)
	v_fmac_f64_e32 v[0:1], v[10:11], v[6:7]
	v_fmac_f64_e32 v[2:3], v[12:13], v[6:7]
	v_fma_f64 v[0:1], -v[12:13], v[8:9], v[0:1]
	v_fmac_f64_e32 v[2:3], v[10:11], v[8:9]
.LBB40_120:
	s_or_b64 exec, exec, s[4:5]
	v_mov_b32_e32 v6, s35
	v_add_co_u32_e32 v4, vcc, s34, v4
	v_addc_co_u32_e32 v5, vcc, v6, v5, vcc
	global_store_dwordx4 v[4:5], v[0:3], off
.LBB40_121:
	s_endpgm
	.section	.rodata,"a",@progbits
	.p2align	6, 0x0
	.amdhsa_kernel _ZN9rocsparseL22csrmvn_adaptive_kernelIll21rocsparse_complex_numIdES2_S2_S2_EEvbT_PKS3_PjPKT0_NS_24const_host_device_scalarIT4_EES5_S9_PKT1_PKT2_SC_PT3_21rocsparse_index_base_b
		.amdhsa_group_segment_fixed_size 16384
		.amdhsa_private_segment_fixed_size 24
		.amdhsa_kernarg_size 120
		.amdhsa_user_sgpr_count 8
		.amdhsa_user_sgpr_private_segment_buffer 1
		.amdhsa_user_sgpr_dispatch_ptr 0
		.amdhsa_user_sgpr_queue_ptr 0
		.amdhsa_user_sgpr_kernarg_segment_ptr 1
		.amdhsa_user_sgpr_dispatch_id 0
		.amdhsa_user_sgpr_flat_scratch_init 1
		.amdhsa_user_sgpr_kernarg_preload_length 0
		.amdhsa_user_sgpr_kernarg_preload_offset 0
		.amdhsa_user_sgpr_private_segment_size 0
		.amdhsa_uses_dynamic_stack 0
		.amdhsa_system_sgpr_private_segment_wavefront_offset 1
		.amdhsa_system_sgpr_workgroup_id_x 1
		.amdhsa_system_sgpr_workgroup_id_y 0
		.amdhsa_system_sgpr_workgroup_id_z 0
		.amdhsa_system_sgpr_workgroup_info 0
		.amdhsa_system_vgpr_workitem_id 0
		.amdhsa_next_free_vgpr 58
		.amdhsa_next_free_sgpr 67
		.amdhsa_accum_offset 60
		.amdhsa_reserve_vcc 1
		.amdhsa_reserve_flat_scratch 1
		.amdhsa_float_round_mode_32 0
		.amdhsa_float_round_mode_16_64 0
		.amdhsa_float_denorm_mode_32 3
		.amdhsa_float_denorm_mode_16_64 3
		.amdhsa_dx10_clamp 1
		.amdhsa_ieee_mode 1
		.amdhsa_fp16_overflow 0
		.amdhsa_tg_split 0
		.amdhsa_exception_fp_ieee_invalid_op 0
		.amdhsa_exception_fp_denorm_src 0
		.amdhsa_exception_fp_ieee_div_zero 0
		.amdhsa_exception_fp_ieee_overflow 0
		.amdhsa_exception_fp_ieee_underflow 0
		.amdhsa_exception_fp_ieee_inexact 0
		.amdhsa_exception_int_div_zero 0
	.end_amdhsa_kernel
	.section	.text._ZN9rocsparseL22csrmvn_adaptive_kernelIll21rocsparse_complex_numIdES2_S2_S2_EEvbT_PKS3_PjPKT0_NS_24const_host_device_scalarIT4_EES5_S9_PKT1_PKT2_SC_PT3_21rocsparse_index_base_b,"axG",@progbits,_ZN9rocsparseL22csrmvn_adaptive_kernelIll21rocsparse_complex_numIdES2_S2_S2_EEvbT_PKS3_PjPKT0_NS_24const_host_device_scalarIT4_EES5_S9_PKT1_PKT2_SC_PT3_21rocsparse_index_base_b,comdat
.Lfunc_end40:
	.size	_ZN9rocsparseL22csrmvn_adaptive_kernelIll21rocsparse_complex_numIdES2_S2_S2_EEvbT_PKS3_PjPKT0_NS_24const_host_device_scalarIT4_EES5_S9_PKT1_PKT2_SC_PT3_21rocsparse_index_base_b, .Lfunc_end40-_ZN9rocsparseL22csrmvn_adaptive_kernelIll21rocsparse_complex_numIdES2_S2_S2_EEvbT_PKS3_PjPKT0_NS_24const_host_device_scalarIT4_EES5_S9_PKT1_PKT2_SC_PT3_21rocsparse_index_base_b
                                        ; -- End function
	.section	.AMDGPU.csdata,"",@progbits
; Kernel info:
; codeLenInByte = 5472
; NumSgprs: 73
; NumVgprs: 58
; NumAgprs: 0
; TotalNumVgprs: 58
; ScratchSize: 24
; MemoryBound: 0
; FloatMode: 240
; IeeeMode: 1
; LDSByteSize: 16384 bytes/workgroup (compile time only)
; SGPRBlocks: 9
; VGPRBlocks: 7
; NumSGPRsForWavesPerEU: 73
; NumVGPRsForWavesPerEU: 58
; AccumOffset: 60
; Occupancy: 4
; WaveLimiterHint : 1
; COMPUTE_PGM_RSRC2:SCRATCH_EN: 1
; COMPUTE_PGM_RSRC2:USER_SGPR: 8
; COMPUTE_PGM_RSRC2:TRAP_HANDLER: 0
; COMPUTE_PGM_RSRC2:TGID_X_EN: 1
; COMPUTE_PGM_RSRC2:TGID_Y_EN: 0
; COMPUTE_PGM_RSRC2:TGID_Z_EN: 0
; COMPUTE_PGM_RSRC2:TIDIG_COMP_CNT: 0
; COMPUTE_PGM_RSRC3_GFX90A:ACCUM_OFFSET: 14
; COMPUTE_PGM_RSRC3_GFX90A:TG_SPLIT: 0
	.section	.text._ZN9rocsparseL22partial_scale_y_kernelIl21rocsparse_complex_numIdES2_EEvT_S3_S3_NS_24const_host_device_scalarIT1_EEPT0_b,"axG",@progbits,_ZN9rocsparseL22partial_scale_y_kernelIl21rocsparse_complex_numIdES2_EEvT_S3_S3_NS_24const_host_device_scalarIT1_EEPT0_b,comdat
	.globl	_ZN9rocsparseL22partial_scale_y_kernelIl21rocsparse_complex_numIdES2_EEvT_S3_S3_NS_24const_host_device_scalarIT1_EEPT0_b ; -- Begin function _ZN9rocsparseL22partial_scale_y_kernelIl21rocsparse_complex_numIdES2_EEvT_S3_S3_NS_24const_host_device_scalarIT1_EEPT0_b
	.p2align	8
	.type	_ZN9rocsparseL22partial_scale_y_kernelIl21rocsparse_complex_numIdES2_EEvT_S3_S3_NS_24const_host_device_scalarIT1_EEPT0_b,@function
_ZN9rocsparseL22partial_scale_y_kernelIl21rocsparse_complex_numIdES2_EEvT_S3_S3_NS_24const_host_device_scalarIT1_EEPT0_b: ; @_ZN9rocsparseL22partial_scale_y_kernelIl21rocsparse_complex_numIdES2_EEvT_S3_S3_NS_24const_host_device_scalarIT1_EEPT0_b
; %bb.0:
	s_load_dword s2, s[6:7], 0x30
	s_load_dwordx2 s[0:1], s[4:5], 0x4
	s_load_dwordx8 s[12:19], s[6:7], 0x0
	v_and_b32_e32 v4, 0x3ff, v0
	v_bfe_u32 v2, v0, 10, 10
	s_waitcnt lgkmcnt(0)
	s_and_b32 s2, 1, s2
	s_lshr_b32 s0, s0, 16
	s_mul_i32 s0, s0, s1
	v_mul_lo_u32 v1, s0, v4
	s_cmp_eq_u32 s2, 1
	v_mad_u32_u24 v1, v2, s1, v1
	v_bfe_u32 v0, v0, 20, 10
	v_add_lshl_u32 v2, v1, v0, 3
	v_pk_mov_b32 v[0:1], s[18:19], s[18:19] op_sel:[0,1]
	s_cselect_b64 vcc, -1, 0
	ds_write_b64 v2, v[0:1]
	s_mov_b64 s[0:1], src_shared_base
	v_cndmask_b32_e32 v0, v0, v2, vcc
	s_and_b64 vcc, vcc, exec
	s_cselect_b32 s0, s1, s19
	v_mov_b32_e32 v1, s0
	flat_load_dwordx2 v[0:1], v[0:1]
	s_load_dwordx2 s[0:1], s[6:7], 0x20
	s_waitcnt lgkmcnt(0)
	v_pk_mov_b32 v[2:3], s[0:1], s[0:1] op_sel:[0,1]
	s_cbranch_vccnz .LBB41_2
; %bb.1:
	v_pk_mov_b32 v[2:3], s[18:19], s[18:19] op_sel:[0,1]
	flat_load_dwordx2 v[2:3], v[2:3] offset:8
.LBB41_2:
	s_waitcnt vmcnt(0)
	v_cmp_neq_f64_e32 vcc, 1.0, v[0:1]
	s_waitcnt lgkmcnt(0)
	v_cmp_neq_f64_e64 s[0:1], 0, v[2:3]
	s_or_b64 s[0:1], vcc, s[0:1]
	s_and_saveexec_b64 s[2:3], s[0:1]
	s_cbranch_execz .LBB41_15
; %bb.3:
	s_add_u32 s0, s14, s12
	s_addc_u32 s1, s15, s13
	s_sub_u32 s0, s0, s16
	v_lshl_or_b32 v4, s8, 8, v4
	v_mov_b32_e32 v5, 0
	s_subb_u32 s1, s1, s17
	v_cmp_gt_i64_e32 vcc, s[0:1], v[4:5]
	s_and_b64 exec, exec, vcc
	s_cbranch_execz .LBB41_15
; %bb.4:
	s_load_dwordx2 s[4:5], s[6:7], 0x28
	v_cmp_neq_f64_e64 s[0:1], 0, v[0:1]
	v_cmp_neq_f64_e64 s[2:3], 0, v[2:3]
	v_cmp_le_i64_e32 vcc, s[14:15], v[4:5]
	s_or_b64 s[0:1], s[0:1], s[2:3]
	s_and_saveexec_b64 s[2:3], vcc
	s_xor_b64 s[2:3], exec, s[2:3]
	s_cbranch_execz .LBB41_10
; %bb.5:
	v_mov_b32_e32 v5, s15
	v_subrev_co_u32_e32 v4, vcc, s14, v4
	s_lshl_b64 s[6:7], s[16:17], 4
	v_subb_co_u32_e32 v5, vcc, 0, v5, vcc
	s_waitcnt lgkmcnt(0)
	s_add_u32 s6, s6, s4
	v_lshlrev_b64 v[4:5], 4, v[4:5]
	s_addc_u32 s7, s7, s5
	v_mov_b32_e32 v6, s7
	v_add_co_u32_e32 v4, vcc, s6, v4
	v_addc_co_u32_e32 v5, vcc, v6, v5, vcc
	s_and_saveexec_b64 s[6:7], s[0:1]
	s_xor_b64 s[6:7], exec, s[6:7]
	s_cbranch_execz .LBB41_7
; %bb.6:
	global_load_dwordx4 v[6:9], v[4:5], off
	s_waitcnt vmcnt(0)
	v_mul_f64 v[10:11], v[2:3], -v[8:9]
	v_mul_f64 v[12:13], v[2:3], v[6:7]
	v_fmac_f64_e32 v[10:11], v[6:7], v[0:1]
	v_fmac_f64_e32 v[12:13], v[8:9], v[0:1]
	global_store_dwordx4 v[4:5], v[10:13], off
                                        ; implicit-def: $vgpr4_vgpr5
.LBB41_7:
	s_andn2_saveexec_b64 s[6:7], s[6:7]
	s_cbranch_execz .LBB41_9
; %bb.8:
	v_mov_b32_e32 v0, 0
	v_mov_b32_e32 v1, v0
	;; [unrolled: 1-line block ×4, first 2 shown]
	global_store_dwordx4 v[4:5], v[0:3], off
.LBB41_9:
	s_or_b64 exec, exec, s[6:7]
                                        ; implicit-def: $vgpr4_vgpr5
                                        ; implicit-def: $vgpr2_vgpr3
                                        ; implicit-def: $vgpr0_vgpr1
.LBB41_10:
	s_andn2_saveexec_b64 s[2:3], s[2:3]
	s_cbranch_execz .LBB41_15
; %bb.11:
	v_lshlrev_b64 v[4:5], 4, v[4:5]
	s_waitcnt lgkmcnt(0)
	v_mov_b32_e32 v6, s5
	v_add_co_u32_e32 v4, vcc, s4, v4
	v_addc_co_u32_e32 v5, vcc, v6, v5, vcc
	s_and_saveexec_b64 s[2:3], s[0:1]
	s_xor_b64 s[0:1], exec, s[2:3]
	s_cbranch_execz .LBB41_13
; %bb.12:
	global_load_dwordx4 v[6:9], v[4:5], off
	s_waitcnt vmcnt(0)
	v_mul_f64 v[10:11], v[2:3], -v[8:9]
	v_mul_f64 v[12:13], v[2:3], v[6:7]
	v_fmac_f64_e32 v[10:11], v[6:7], v[0:1]
	v_fmac_f64_e32 v[12:13], v[8:9], v[0:1]
	global_store_dwordx4 v[4:5], v[10:13], off
                                        ; implicit-def: $vgpr4_vgpr5
.LBB41_13:
	s_andn2_saveexec_b64 s[0:1], s[0:1]
	s_cbranch_execz .LBB41_15
; %bb.14:
	v_mov_b32_e32 v0, 0
	v_mov_b32_e32 v1, v0
	v_mov_b32_e32 v2, v0
	v_mov_b32_e32 v3, v0
	global_store_dwordx4 v[4:5], v[0:3], off
.LBB41_15:
	s_endpgm
	.section	.rodata,"a",@progbits
	.p2align	6, 0x0
	.amdhsa_kernel _ZN9rocsparseL22partial_scale_y_kernelIl21rocsparse_complex_numIdES2_EEvT_S3_S3_NS_24const_host_device_scalarIT1_EEPT0_b
		.amdhsa_group_segment_fixed_size 2048
		.amdhsa_private_segment_fixed_size 0
		.amdhsa_kernarg_size 52
		.amdhsa_user_sgpr_count 8
		.amdhsa_user_sgpr_private_segment_buffer 1
		.amdhsa_user_sgpr_dispatch_ptr 1
		.amdhsa_user_sgpr_queue_ptr 0
		.amdhsa_user_sgpr_kernarg_segment_ptr 1
		.amdhsa_user_sgpr_dispatch_id 0
		.amdhsa_user_sgpr_flat_scratch_init 0
		.amdhsa_user_sgpr_kernarg_preload_length 0
		.amdhsa_user_sgpr_kernarg_preload_offset 0
		.amdhsa_user_sgpr_private_segment_size 0
		.amdhsa_uses_dynamic_stack 0
		.amdhsa_system_sgpr_private_segment_wavefront_offset 0
		.amdhsa_system_sgpr_workgroup_id_x 1
		.amdhsa_system_sgpr_workgroup_id_y 0
		.amdhsa_system_sgpr_workgroup_id_z 0
		.amdhsa_system_sgpr_workgroup_info 0
		.amdhsa_system_vgpr_workitem_id 2
		.amdhsa_next_free_vgpr 14
		.amdhsa_next_free_sgpr 20
		.amdhsa_accum_offset 16
		.amdhsa_reserve_vcc 1
		.amdhsa_reserve_flat_scratch 0
		.amdhsa_float_round_mode_32 0
		.amdhsa_float_round_mode_16_64 0
		.amdhsa_float_denorm_mode_32 3
		.amdhsa_float_denorm_mode_16_64 3
		.amdhsa_dx10_clamp 1
		.amdhsa_ieee_mode 1
		.amdhsa_fp16_overflow 0
		.amdhsa_tg_split 0
		.amdhsa_exception_fp_ieee_invalid_op 0
		.amdhsa_exception_fp_denorm_src 0
		.amdhsa_exception_fp_ieee_div_zero 0
		.amdhsa_exception_fp_ieee_overflow 0
		.amdhsa_exception_fp_ieee_underflow 0
		.amdhsa_exception_fp_ieee_inexact 0
		.amdhsa_exception_int_div_zero 0
	.end_amdhsa_kernel
	.section	.text._ZN9rocsparseL22partial_scale_y_kernelIl21rocsparse_complex_numIdES2_EEvT_S3_S3_NS_24const_host_device_scalarIT1_EEPT0_b,"axG",@progbits,_ZN9rocsparseL22partial_scale_y_kernelIl21rocsparse_complex_numIdES2_EEvT_S3_S3_NS_24const_host_device_scalarIT1_EEPT0_b,comdat
.Lfunc_end41:
	.size	_ZN9rocsparseL22partial_scale_y_kernelIl21rocsparse_complex_numIdES2_EEvT_S3_S3_NS_24const_host_device_scalarIT1_EEPT0_b, .Lfunc_end41-_ZN9rocsparseL22partial_scale_y_kernelIl21rocsparse_complex_numIdES2_EEvT_S3_S3_NS_24const_host_device_scalarIT1_EEPT0_b
                                        ; -- End function
	.section	.AMDGPU.csdata,"",@progbits
; Kernel info:
; codeLenInByte = 560
; NumSgprs: 24
; NumVgprs: 14
; NumAgprs: 0
; TotalNumVgprs: 14
; ScratchSize: 0
; MemoryBound: 0
; FloatMode: 240
; IeeeMode: 1
; LDSByteSize: 2048 bytes/workgroup (compile time only)
; SGPRBlocks: 2
; VGPRBlocks: 1
; NumSGPRsForWavesPerEU: 24
; NumVGPRsForWavesPerEU: 14
; AccumOffset: 16
; Occupancy: 8
; WaveLimiterHint : 0
; COMPUTE_PGM_RSRC2:SCRATCH_EN: 0
; COMPUTE_PGM_RSRC2:USER_SGPR: 8
; COMPUTE_PGM_RSRC2:TRAP_HANDLER: 0
; COMPUTE_PGM_RSRC2:TGID_X_EN: 1
; COMPUTE_PGM_RSRC2:TGID_Y_EN: 0
; COMPUTE_PGM_RSRC2:TGID_Z_EN: 0
; COMPUTE_PGM_RSRC2:TIDIG_COMP_CNT: 2
; COMPUTE_PGM_RSRC3_GFX90A:ACCUM_OFFSET: 3
; COMPUTE_PGM_RSRC3_GFX90A:TG_SPLIT: 0
	.section	.text._ZN9rocsparseL27csrmvn_symm_adaptive_kernelIll21rocsparse_complex_numIdES2_S2_S2_EEvbT_S3_PKS3_NS_24const_host_device_scalarIT4_EES5_PKT0_PKT1_PKT2_S8_PT3_21rocsparse_index_base_b,"axG",@progbits,_ZN9rocsparseL27csrmvn_symm_adaptive_kernelIll21rocsparse_complex_numIdES2_S2_S2_EEvbT_S3_PKS3_NS_24const_host_device_scalarIT4_EES5_PKT0_PKT1_PKT2_S8_PT3_21rocsparse_index_base_b,comdat
	.globl	_ZN9rocsparseL27csrmvn_symm_adaptive_kernelIll21rocsparse_complex_numIdES2_S2_S2_EEvbT_S3_PKS3_NS_24const_host_device_scalarIT4_EES5_PKT0_PKT1_PKT2_S8_PT3_21rocsparse_index_base_b ; -- Begin function _ZN9rocsparseL27csrmvn_symm_adaptive_kernelIll21rocsparse_complex_numIdES2_S2_S2_EEvbT_S3_PKS3_NS_24const_host_device_scalarIT4_EES5_PKT0_PKT1_PKT2_S8_PT3_21rocsparse_index_base_b
	.p2align	8
	.type	_ZN9rocsparseL27csrmvn_symm_adaptive_kernelIll21rocsparse_complex_numIdES2_S2_S2_EEvbT_S3_PKS3_NS_24const_host_device_scalarIT4_EES5_PKT0_PKT1_PKT2_S8_PT3_21rocsparse_index_base_b,@function
_ZN9rocsparseL27csrmvn_symm_adaptive_kernelIll21rocsparse_complex_numIdES2_S2_S2_EEvbT_S3_PKS3_NS_24const_host_device_scalarIT4_EES5_PKT0_PKT1_PKT2_S8_PT3_21rocsparse_index_base_b: ; @_ZN9rocsparseL27csrmvn_symm_adaptive_kernelIll21rocsparse_complex_numIdES2_S2_S2_EEvbT_S3_PKS3_NS_24const_host_device_scalarIT4_EES5_PKT0_PKT1_PKT2_S8_PT3_21rocsparse_index_base_b
; %bb.0:
	s_add_u32 flat_scratch_lo, s6, s9
	s_addc_u32 flat_scratch_hi, s7, 0
	s_load_dwordx2 s[38:39], s[4:5], 0x68
	s_load_dwordx4 s[16:19], s[4:5], 0x20
	s_load_dwordx4 s[12:15], s[4:5], 0x50
	s_add_u32 s0, s0, s9
	s_addc_u32 s1, s1, 0
	s_waitcnt lgkmcnt(0)
	s_bitcmp1_b32 s39, 0
	v_mov_b32_e32 v1, 0
	v_mov_b32_e32 v3, s16
	s_cselect_b64 s[6:7], -1, 0
	v_cndmask_b32_e64 v2, v3, v1, s[6:7]
	v_mov_b32_e32 v1, s17
	s_mov_b64 s[10:11], src_private_base
	s_and_b64 vcc, s[6:7], exec
	buffer_store_dword v1, off, s[0:3], 0 offset:4
	buffer_store_dword v3, off, s[0:3], 0
	v_mov_b32_e32 v1, s13
	s_cselect_b32 s9, s11, s17
	buffer_store_dword v1, off, s[0:3], 0 offset:12
	v_mov_b32_e32 v1, s12
	buffer_store_dword v1, off, s[0:3], 0 offset:8
	v_mov_b32_e32 v3, s9
	flat_load_dwordx2 v[10:11], v[2:3]
	s_xor_b64 s[20:21], s[6:7], -1
	v_pk_mov_b32 v[12:13], s[18:19], s[18:19] op_sel:[0,1]
	s_cbranch_vccnz .LBB42_2
; %bb.1:
	v_pk_mov_b32 v[2:3], s[16:17], s[16:17] op_sel:[0,1]
	flat_load_dwordx2 v[12:13], v[2:3] offset:8
.LBB42_2:
	s_and_b64 s[16:17], s[6:7], exec
	s_cselect_b32 s9, s11, s13
	v_mov_b32_e32 v1, 8
	v_mov_b32_e32 v2, s12
	v_cndmask_b32_e64 v2, v2, v1, s[6:7]
	v_mov_b32_e32 v3, s9
	flat_load_dwordx2 v[2:3], v[2:3]
	s_andn2_b64 vcc, exec, s[20:21]
	v_pk_mov_b32 v[4:5], s[14:15], s[14:15] op_sel:[0,1]
	s_cbranch_vccnz .LBB42_4
; %bb.3:
	v_pk_mov_b32 v[4:5], s[12:13], s[12:13] op_sel:[0,1]
	flat_load_dwordx2 v[4:5], v[4:5] offset:8
.LBB42_4:
	s_waitcnt vmcnt(0) lgkmcnt(0)
	v_cmp_eq_f64_e32 vcc, 0, v[10:11]
	v_cmp_eq_f64_e64 s[6:7], 0, v[12:13]
	s_and_b64 s[12:13], vcc, s[6:7]
	s_mov_b64 s[6:7], -1
	s_and_saveexec_b64 s[10:11], s[12:13]
; %bb.5:
	v_cmp_neq_f64_e32 vcc, 1.0, v[2:3]
	v_cmp_neq_f64_e64 s[6:7], 0, v[4:5]
	s_or_b64 s[6:7], vcc, s[6:7]
	s_orn2_b64 s[6:7], s[6:7], exec
; %bb.6:
	s_or_b64 exec, exec, s[10:11]
	s_and_saveexec_b64 s[10:11], s[6:7]
	s_cbranch_execz .LBB42_196
; %bb.7:
	s_load_dword s6, s[4:5], 0x0
	s_load_dwordx2 s[10:11], s[4:5], 0x18
	s_mov_b32 s33, 0
	s_mov_b32 s12, s33
	;; [unrolled: 1-line block ×3, first 2 shown]
	s_waitcnt lgkmcnt(0)
	s_bitcmp1_b32 s6, 0
	s_cselect_b64 s[6:7], -1, 0
	s_ashr_i32 s9, s8, 31
	s_lshl_b64 s[8:9], s[8:9], 3
	s_mov_b32 s14, s33
	s_mov_b32 s15, s33
	v_pk_mov_b32 v[2:3], s[12:13], s[12:13] op_sel:[0,1]
	s_add_u32 s8, s10, s8
	v_lshlrev_b32_e32 v26, 4, v0
	v_pk_mov_b32 v[4:5], s[14:15], s[14:15] op_sel:[0,1]
	s_addc_u32 s9, s11, s9
	ds_write_b128 v26, v[2:5]
	ds_write_b128 v26, v[2:5] offset:4096
	ds_write_b128 v26, v[2:5] offset:8192
	ds_write_b128 v26, v[2:5] offset:12288
	s_waitcnt lgkmcnt(0)
	s_barrier
	s_load_dwordx4 s[28:31], s[8:9], 0x0
	s_load_dwordx2 s[34:35], s[4:5], 0x60
	s_load_dwordx8 s[20:27], s[4:5], 0x30
	s_mov_b64 s[8:9], -1
	s_waitcnt lgkmcnt(0)
	s_sub_u32 s36, s30, s28
	s_subb_u32 s37, s31, s29
	v_cmp_gt_i64_e64 s[10:11], s[36:37], 2
	s_and_b64 vcc, exec, s[10:11]
	s_cbranch_vccnz .LBB42_53
; %bb.8:
	v_pk_mov_b32 v[2:3], s[28:29], s[28:29] op_sel:[0,1]
	v_cmp_gt_i64_e32 vcc, s[30:31], v[2:3]
	v_subrev_co_u32_e64 v1, s[8:9], s38, v0
	v_subb_co_u32_e64 v16, s[8:9], 0, 0, s[8:9]
	s_cbranch_vccnz .LBB42_10
; %bb.9:
	s_lshl_b64 s[8:9], s[28:29], 3
	s_add_u32 s8, s20, s8
	s_addc_u32 s9, s21, s9
	s_load_dwordx2 s[40:41], s[8:9], 0x0
	s_cbranch_execz .LBB42_11
	s_branch .LBB42_40
.LBB42_10:
                                        ; implicit-def: $sgpr40_sgpr41
.LBB42_11:
	s_lshl_b64 s[18:19], s[28:29], 3
	s_add_u32 s18, s20, s18
	s_addc_u32 s19, s21, s19
	s_waitcnt lgkmcnt(0)
	s_load_dwordx2 s[40:41], s[18:19], 0x0
	s_add_u32 s52, s20, 8
	s_addc_u32 s53, s21, 0
	s_movk_i32 s39, 0x100
	s_add_u32 s54, s24, 8
	v_cmp_gt_u32_e64 s[8:9], s39, v0
	v_cmp_gt_u32_e64 s[10:11], 64, v0
	v_cmp_gt_u32_e64 s[12:13], 16, v0
	v_cmp_gt_u32_e64 s[14:15], 4, v0
	v_cmp_eq_u32_e64 s[16:17], 0, v0
	s_addc_u32 s55, s25, 0
	v_mov_b32_e32 v17, s33
	v_mov_b32_e32 v18, s27
	;; [unrolled: 1-line block ×3, first 2 shown]
	s_waitcnt lgkmcnt(0)
	s_mov_b64 s[44:45], s[40:41]
	s_mov_b64 s[42:43], s[28:29]
	s_branch .LBB42_13
.LBB42_12:                              ;   in Loop: Header=BB42_13 Depth=1
	s_or_b64 exec, exec, s[18:19]
	s_add_u32 s42, s42, 1
	s_addc_u32 s43, s43, 0
	v_pk_mov_b32 v[2:3], s[30:31], s[30:31] op_sel:[0,1]
	v_cmp_ge_i64_e32 vcc, s[42:43], v[2:3]
	s_cbranch_vccnz .LBB42_40
.LBB42_13:                              ; =>This Loop Header: Depth=1
                                        ;     Child Loop BB42_15 Depth 2
                                        ;     Child Loop BB42_29 Depth 2
	;; [unrolled: 1-line block ×5, first 2 shown]
	s_mov_b64 s[18:19], s[44:45]
	s_lshl_b64 s[44:45], s[42:43], 3
	s_add_u32 s44, s52, s44
	s_addc_u32 s45, s53, s45
	s_load_dwordx2 s[44:45], s[44:45], 0x0
	v_mov_b32_e32 v2, s19
	v_add_co_u32_e32 v6, vcc, s18, v1
	v_addc_co_u32_e32 v7, vcc, v2, v16, vcc
	s_waitcnt lgkmcnt(0)
	s_sub_u32 s46, s44, s38
	s_subb_u32 s47, s45, 0
	v_pk_mov_b32 v[4:5], 0, 0
	v_cmp_gt_i64_e32 vcc, s[46:47], v[6:7]
	v_pk_mov_b32 v[2:3], v[4:5], v[4:5] op_sel:[0,1]
	s_and_saveexec_b64 s[48:49], vcc
	s_cbranch_execz .LBB42_17
; %bb.14:                               ;   in Loop: Header=BB42_13 Depth=1
	v_lshlrev_b64 v[2:3], 3, v[6:7]
	v_mov_b32_e32 v4, s23
	v_add_co_u32_e32 v8, vcc, s22, v2
	v_addc_co_u32_e32 v9, vcc, v4, v3, vcc
	v_lshlrev_b64 v[2:3], 4, v[6:7]
	v_mov_b32_e32 v4, s55
	v_add_co_u32_e32 v14, vcc, s54, v2
	v_addc_co_u32_e32 v15, vcc, v4, v3, vcc
	v_pk_mov_b32 v[4:5], 0, 0
	s_mov_b64 s[50:51], 0
	v_pk_mov_b32 v[2:3], v[4:5], v[4:5] op_sel:[0,1]
.LBB42_15:                              ;   Parent Loop BB42_13 Depth=1
                                        ; =>  This Inner Loop Header: Depth=2
	global_load_dwordx2 v[24:25], v[8:9], off
	global_load_dwordx4 v[20:23], v[14:15], off offset:-8
	s_waitcnt vmcnt(1)
	v_subrev_co_u32_e32 v24, vcc, s38, v24
	v_subb_co_u32_e32 v25, vcc, v25, v17, vcc
	v_lshlrev_b64 v[24:25], 4, v[24:25]
	v_add_co_u32_e32 v24, vcc, s26, v24
	v_addc_co_u32_e32 v25, vcc, v18, v25, vcc
	global_load_dwordx4 v[28:31], v[24:25], off
	v_add_co_u32_e32 v6, vcc, s39, v6
	v_addc_co_u32_e32 v7, vcc, 0, v7, vcc
	v_add_co_u32_e32 v8, vcc, 0x800, v8
	s_waitcnt vmcnt(1)
	v_xor_b32_e32 v24, 0x80000000, v23
	v_addc_co_u32_e32 v9, vcc, 0, v9, vcc
	v_cndmask_b32_e64 v23, v23, v24, s[6:7]
	v_add_co_u32_e32 v14, vcc, 0x1000, v14
	v_cmp_le_i64_e64 s[18:19], s[46:47], v[6:7]
	v_addc_co_u32_e32 v15, vcc, 0, v15, vcc
	s_or_b64 s[50:51], s[18:19], s[50:51]
	s_waitcnt vmcnt(0)
	v_fmac_f64_e32 v[2:3], v[20:21], v[28:29]
	v_fmac_f64_e32 v[4:5], v[22:23], v[28:29]
	v_fma_f64 v[2:3], -v[22:23], v[30:31], v[2:3]
	v_fmac_f64_e32 v[4:5], v[20:21], v[30:31]
	s_andn2_b64 exec, exec, s[50:51]
	s_cbranch_execnz .LBB42_15
; %bb.16:                               ;   in Loop: Header=BB42_13 Depth=1
	s_or_b64 exec, exec, s[50:51]
.LBB42_17:                              ;   in Loop: Header=BB42_13 Depth=1
	s_or_b64 exec, exec, s[48:49]
	ds_write_b128 v26, v[2:5]
	s_waitcnt lgkmcnt(0)
	s_barrier
	s_and_saveexec_b64 s[18:19], s[8:9]
	s_cbranch_execz .LBB42_19
; %bb.18:                               ;   in Loop: Header=BB42_13 Depth=1
	ds_read_b128 v[2:5], v26 offset:4096
	ds_read_b128 v[6:9], v26 offset:8192
	ds_read_b128 v[20:23], v26 offset:12288
	ds_read_b128 v[28:31], v26
	s_waitcnt lgkmcnt(2)
	v_add_f64 v[2:3], v[6:7], v[2:3]
	v_add_f64 v[4:5], v[8:9], v[4:5]
	s_waitcnt lgkmcnt(1)
	v_add_f64 v[2:3], v[2:3], v[20:21]
	v_add_f64 v[4:5], v[4:5], v[22:23]
	s_waitcnt lgkmcnt(0)
	v_add_f64 v[2:3], v[2:3], v[28:29]
	v_add_f64 v[4:5], v[4:5], v[30:31]
	ds_write_b128 v26, v[2:5]
.LBB42_19:                              ;   in Loop: Header=BB42_13 Depth=1
	s_or_b64 exec, exec, s[18:19]
	s_waitcnt lgkmcnt(0)
	s_barrier
	s_and_saveexec_b64 s[18:19], s[10:11]
	s_cbranch_execz .LBB42_21
; %bb.20:                               ;   in Loop: Header=BB42_13 Depth=1
	ds_read_b128 v[2:5], v26 offset:1024
	ds_read_b128 v[6:9], v26 offset:2048
	ds_read_b128 v[20:23], v26 offset:3072
	ds_read_b128 v[28:31], v26
	s_waitcnt lgkmcnt(2)
	v_add_f64 v[2:3], v[6:7], v[2:3]
	v_add_f64 v[4:5], v[8:9], v[4:5]
	s_waitcnt lgkmcnt(1)
	v_add_f64 v[2:3], v[2:3], v[20:21]
	v_add_f64 v[4:5], v[4:5], v[22:23]
	s_waitcnt lgkmcnt(0)
	v_add_f64 v[2:3], v[2:3], v[28:29]
	v_add_f64 v[4:5], v[4:5], v[30:31]
	ds_write_b128 v26, v[2:5]
.LBB42_21:                              ;   in Loop: Header=BB42_13 Depth=1
	s_or_b64 exec, exec, s[18:19]
	;; [unrolled: 21-line block ×5, first 2 shown]
	s_waitcnt lgkmcnt(0)
	s_barrier
	s_and_saveexec_b64 s[18:19], s[16:17]
	s_cbranch_execz .LBB42_12
; %bb.28:                               ;   in Loop: Header=BB42_13 Depth=1
	ds_read_b128 v[2:5], v19
	v_mov_b32_e32 v14, 0
	s_mov_b64 s[46:47], exec
	v_bfrev_b32_e32 v15, 1
	s_waitcnt lgkmcnt(0)
	v_mul_f64 v[6:7], v[4:5], -v[12:13]
	v_fmac_f64_e32 v[6:7], v[10:11], v[2:3]
.LBB42_29:                              ;   Parent Loop BB42_13 Depth=1
                                        ; =>  This Inner Loop Header: Depth=2
	s_ff1_i32_b64 s50, s[46:47]
	v_readlane_b32 s49, v7, s50
	v_readlane_b32 s48, v6, s50
	s_lshl_b64 s[50:51], 1, s50
	s_andn2_b64 s[46:47], s[46:47], s[50:51]
	s_cmp_lg_u64 s[46:47], 0
	v_add_f64 v[14:15], v[14:15], s[48:49]
	s_cbranch_scc1 .LBB42_29
; %bb.30:                               ;   in Loop: Header=BB42_13 Depth=1
	s_lshl_b64 s[46:47], s[42:43], 4
	v_mbcnt_lo_u32_b32 v6, exec_lo, 0
	s_add_u32 s46, s34, s46
	v_mbcnt_hi_u32_b32 v6, exec_hi, v6
	s_addc_u32 s47, s35, s47
	v_cmp_eq_u32_e32 vcc, 0, v6
	s_and_saveexec_b64 s[48:49], vcc
	s_xor_b64 s[48:49], exec, s[48:49]
	s_cbranch_execz .LBB42_34
; %bb.31:                               ;   in Loop: Header=BB42_13 Depth=1
	global_load_dwordx2 v[8:9], v19, s[46:47]
	s_mov_b64 s[50:51], 0
.LBB42_32:                              ;   Parent Loop BB42_13 Depth=1
                                        ; =>  This Inner Loop Header: Depth=2
	s_waitcnt vmcnt(0)
	v_add_f64 v[6:7], v[8:9], v[14:15]
	global_atomic_cmpswap_x2 v[6:7], v19, v[6:9], s[46:47] glc
	s_waitcnt vmcnt(0)
	v_cmp_eq_u64_e32 vcc, v[6:7], v[8:9]
	s_or_b64 s[50:51], vcc, s[50:51]
	v_pk_mov_b32 v[8:9], v[6:7], v[6:7] op_sel:[0,1]
	s_andn2_b64 exec, exec, s[50:51]
	s_cbranch_execnz .LBB42_32
; %bb.33:                               ;   in Loop: Header=BB42_13 Depth=1
	s_or_b64 exec, exec, s[50:51]
.LBB42_34:                              ;   in Loop: Header=BB42_13 Depth=1
	s_or_b64 exec, exec, s[48:49]
	v_mul_f64 v[4:5], v[10:11], v[4:5]
	v_mov_b32_e32 v6, 0
	s_mov_b64 s[48:49], exec
	v_fmac_f64_e32 v[4:5], v[12:13], v[2:3]
	v_bfrev_b32_e32 v7, 1
.LBB42_35:                              ;   Parent Loop BB42_13 Depth=1
                                        ; =>  This Inner Loop Header: Depth=2
	s_ff1_i32_b64 s56, s[48:49]
	v_readlane_b32 s51, v5, s56
	v_readlane_b32 s50, v4, s56
	s_lshl_b64 s[56:57], 1, s56
	s_andn2_b64 s[48:49], s[48:49], s[56:57]
	s_cmp_lg_u64 s[48:49], 0
	v_add_f64 v[6:7], v[6:7], s[50:51]
	s_cbranch_scc1 .LBB42_35
; %bb.36:                               ;   in Loop: Header=BB42_13 Depth=1
	v_mbcnt_lo_u32_b32 v2, exec_lo, 0
	v_mbcnt_hi_u32_b32 v2, exec_hi, v2
	v_cmp_eq_u32_e32 vcc, 0, v2
	s_and_saveexec_b64 s[48:49], vcc
	s_xor_b64 s[48:49], exec, s[48:49]
	s_cbranch_execz .LBB42_12
; %bb.37:                               ;   in Loop: Header=BB42_13 Depth=1
	global_load_dwordx2 v[4:5], v19, s[46:47] offset:8
	s_mov_b64 s[48:49], 0
.LBB42_38:                              ;   Parent Loop BB42_13 Depth=1
                                        ; =>  This Inner Loop Header: Depth=2
	s_waitcnt vmcnt(0)
	v_add_f64 v[2:3], v[4:5], v[6:7]
	global_atomic_cmpswap_x2 v[2:3], v19, v[2:5], s[46:47] offset:8 glc
	s_waitcnt vmcnt(0)
	v_cmp_eq_u64_e32 vcc, v[2:3], v[4:5]
	s_or_b64 s[48:49], vcc, s[48:49]
	v_pk_mov_b32 v[4:5], v[2:3], v[2:3] op_sel:[0,1]
	s_andn2_b64 exec, exec, s[48:49]
	s_cbranch_execnz .LBB42_38
; %bb.39:                               ;   in Loop: Header=BB42_13 Depth=1
	s_or_b64 exec, exec, s[48:49]
	s_branch .LBB42_12
.LBB42_40:
	s_lshl_b64 s[8:9], s[30:31], 3
	s_add_u32 s8, s20, s8
	s_addc_u32 s9, s21, s9
	s_load_dwordx2 s[8:9], s[8:9], 0x0
	s_waitcnt lgkmcnt(0)
	v_mov_b32_e32 v2, s41
	v_add_co_u32_e32 v14, vcc, s40, v1
	v_addc_co_u32_e32 v15, vcc, v2, v16, vcc
	s_sub_u32 s12, s8, s38
	s_subb_u32 s13, s9, 0
	v_cmp_gt_i64_e32 vcc, s[12:13], v[14:15]
	s_and_saveexec_b64 s[14:15], vcc
	s_cbranch_execz .LBB42_52
; %bb.41:
	s_add_u32 s16, s30, -1
	s_addc_u32 s17, s31, -1
	s_add_u32 s8, s30, -2
	s_addc_u32 s9, s31, -1
	v_pk_mov_b32 v[2:3], s[28:29], s[28:29] op_sel:[0,1]
	s_cmp_lg_u64 s[8:9], s[28:29]
	v_cmp_gt_i64_e32 vcc, s[16:17], v[2:3]
	s_cselect_b64 s[8:9], -1, 0
	s_and_b64 s[8:9], vcc, s[8:9]
	v_cndmask_b32_e64 v1, 0, 1, s[8:9]
	s_mov_b64 s[18:19], 0
	v_cmp_ne_u32_e64 s[8:9], 1, v1
	v_mov_b32_e32 v1, s21
	v_mov_b32_e32 v24, s33
	;; [unrolled: 1-line block ×3, first 2 shown]
	s_branch .LBB42_43
.LBB42_42:                              ;   in Loop: Header=BB42_43 Depth=1
	s_or_b64 exec, exec, s[10:11]
	v_add_co_u32_e32 v14, vcc, 0x100, v14
	v_addc_co_u32_e32 v15, vcc, 0, v15, vcc
	v_cmp_le_i64_e32 vcc, s[12:13], v[14:15]
	s_or_b64 s[18:19], vcc, s[18:19]
	s_andn2_b64 exec, exec, s[18:19]
	s_cbranch_execz .LBB42_52
.LBB42_43:                              ; =>This Loop Header: Depth=1
                                        ;     Child Loop BB42_45 Depth 2
                                        ;     Child Loop BB42_49 Depth 2
	;; [unrolled: 1-line block ×3, first 2 shown]
	s_and_b64 vcc, exec, s[8:9]
	v_pk_mov_b32 v[2:3], s[28:29], s[28:29] op_sel:[0,1]
	v_pk_mov_b32 v[4:5], s[16:17], s[16:17] op_sel:[0,1]
	s_cbranch_vccnz .LBB42_47
; %bb.44:                               ;   in Loop: Header=BB42_43 Depth=1
	s_mov_b64 s[40:41], 0
	v_pk_mov_b32 v[2:3], s[28:29], s[28:29] op_sel:[0,1]
	v_pk_mov_b32 v[4:5], s[16:17], s[16:17] op_sel:[0,1]
.LBB42_45:                              ;   Parent Loop BB42_43 Depth=1
                                        ; =>  This Inner Loop Header: Depth=2
	v_add_co_u32_e32 v6, vcc, v4, v2
	v_addc_co_u32_e32 v7, vcc, v5, v3, vcc
	v_lshrrev_b32_e32 v8, 31, v7
	v_add_co_u32_e32 v6, vcc, v6, v8
	v_addc_co_u32_e32 v7, vcc, 0, v7, vcc
	v_ashrrev_i64 v[6:7], 1, v[6:7]
	v_lshlrev_b64 v[8:9], 3, v[6:7]
	v_mov_b32_e32 v16, s21
	v_add_co_u32_e32 v8, vcc, s20, v8
	v_addc_co_u32_e32 v9, vcc, v16, v9, vcc
	global_load_dwordx2 v[8:9], v[8:9], off
	v_mov_b32_e32 v16, s33
	s_waitcnt vmcnt(0)
	v_subrev_co_u32_e32 v8, vcc, s38, v8
	v_subb_co_u32_e32 v9, vcc, v9, v16, vcc
	v_cmp_gt_i64_e32 vcc, v[8:9], v[14:15]
	v_cndmask_b32_e32 v4, v4, v6, vcc
	v_cndmask_b32_e32 v5, v5, v7, vcc
	;; [unrolled: 1-line block ×3, first 2 shown]
	v_add_co_u32_e64 v6, s[10:11], -1, v4
	v_cndmask_b32_e32 v3, v7, v3, vcc
	v_addc_co_u32_e64 v7, s[10:11], -1, v5, s[10:11]
	v_cmp_ge_i64_e32 vcc, v[2:3], v[4:5]
	v_cmp_eq_u64_e64 s[10:11], v[2:3], v[6:7]
	s_or_b64 s[10:11], vcc, s[10:11]
	s_and_b64 s[10:11], exec, s[10:11]
	s_or_b64 s[40:41], s[10:11], s[40:41]
	s_andn2_b64 exec, exec, s[40:41]
	s_cbranch_execnz .LBB42_45
; %bb.46:                               ;   in Loop: Header=BB42_43 Depth=1
	s_or_b64 exec, exec, s[40:41]
.LBB42_47:                              ;   in Loop: Header=BB42_43 Depth=1
	v_lshlrev_b64 v[6:7], 3, v[4:5]
	v_add_co_u32_e32 v6, vcc, s20, v6
	v_addc_co_u32_e32 v7, vcc, v1, v7, vcc
	global_load_dwordx2 v[6:7], v[6:7], off
	v_lshlrev_b64 v[8:9], 3, v[14:15]
	v_add_co_u32_e32 v8, vcc, s22, v8
	v_addc_co_u32_e32 v9, vcc, v25, v9, vcc
	global_load_dwordx2 v[8:9], v[8:9], off
	s_waitcnt vmcnt(1)
	v_subrev_co_u32_e32 v6, vcc, s38, v6
	v_subb_co_u32_e32 v7, vcc, v7, v24, vcc
	v_cmp_gt_i64_e32 vcc, v[6:7], v[14:15]
	v_cndmask_b32_e32 v3, v5, v3, vcc
	v_cndmask_b32_e32 v2, v4, v2, vcc
	s_waitcnt vmcnt(0)
	v_subrev_co_u32_e32 v4, vcc, s38, v8
	v_subb_co_u32_e32 v5, vcc, v9, v24, vcc
	v_cmp_ne_u64_e32 vcc, v[4:5], v[2:3]
	s_and_saveexec_b64 s[10:11], vcc
	s_cbranch_execz .LBB42_42
; %bb.48:                               ;   in Loop: Header=BB42_43 Depth=1
	v_lshlrev_b64 v[6:7], 4, v[4:5]
	v_lshlrev_b64 v[4:5], 4, v[14:15]
	v_mov_b32_e32 v9, s25
	v_add_co_u32_e32 v4, vcc, s24, v4
	v_addc_co_u32_e32 v5, vcc, v9, v5, vcc
	global_load_dwordx4 v[28:31], v[4:5], off
	v_lshlrev_b64 v[2:3], 4, v[2:3]
	v_mov_b32_e32 v4, s27
	v_add_co_u32_e32 v2, vcc, s26, v2
	v_addc_co_u32_e32 v3, vcc, v4, v3, vcc
	v_mov_b32_e32 v8, s35
	global_load_dwordx4 v[2:5], v[2:3], off
	v_add_co_u32_e32 v16, vcc, s34, v6
	v_addc_co_u32_e32 v17, vcc, v8, v7, vcc
	global_load_dwordx2 v[8:9], v[16:17], off
	s_mov_b64 s[40:41], 0
	s_waitcnt vmcnt(2)
	v_xor_b32_e32 v6, 0x80000000, v31
	v_cndmask_b32_e64 v31, v31, v6, s[6:7]
	v_mul_f64 v[20:21], v[10:11], v[30:31]
	v_mul_f64 v[18:19], v[30:31], -v[12:13]
	v_fmac_f64_e32 v[20:21], v[12:13], v[28:29]
	v_fmac_f64_e32 v[18:19], v[10:11], v[28:29]
	s_waitcnt vmcnt(1)
	v_mul_f64 v[22:23], v[4:5], -v[20:21]
	v_fmac_f64_e32 v[22:23], v[18:19], v[2:3]
.LBB42_49:                              ;   Parent Loop BB42_43 Depth=1
                                        ; =>  This Inner Loop Header: Depth=2
	s_waitcnt vmcnt(0)
	v_add_f64 v[6:7], v[8:9], v[22:23]
	global_atomic_cmpswap_x2 v[6:7], v[16:17], v[6:9], off glc
	s_waitcnt vmcnt(0)
	v_cmp_eq_u64_e32 vcc, v[6:7], v[8:9]
	s_or_b64 s[40:41], vcc, s[40:41]
	v_pk_mov_b32 v[8:9], v[6:7], v[6:7] op_sel:[0,1]
	s_andn2_b64 exec, exec, s[40:41]
	s_cbranch_execnz .LBB42_49
; %bb.50:                               ;   in Loop: Header=BB42_43 Depth=1
	s_or_b64 exec, exec, s[40:41]
	global_load_dwordx2 v[6:7], v[16:17], off offset:8
	v_mul_f64 v[8:9], v[4:5], v[18:19]
	v_fmac_f64_e32 v[8:9], v[20:21], v[2:3]
	s_mov_b64 s[40:41], 0
.LBB42_51:                              ;   Parent Loop BB42_43 Depth=1
                                        ; =>  This Inner Loop Header: Depth=2
	s_waitcnt vmcnt(0)
	v_add_f64 v[4:5], v[6:7], v[8:9]
	global_atomic_cmpswap_x2 v[2:3], v[16:17], v[4:7], off offset:8 glc
	s_waitcnt vmcnt(0)
	v_cmp_eq_u64_e32 vcc, v[2:3], v[6:7]
	s_or_b64 s[40:41], vcc, s[40:41]
	v_pk_mov_b32 v[6:7], v[2:3], v[2:3] op_sel:[0,1]
	s_andn2_b64 exec, exec, s[40:41]
	s_cbranch_execnz .LBB42_51
	s_branch .LBB42_42
.LBB42_52:
	s_or_b64 exec, exec, s[14:15]
	s_mov_b64 s[8:9], 0
.LBB42_53:
	s_and_b64 vcc, exec, s[8:9]
	s_cbranch_vccz .LBB42_196
; %bb.54:
	s_load_dword s8, s[4:5], 0x7c
	s_mov_b32 s33, 0
	v_pk_mov_b32 v[2:3], s[36:37], s[36:37] op_sel:[0,1]
	s_mov_b32 s17, s33
	s_mov_b64 s[18:19], 0
	s_waitcnt lgkmcnt(0)
	s_and_b32 s16, s8, 0xffff
	v_cmp_lt_u64_e32 vcc, s[16:17], v[2:3]
	s_cbranch_vccnz .LBB42_56
; %bb.55:
	v_cvt_f32_u32_e32 v1, s36
	s_sub_i32 s8, 0, s36
	v_rcp_iflag_f32_e32 v1, v1
	v_mul_f32_e32 v1, 0x4f7ffffe, v1
	v_cvt_u32_f32_e32 v1, v1
	v_readfirstlane_b32 s9, v1
	s_mul_i32 s8, s8, s9
	s_mul_hi_u32 s8, s9, s8
	s_add_i32 s9, s9, s8
	s_mul_hi_u32 s8, s16, s9
	s_mul_i32 s10, s8, s36
	s_sub_i32 s10, s16, s10
	s_add_i32 s9, s8, 1
	s_sub_i32 s11, s10, s36
	s_cmp_ge_u32 s10, s36
	s_cselect_b32 s8, s9, s8
	s_cselect_b32 s10, s11, s10
	s_add_i32 s9, s8, 1
	s_cmp_ge_u32 s10, s36
	s_cselect_b32 s18, s9, s8
.LBB42_56:
	s_load_dwordx4 s[8:11], s[4:5], 0x8
	s_lshl_b64 s[4:5], s[28:29], 3
	s_add_u32 s14, s20, s4
	s_addc_u32 s15, s21, s5
	s_load_dwordx2 s[12:13], s[14:15], 0x0
	v_subrev_co_u32_e32 v2, vcc, s38, v0
	v_subb_co_u32_e64 v3, s[4:5], 0, 0, vcc
	s_waitcnt lgkmcnt(0)
	v_mov_b32_e32 v4, s13
	v_add_co_u32_e32 v14, vcc, s12, v2
	v_addc_co_u32_e32 v15, vcc, v4, v3, vcc
	v_add_co_u32_e32 v16, vcc, 0x300, v14
	v_addc_co_u32_e32 v17, vcc, 0, v15, vcc
	v_mov_b32_e32 v1, 0
	v_cmp_le_i64_e64 s[4:5], s[8:9], v[16:17]
	s_and_saveexec_b64 s[8:9], s[4:5]
	s_xor_b64 s[8:9], exec, s[8:9]
	s_cbranch_execnz .LBB42_59
; %bb.57:
	s_andn2_saveexec_b64 s[8:9], s[8:9]
	s_cbranch_execnz .LBB42_63
.LBB42_58:
	s_or_b64 exec, exec, s[8:9]
	v_cmp_gt_i64_e32 vcc, s[10:11], v[0:1]
	s_and_saveexec_b64 s[6:7], vcc
	s_cbranch_execnz .LBB42_64
	s_branch .LBB42_66
.LBB42_59:
	s_lshl_b64 s[40:41], s[30:31], 3
	s_add_u32 s40, s20, s40
	s_addc_u32 s41, s21, s41
	s_load_dwordx2 s[40:41], s[40:41], 0x0
	s_waitcnt lgkmcnt(0)
	s_sub_u32 s40, s40, s12
	s_subb_u32 s41, s41, s13
	v_cmp_gt_i64_e32 vcc, s[40:41], v[0:1]
	s_and_saveexec_b64 s[42:43], vcc
	s_cbranch_execz .LBB42_62
; %bb.60:
	v_lshlrev_b64 v[2:3], 4, v[14:15]
	v_mov_b32_e32 v4, s25
	v_add_co_u32_e32 v2, vcc, s24, v2
	v_addc_co_u32_e32 v3, vcc, v3, v4, vcc
	v_add_co_u32_e32 v2, vcc, 8, v2
	v_addc_co_u32_e32 v3, vcc, 0, v3, vcc
	s_mov_b64 s[44:45], 0
	v_mov_b32_e32 v6, v26
	v_pk_mov_b32 v[4:5], v[0:1], v[0:1] op_sel:[0,1]
.LBB42_61:                              ; =>This Inner Loop Header: Depth=1
	global_load_dwordx4 v[18:21], v[2:3], off offset:-8
	v_add_co_u32_e32 v2, vcc, 0x1000, v2
	v_addc_co_u32_e32 v3, vcc, 0, v3, vcc
	v_add_co_u32_e32 v4, vcc, 0x100, v4
	v_addc_co_u32_e32 v5, vcc, 0, v5, vcc
	v_cmp_le_i64_e32 vcc, s[40:41], v[4:5]
	s_or_b64 s[44:45], vcc, s[44:45]
	s_waitcnt vmcnt(0)
	v_xor_b32_e32 v7, 0x80000000, v21
	v_cndmask_b32_e64 v21, v21, v7, s[6:7]
	v_mul_f64 v[22:23], v[20:21], -v[12:13]
	v_mul_f64 v[24:25], v[10:11], v[20:21]
	v_fmac_f64_e32 v[22:23], v[10:11], v[18:19]
	v_fmac_f64_e32 v[24:25], v[12:13], v[18:19]
	ds_write_b128 v6, v[22:25]
	v_add_u32_e32 v6, 0x1000, v6
	s_andn2_b64 exec, exec, s[44:45]
	s_cbranch_execnz .LBB42_61
.LBB42_62:
	s_or_b64 exec, exec, s[42:43]
                                        ; implicit-def: $vgpr12_vgpr13
                                        ; implicit-def: $vgpr10_vgpr11
	s_andn2_saveexec_b64 s[8:9], s[8:9]
	s_cbranch_execz .LBB42_58
.LBB42_63:
	v_lshlrev_b64 v[2:3], 4, v[14:15]
	v_mov_b32_e32 v4, s25
	v_add_co_u32_e32 v22, vcc, s24, v2
	v_addc_co_u32_e32 v23, vcc, v4, v3, vcc
	s_movk_i32 s19, 0x2000
	v_add_co_u32_e32 v24, vcc, s19, v22
	v_addc_co_u32_e32 v25, vcc, 0, v23, vcc
	s_movk_i32 s19, 0x3000
	global_load_dwordx4 v[2:5], v[22:23], off
	v_add_co_u32_e32 v22, vcc, s19, v22
	v_addc_co_u32_e32 v23, vcc, 0, v23, vcc
	global_load_dwordx4 v[6:9], v[24:25], off offset:-4096
	global_load_dwordx4 v[18:21], v[24:25], off
	s_waitcnt vmcnt(2)
	v_xor_b32_e32 v27, 0x80000000, v5
	global_load_dwordx4 v[22:25], v[22:23], off
	v_cndmask_b32_e64 v5, v5, v27, s[6:7]
	v_mul_f64 v[28:29], v[4:5], -v[12:13]
	s_waitcnt vmcnt(2)
	v_xor_b32_e32 v27, 0x80000000, v9
	s_waitcnt vmcnt(1)
	v_xor_b32_e32 v32, 0x80000000, v21
	v_mul_f64 v[30:31], v[10:11], v[4:5]
	v_cndmask_b32_e64 v9, v9, v27, s[6:7]
	v_cndmask_b32_e64 v21, v21, v32, s[6:7]
	v_fmac_f64_e32 v[28:29], v[10:11], v[2:3]
	v_fmac_f64_e32 v[30:31], v[12:13], v[2:3]
	v_mul_f64 v[2:3], v[8:9], -v[12:13]
	v_mul_f64 v[4:5], v[10:11], v[8:9]
	v_mul_f64 v[34:35], v[10:11], v[20:21]
	v_fmac_f64_e32 v[2:3], v[10:11], v[6:7]
	v_fmac_f64_e32 v[4:5], v[12:13], v[6:7]
	ds_write_b128 v26, v[28:31]
	v_fmac_f64_e32 v[34:35], v[12:13], v[18:19]
	s_waitcnt vmcnt(0)
	v_xor_b32_e32 v33, 0x80000000, v25
	v_cndmask_b32_e64 v25, v25, v33, s[6:7]
	v_mul_f64 v[32:33], v[20:21], -v[12:13]
	v_mul_f64 v[36:37], v[24:25], -v[12:13]
	v_mul_f64 v[38:39], v[10:11], v[24:25]
	v_fmac_f64_e32 v[32:33], v[10:11], v[18:19]
	v_fmac_f64_e32 v[36:37], v[10:11], v[22:23]
	;; [unrolled: 1-line block ×3, first 2 shown]
	ds_write_b128 v26, v[2:5] offset:4096
	ds_write_b128 v26, v[32:35] offset:8192
	;; [unrolled: 1-line block ×3, first 2 shown]
	s_or_b64 exec, exec, s[8:9]
	v_cmp_gt_i64_e32 vcc, s[10:11], v[0:1]
	s_and_saveexec_b64 s[6:7], vcc
	s_cbranch_execz .LBB42_66
.LBB42_64:
	s_mov_b32 s24, 0
	v_mov_b32_e32 v2, 0x4000
	s_mov_b32 s25, s24
	s_mov_b32 s40, s24
	s_mov_b32 s41, s24
	v_lshl_add_u32 v8, v0, 4, v2
	s_mov_b64 s[8:9], 0
	v_pk_mov_b32 v[2:3], s[24:25], s[24:25] op_sel:[0,1]
	v_pk_mov_b32 v[4:5], s[40:41], s[40:41] op_sel:[0,1]
	;; [unrolled: 1-line block ×3, first 2 shown]
.LBB42_65:                              ; =>This Inner Loop Header: Depth=1
	v_add_co_u32_e32 v6, vcc, 0x100, v6
	v_addc_co_u32_e32 v7, vcc, 0, v7, vcc
	v_cmp_le_i64_e32 vcc, s[10:11], v[6:7]
	ds_write2_b64 v8, v[2:3], v[4:5] offset1:1
	s_or_b64 s[8:9], vcc, s[8:9]
	v_add_u32_e32 v8, 0x1000, v8
	s_andn2_b64 exec, exec, s[8:9]
	s_cbranch_execnz .LBB42_65
.LBB42_66:
	s_or_b64 exec, exec, s[6:7]
	s_sub_u32 s8, s30, s10
	v_pk_mov_b32 v[2:3], s[10:11], s[10:11] op_sel:[0,1]
	s_subb_u32 s9, s31, s11
	v_cmp_ge_i64_e32 vcc, s[30:31], v[2:3]
	s_and_b64 s[6:7], vcc, exec
	s_cselect_b32 s9, s9, 0
	s_cselect_b32 s8, s8, 0
	s_waitcnt lgkmcnt(0)
	s_barrier
	s_and_saveexec_b64 s[6:7], s[4:5]
	s_xor_b64 s[24:25], exec, s[6:7]
	s_cbranch_execz .LBB42_87
; %bb.67:
	s_lshl_b64 s[4:5], s[30:31], 3
	s_add_u32 s4, s20, s4
	s_addc_u32 s5, s21, s5
	s_load_dwordx2 s[4:5], s[4:5], 0x0
	s_waitcnt lgkmcnt(0)
	s_sub_u32 s40, s4, s12
	s_subb_u32 s41, s5, s13
	v_cmp_gt_i64_e32 vcc, s[40:41], v[0:1]
	s_and_saveexec_b64 s[42:43], vcc
	s_cbranch_execz .LBB42_86
; %bb.68:
	s_add_u32 s44, s30, -1
	s_addc_u32 s45, s31, -1
	s_add_u32 s6, s30, -2
	s_addc_u32 s7, s31, -1
	v_pk_mov_b32 v[2:3], s[28:29], s[28:29] op_sel:[0,1]
	s_cmp_lg_u64 s[6:7], s[28:29]
	v_cmp_gt_i64_e32 vcc, s[44:45], v[2:3]
	s_cselect_b64 s[6:7], -1, 0
	s_and_b64 s[6:7], vcc, s[6:7]
	s_sub_u32 s46, s4, s38
	v_cndmask_b32_e64 v2, 0, 1, s[6:7]
	s_subb_u32 s47, s5, 0
	s_mov_b64 s[48:49], 0
	v_cmp_ne_u32_e64 s[4:5], 1, v2
	v_mov_b32_e32 v24, s21
	v_mov_b32_e32 v25, s33
	;; [unrolled: 1-line block ×4, first 2 shown]
	s_mov_b64 s[50:51], 0
	s_branch .LBB42_71
.LBB42_69:                              ;   in Loop: Header=BB42_71 Depth=1
	s_or_b64 exec, exec, s[6:7]
.LBB42_70:                              ;   in Loop: Header=BB42_71 Depth=1
	s_or_b64 exec, exec, s[52:53]
	v_lshlrev_b64 v[6:7], 4, v[16:17]
	v_mov_b32_e32 v8, s27
	v_add_co_u32_e32 v6, vcc, s26, v6
	v_addc_co_u32_e32 v7, vcc, v8, v7, vcc
	global_load_dwordx4 v[6:9], v[6:7], off
	s_add_u32 s50, s50, 0x100
	s_addc_u32 s51, s51, 0
	v_mov_b32_e32 v11, s51
	v_add_co_u32_e32 v10, vcc, s50, v0
	v_addc_co_u32_e32 v11, vcc, 0, v11, vcc
	v_cmp_le_i64_e32 vcc, s[40:41], v[10:11]
	v_lshlrev_b32_e32 v16, 4, v29
	s_or_b64 s[48:49], vcc, s[48:49]
	s_waitcnt vmcnt(0)
	v_mul_f64 v[10:11], v[8:9], v[18:19]
	v_mul_f64 v[12:13], v[8:9], v[2:3]
	v_fmac_f64_e32 v[10:11], v[2:3], v[6:7]
	v_fmac_f64_e32 v[12:13], v[4:5], v[6:7]
	ds_write_b128 v16, v[10:13]
	s_andn2_b64 exec, exec, s[48:49]
	s_cbranch_execz .LBB42_86
.LBB42_71:                              ; =>This Loop Header: Depth=1
                                        ;     Child Loop BB42_73 Depth 2
                                        ;     Child Loop BB42_80 Depth 2
	;; [unrolled: 1-line block ×3, first 2 shown]
	v_mov_b32_e32 v3, s51
	v_add_co_u32_e32 v2, vcc, s50, v14
	v_addc_co_u32_e32 v3, vcc, v3, v15, vcc
	s_and_b64 vcc, exec, s[4:5]
	v_pk_mov_b32 v[4:5], s[28:29], s[28:29] op_sel:[0,1]
	v_pk_mov_b32 v[6:7], s[44:45], s[44:45] op_sel:[0,1]
	s_cbranch_vccnz .LBB42_75
; %bb.72:                               ;   in Loop: Header=BB42_71 Depth=1
	s_mov_b64 s[52:53], 0
	v_pk_mov_b32 v[4:5], s[28:29], s[28:29] op_sel:[0,1]
	v_pk_mov_b32 v[6:7], s[44:45], s[44:45] op_sel:[0,1]
.LBB42_73:                              ;   Parent Loop BB42_71 Depth=1
                                        ; =>  This Inner Loop Header: Depth=2
	v_add_co_u32_e32 v8, vcc, v6, v4
	v_addc_co_u32_e32 v9, vcc, v7, v5, vcc
	v_lshrrev_b32_e32 v10, 31, v9
	v_add_co_u32_e32 v8, vcc, v8, v10
	v_addc_co_u32_e32 v9, vcc, 0, v9, vcc
	v_ashrrev_i64 v[8:9], 1, v[8:9]
	v_lshlrev_b64 v[10:11], 3, v[8:9]
	v_mov_b32_e32 v12, s21
	v_add_co_u32_e32 v10, vcc, s20, v10
	v_addc_co_u32_e32 v11, vcc, v12, v11, vcc
	global_load_dwordx2 v[10:11], v[10:11], off
	v_mov_b32_e32 v12, s33
	s_waitcnt vmcnt(0)
	v_subrev_co_u32_e32 v10, vcc, s38, v10
	v_subb_co_u32_e32 v11, vcc, v11, v12, vcc
	v_cmp_gt_i64_e32 vcc, v[10:11], v[2:3]
	v_cndmask_b32_e32 v6, v6, v8, vcc
	v_cndmask_b32_e32 v7, v7, v9, vcc
	;; [unrolled: 1-line block ×3, first 2 shown]
	v_add_co_u32_e64 v8, s[6:7], -1, v6
	v_cndmask_b32_e32 v5, v9, v5, vcc
	v_addc_co_u32_e64 v9, s[6:7], -1, v7, s[6:7]
	v_cmp_ge_i64_e32 vcc, v[4:5], v[6:7]
	v_cmp_eq_u64_e64 s[6:7], v[4:5], v[8:9]
	s_or_b64 s[6:7], vcc, s[6:7]
	s_and_b64 s[6:7], exec, s[6:7]
	s_or_b64 s[52:53], s[6:7], s[52:53]
	s_andn2_b64 exec, exec, s[52:53]
	s_cbranch_execnz .LBB42_73
; %bb.74:                               ;   in Loop: Header=BB42_71 Depth=1
	s_or_b64 exec, exec, s[52:53]
.LBB42_75:                              ;   in Loop: Header=BB42_71 Depth=1
	v_lshlrev_b64 v[8:9], 3, v[6:7]
	v_add_co_u32_e32 v8, vcc, s20, v8
	v_addc_co_u32_e32 v9, vcc, v24, v9, vcc
	v_lshlrev_b64 v[10:11], 3, v[2:3]
	global_load_dwordx2 v[8:9], v[8:9], off
	v_add_co_u32_e32 v10, vcc, s22, v10
	v_addc_co_u32_e32 v11, vcc, v27, v11, vcc
	global_load_dwordx2 v[10:11], v[10:11], off
	v_add_co_u32_e32 v29, vcc, s50, v0
	v_cmp_le_i64_e32 vcc, s[46:47], v[2:3]
                                        ; implicit-def: $vgpr18_vgpr19
	s_waitcnt vmcnt(1)
	v_subrev_co_u32_e64 v8, s[6:7], s38, v8
	v_subb_co_u32_e64 v9, s[6:7], v9, v25, s[6:7]
	s_waitcnt vmcnt(0)
	v_subrev_co_u32_e64 v16, s[6:7], s38, v10
	v_subb_co_u32_e64 v17, s[6:7], v11, v25, s[6:7]
	v_cmp_gt_i64_e64 s[6:7], v[8:9], v[2:3]
	v_cndmask_b32_e64 v7, v7, v5, s[6:7]
	v_cndmask_b32_e64 v6, v6, v4, s[6:7]
	v_cmp_eq_u64_e64 s[6:7], v[16:17], v[6:7]
	s_or_b64 s[6:7], s[6:7], vcc
	v_lshlrev_b32_e32 v10, 4, v29
                                        ; implicit-def: $vgpr2_vgpr3
	s_and_saveexec_b64 s[52:53], s[6:7]
	s_xor_b64 s[6:7], exec, s[52:53]
	s_cbranch_execz .LBB42_77
; %bb.76:                               ;   in Loop: Header=BB42_71 Depth=1
	ds_read_b128 v[2:5], v10
                                        ; implicit-def: $vgpr10
                                        ; implicit-def: $vgpr6_vgpr7
	s_waitcnt lgkmcnt(0)
	v_xor_b32_e32 v19, 0x80000000, v5
	v_mov_b32_e32 v18, v4
.LBB42_77:                              ;   in Loop: Header=BB42_71 Depth=1
	s_andn2_saveexec_b64 s[52:53], s[6:7]
	s_cbranch_execz .LBB42_70
; %bb.78:                               ;   in Loop: Header=BB42_71 Depth=1
	v_cmp_gt_i64_e32 vcc, s[8:9], v[16:17]
	v_cmp_le_i64_e64 s[6:7], s[30:31], v[16:17]
	s_or_b64 s[6:7], vcc, s[6:7]
	v_lshlrev_b64 v[6:7], 4, v[6:7]
                                        ; implicit-def: $vgpr2_vgpr3
                                        ; implicit-def: $vgpr18_vgpr19
	s_and_saveexec_b64 s[54:55], s[6:7]
	s_xor_b64 s[6:7], exec, s[54:55]
	s_cbranch_execz .LBB42_84
; %bb.79:                               ;   in Loop: Header=BB42_71 Depth=1
	v_mov_b32_e32 v5, s27
	v_add_co_u32_e32 v4, vcc, s26, v6
	v_lshlrev_b64 v[2:3], 4, v[16:17]
	v_addc_co_u32_e32 v5, vcc, v5, v7, vcc
	v_mov_b32_e32 v11, s35
	global_load_dwordx4 v[6:9], v[4:5], off
	v_add_co_u32_e32 v20, vcc, s34, v2
	v_addc_co_u32_e32 v21, vcc, v11, v3, vcc
	global_load_dwordx2 v[12:13], v[20:21], off
	ds_read_b128 v[2:5], v10
	s_mov_b64 s[54:55], 0
	s_waitcnt lgkmcnt(0)
	v_xor_b32_e32 v19, 0x80000000, v5
	v_mov_b32_e32 v18, v4
	s_waitcnt vmcnt(1)
	v_mul_f64 v[22:23], v[8:9], -v[4:5]
	v_fmac_f64_e32 v[22:23], v[2:3], v[6:7]
.LBB42_80:                              ;   Parent Loop BB42_71 Depth=1
                                        ; =>  This Inner Loop Header: Depth=2
	s_waitcnt vmcnt(0)
	v_add_f64 v[10:11], v[12:13], v[22:23]
	global_atomic_cmpswap_x2 v[10:11], v[20:21], v[10:13], off glc
	s_waitcnt vmcnt(0)
	v_cmp_eq_u64_e32 vcc, v[10:11], v[12:13]
	s_or_b64 s[54:55], vcc, s[54:55]
	v_pk_mov_b32 v[12:13], v[10:11], v[10:11] op_sel:[0,1]
	s_andn2_b64 exec, exec, s[54:55]
	s_cbranch_execnz .LBB42_80
; %bb.81:                               ;   in Loop: Header=BB42_71 Depth=1
	s_or_b64 exec, exec, s[54:55]
	global_load_dwordx2 v[10:11], v[20:21], off offset:8
	v_mul_f64 v[12:13], v[8:9], v[2:3]
	v_fmac_f64_e32 v[12:13], v[4:5], v[6:7]
	s_mov_b64 s[54:55], 0
.LBB42_82:                              ;   Parent Loop BB42_71 Depth=1
                                        ; =>  This Inner Loop Header: Depth=2
	s_waitcnt vmcnt(0)
	v_add_f64 v[8:9], v[10:11], v[12:13]
	global_atomic_cmpswap_x2 v[6:7], v[20:21], v[8:11], off offset:8 glc
	s_waitcnt vmcnt(0)
	v_cmp_eq_u64_e32 vcc, v[6:7], v[10:11]
	s_or_b64 s[54:55], vcc, s[54:55]
	v_pk_mov_b32 v[10:11], v[6:7], v[6:7] op_sel:[0,1]
	s_andn2_b64 exec, exec, s[54:55]
	s_cbranch_execnz .LBB42_82
; %bb.83:                               ;   in Loop: Header=BB42_71 Depth=1
	s_or_b64 exec, exec, s[54:55]
                                        ; implicit-def: $vgpr6_vgpr7
                                        ; implicit-def: $vgpr10
.LBB42_84:                              ;   in Loop: Header=BB42_71 Depth=1
	s_andn2_saveexec_b64 s[6:7], s[6:7]
	s_cbranch_execz .LBB42_69
; %bb.85:                               ;   in Loop: Header=BB42_71 Depth=1
	v_mov_b32_e32 v3, s27
	v_add_co_u32_e32 v2, vcc, s26, v6
	v_addc_co_u32_e32 v3, vcc, v3, v7, vcc
	global_load_dwordx4 v[6:9], v[2:3], off
	ds_read_b128 v[2:5], v10
	v_subrev_u32_e32 v10, s8, v16
	v_lshl_add_u32 v12, v10, 4, v28
	s_waitcnt lgkmcnt(0)
	v_xor_b32_e32 v19, 0x80000000, v5
	v_mov_b32_e32 v18, v4
	s_waitcnt vmcnt(0)
	v_mul_f64 v[10:11], v[8:9], -v[4:5]
	v_mul_f64 v[8:9], v[8:9], v[2:3]
	v_fmac_f64_e32 v[10:11], v[2:3], v[6:7]
	v_fmac_f64_e32 v[8:9], v[4:5], v[6:7]
	ds_add_f64 v12, v[10:11]
	ds_add_f64 v12, v[8:9] offset:8
	s_branch .LBB42_69
.LBB42_86:
	s_or_b64 exec, exec, s[42:43]
                                        ; implicit-def: $vgpr16_vgpr17
                                        ; implicit-def: $vgpr14
.LBB42_87:
	s_andn2_saveexec_b64 s[24:25], s[24:25]
	s_cbranch_execz .LBB42_145
; %bb.88:
	s_add_u32 s40, s30, -1
	s_addc_u32 s41, s31, -1
	s_add_u32 s4, s30, -2
	s_addc_u32 s5, s31, -1
	v_pk_mov_b32 v[2:3], s[28:29], s[28:29] op_sel:[0,1]
	s_cmp_eq_u64 s[4:5], s[28:29]
	v_cmp_le_i64_e32 vcc, s[40:41], v[2:3]
	s_cselect_b64 s[4:5], -1, 0
	s_or_b64 s[6:7], vcc, s[4:5]
	s_and_b64 vcc, exec, s[6:7]
	v_pk_mov_b32 v[4:5], s[40:41], s[40:41] op_sel:[0,1]
	s_cbranch_vccnz .LBB42_92
; %bb.89:
	s_mov_b64 s[42:43], 0
	v_pk_mov_b32 v[2:3], s[28:29], s[28:29] op_sel:[0,1]
	v_pk_mov_b32 v[4:5], s[40:41], s[40:41] op_sel:[0,1]
	v_mov_b32_e32 v6, s21
	v_mov_b32_e32 v7, s33
.LBB42_90:                              ; =>This Inner Loop Header: Depth=1
	v_add_co_u32_e32 v8, vcc, v4, v2
	v_addc_co_u32_e32 v9, vcc, v5, v3, vcc
	v_lshrrev_b32_e32 v10, 31, v9
	v_add_co_u32_e32 v8, vcc, v8, v10
	v_addc_co_u32_e32 v9, vcc, 0, v9, vcc
	v_ashrrev_i64 v[8:9], 1, v[8:9]
	v_lshlrev_b64 v[10:11], 3, v[8:9]
	v_add_co_u32_e32 v10, vcc, s20, v10
	v_addc_co_u32_e32 v11, vcc, v6, v11, vcc
	global_load_dwordx2 v[10:11], v[10:11], off
	s_waitcnt vmcnt(0)
	v_subrev_co_u32_e32 v10, vcc, s38, v10
	v_subb_co_u32_e32 v11, vcc, v11, v7, vcc
	v_cmp_gt_i64_e32 vcc, v[10:11], v[14:15]
	v_cndmask_b32_e32 v4, v4, v8, vcc
	v_cndmask_b32_e32 v5, v5, v9, vcc
	v_cndmask_b32_e32 v2, v8, v2, vcc
	v_add_co_u32_e64 v8, s[4:5], -1, v4
	v_cndmask_b32_e32 v3, v9, v3, vcc
	v_addc_co_u32_e64 v9, s[4:5], -1, v5, s[4:5]
	v_cmp_ge_i64_e32 vcc, v[2:3], v[4:5]
	v_cmp_eq_u64_e64 s[4:5], v[2:3], v[8:9]
	s_or_b64 s[4:5], vcc, s[4:5]
	s_and_b64 s[4:5], exec, s[4:5]
	s_or_b64 s[42:43], s[4:5], s[42:43]
	s_andn2_b64 exec, exec, s[42:43]
	s_cbranch_execnz .LBB42_90
; %bb.91:
	s_or_b64 exec, exec, s[42:43]
.LBB42_92:
	v_lshlrev_b64 v[6:7], 3, v[4:5]
	v_mov_b32_e32 v8, s21
	v_add_co_u32_e32 v6, vcc, s20, v6
	v_addc_co_u32_e32 v7, vcc, v8, v7, vcc
	global_load_dwordx2 v[6:7], v[6:7], off
	v_lshlrev_b64 v[8:9], 3, v[14:15]
	v_mov_b32_e32 v10, s23
	v_add_co_u32_e32 v18, vcc, s22, v8
	v_addc_co_u32_e32 v19, vcc, v10, v9, vcc
	global_load_dwordx2 v[8:9], v[18:19], off
	v_mov_b32_e32 v10, s33
	s_xor_b64 s[6:7], s[6:7], -1
	s_lshl_b64 s[4:5], s[30:31], 3
	s_add_u32 s22, s20, s4
	s_addc_u32 s23, s21, s5
	s_waitcnt vmcnt(1)
	v_subrev_co_u32_e32 v6, vcc, s38, v6
	v_subb_co_u32_e32 v7, vcc, v7, v10, vcc
	v_cmp_gt_i64_e32 vcc, v[6:7], v[14:15]
	v_cndmask_b32_e32 v3, v5, v3, vcc
	v_cndmask_b32_e32 v2, v4, v2, vcc
	s_waitcnt vmcnt(0)
	v_subrev_co_u32_e32 v20, vcc, s38, v8
	v_subb_co_u32_e32 v21, vcc, v9, v10, vcc
	v_cmp_ne_u64_e32 vcc, v[20:21], v[2:3]
	s_and_saveexec_b64 s[42:43], vcc
	s_cbranch_execz .LBB42_102
; %bb.93:
	s_load_dwordx2 s[4:5], s[22:23], 0x0
	s_waitcnt lgkmcnt(0)
	s_sub_u32 s4, s4, s38
	s_subb_u32 s5, s5, 0
	v_cmp_gt_i64_e32 vcc, s[4:5], v[14:15]
	s_and_b64 exec, exec, vcc
	s_cbranch_execz .LBB42_102
; %bb.94:
	v_cmp_gt_i64_e32 vcc, s[8:9], v[20:21]
	v_cmp_le_i64_e64 s[4:5], s[30:31], v[20:21]
	s_or_b64 s[4:5], vcc, s[4:5]
	v_lshlrev_b64 v[2:3], 4, v[2:3]
	s_and_saveexec_b64 s[44:45], s[4:5]
	s_xor_b64 s[4:5], exec, s[44:45]
	s_cbranch_execz .LBB42_100
; %bb.95:
	v_mov_b32_e32 v4, s27
	v_add_co_u32_e32 v2, vcc, s26, v2
	v_lshlrev_b64 v[6:7], 4, v[20:21]
	v_addc_co_u32_e32 v3, vcc, v4, v3, vcc
	v_mov_b32_e32 v8, s35
	global_load_dwordx4 v[2:5], v[2:3], off
	v_add_co_u32_e32 v22, vcc, s34, v6
	v_addc_co_u32_e32 v23, vcc, v8, v7, vcc
	global_load_dwordx2 v[12:13], v[22:23], off
	ds_read_b128 v[6:9], v26
	s_mov_b64 s[44:45], 0
	s_waitcnt vmcnt(1) lgkmcnt(0)
	v_mul_f64 v[24:25], v[4:5], -v[8:9]
	v_fmac_f64_e32 v[24:25], v[6:7], v[2:3]
.LBB42_96:                              ; =>This Inner Loop Header: Depth=1
	s_waitcnt vmcnt(0)
	v_add_f64 v[10:11], v[12:13], v[24:25]
	global_atomic_cmpswap_x2 v[10:11], v[22:23], v[10:13], off glc
	s_waitcnt vmcnt(0)
	v_cmp_eq_u64_e32 vcc, v[10:11], v[12:13]
	s_or_b64 s[44:45], vcc, s[44:45]
	v_pk_mov_b32 v[12:13], v[10:11], v[10:11] op_sel:[0,1]
	s_andn2_b64 exec, exec, s[44:45]
	s_cbranch_execnz .LBB42_96
; %bb.97:
	s_or_b64 exec, exec, s[44:45]
	global_load_dwordx2 v[10:11], v[22:23], off offset:8
	v_mul_f64 v[4:5], v[4:5], v[6:7]
	v_fmac_f64_e32 v[4:5], v[8:9], v[2:3]
	s_mov_b64 s[44:45], 0
.LBB42_98:                              ; =>This Inner Loop Header: Depth=1
	s_waitcnt vmcnt(0)
	v_add_f64 v[8:9], v[10:11], v[4:5]
	global_atomic_cmpswap_x2 v[2:3], v[22:23], v[8:11], off offset:8 glc
	s_waitcnt vmcnt(0)
	v_cmp_eq_u64_e32 vcc, v[2:3], v[10:11]
	s_or_b64 s[44:45], vcc, s[44:45]
	v_pk_mov_b32 v[10:11], v[2:3], v[2:3] op_sel:[0,1]
	s_andn2_b64 exec, exec, s[44:45]
	s_cbranch_execnz .LBB42_98
; %bb.99:
	s_or_b64 exec, exec, s[44:45]
                                        ; implicit-def: $vgpr2_vgpr3
.LBB42_100:
	s_andn2_saveexec_b64 s[4:5], s[4:5]
	s_cbranch_execz .LBB42_102
; %bb.101:
	v_mov_b32_e32 v4, s27
	v_add_co_u32_e32 v2, vcc, s26, v2
	v_addc_co_u32_e32 v3, vcc, v4, v3, vcc
	global_load_dwordx4 v[2:5], v[2:3], off
	ds_read_b128 v[6:9], v26
	v_subrev_u32_e32 v10, s8, v20
	v_mov_b32_e32 v11, 0x4000
	v_lshl_add_u32 v12, v10, 4, v11
	s_waitcnt vmcnt(0) lgkmcnt(0)
	v_mul_f64 v[10:11], v[4:5], -v[8:9]
	v_mul_f64 v[4:5], v[4:5], v[6:7]
	v_fmac_f64_e32 v[10:11], v[6:7], v[2:3]
	v_fmac_f64_e32 v[4:5], v[8:9], v[2:3]
	ds_add_f64 v12, v[10:11]
	ds_add_f64 v12, v[4:5] offset:8
.LBB42_102:
	s_or_b64 exec, exec, s[42:43]
	v_lshlrev_b64 v[2:3], 4, v[20:21]
	v_mov_b32_e32 v4, s27
	v_add_co_u32_e32 v2, vcc, s26, v2
	v_addc_co_u32_e32 v3, vcc, v4, v3, vcc
	global_load_dwordx4 v[6:9], v[2:3], off
	ds_read_b128 v[10:13], v26
	v_add_co_u32_e32 v2, vcc, 0x100, v14
	v_cndmask_b32_e64 v20, 0, 1, s[6:7]
	v_addc_co_u32_e32 v3, vcc, 0, v15, vcc
	v_cmp_ne_u32_e64 s[4:5], 1, v20
	v_pk_mov_b32 v[4:5], s[28:29], s[28:29] op_sel:[0,1]
	s_andn2_b64 vcc, exec, s[6:7]
	s_waitcnt vmcnt(0) lgkmcnt(0)
	v_mul_f64 v[20:21], v[8:9], -v[12:13]
	v_mul_f64 v[22:23], v[8:9], v[10:11]
	v_fmac_f64_e32 v[20:21], v[10:11], v[6:7]
	v_fmac_f64_e32 v[22:23], v[12:13], v[6:7]
	v_pk_mov_b32 v[6:7], s[40:41], s[40:41] op_sel:[0,1]
	ds_write_b128 v26, v[20:23]
	s_cbranch_vccnz .LBB42_106
; %bb.103:
	s_mov_b64 s[42:43], 0
	v_pk_mov_b32 v[4:5], s[28:29], s[28:29] op_sel:[0,1]
	v_pk_mov_b32 v[6:7], s[40:41], s[40:41] op_sel:[0,1]
	v_mov_b32_e32 v8, s21
	v_mov_b32_e32 v9, s33
.LBB42_104:                             ; =>This Inner Loop Header: Depth=1
	v_add_co_u32_e32 v10, vcc, v6, v4
	v_addc_co_u32_e32 v11, vcc, v7, v5, vcc
	v_lshrrev_b32_e32 v12, 31, v11
	v_add_co_u32_e32 v10, vcc, v10, v12
	v_addc_co_u32_e32 v11, vcc, 0, v11, vcc
	v_ashrrev_i64 v[10:11], 1, v[10:11]
	v_lshlrev_b64 v[12:13], 3, v[10:11]
	v_add_co_u32_e32 v12, vcc, s20, v12
	v_addc_co_u32_e32 v13, vcc, v8, v13, vcc
	global_load_dwordx2 v[12:13], v[12:13], off
	s_waitcnt vmcnt(0)
	v_subrev_co_u32_e32 v12, vcc, s38, v12
	v_subb_co_u32_e32 v13, vcc, v13, v9, vcc
	v_cmp_gt_i64_e32 vcc, v[12:13], v[2:3]
	v_cndmask_b32_e32 v6, v6, v10, vcc
	v_cndmask_b32_e32 v7, v7, v11, vcc
	v_cndmask_b32_e32 v4, v10, v4, vcc
	v_add_co_u32_e64 v10, s[6:7], -1, v6
	v_cndmask_b32_e32 v5, v11, v5, vcc
	v_addc_co_u32_e64 v11, s[6:7], -1, v7, s[6:7]
	v_cmp_ge_i64_e32 vcc, v[4:5], v[6:7]
	v_cmp_eq_u64_e64 s[6:7], v[4:5], v[10:11]
	s_or_b64 s[6:7], vcc, s[6:7]
	s_and_b64 s[6:7], exec, s[6:7]
	s_or_b64 s[42:43], s[6:7], s[42:43]
	s_andn2_b64 exec, exec, s[42:43]
	s_cbranch_execnz .LBB42_104
; %bb.105:
	s_or_b64 exec, exec, s[42:43]
.LBB42_106:
	v_lshlrev_b64 v[8:9], 3, v[6:7]
	v_mov_b32_e32 v10, s21
	v_add_co_u32_e32 v8, vcc, s20, v8
	v_addc_co_u32_e32 v9, vcc, v10, v9, vcc
	global_load_dwordx2 v[10:11], v[8:9], off
	global_load_dwordx2 v[12:13], v[18:19], off offset:2048
	v_mov_b32_e32 v21, s33
	s_waitcnt vmcnt(1)
	v_subrev_co_u32_e32 v8, vcc, s38, v10
	v_subb_co_u32_e32 v9, vcc, v11, v21, vcc
	v_cmp_gt_i64_e32 vcc, v[8:9], v[2:3]
	v_cndmask_b32_e32 v5, v7, v5, vcc
	v_cndmask_b32_e32 v4, v6, v4, vcc
	s_waitcnt vmcnt(0)
	v_subrev_co_u32_e32 v20, vcc, s38, v12
	v_subb_co_u32_e32 v21, vcc, v13, v21, vcc
	v_cmp_ne_u64_e32 vcc, v[20:21], v[4:5]
	s_and_saveexec_b64 s[42:43], vcc
	s_cbranch_execz .LBB42_116
; %bb.107:
	s_load_dwordx2 s[6:7], s[22:23], 0x0
	s_waitcnt lgkmcnt(0)
	s_sub_u32 s6, s6, s38
	s_subb_u32 s7, s7, 0
	v_cmp_gt_i64_e32 vcc, s[6:7], v[2:3]
	s_and_b64 exec, exec, vcc
	s_cbranch_execz .LBB42_116
; %bb.108:
	v_cmp_gt_i64_e32 vcc, s[8:9], v[20:21]
	v_cmp_le_i64_e64 s[6:7], s[30:31], v[20:21]
	s_or_b64 s[6:7], vcc, s[6:7]
	v_lshlrev_b64 v[2:3], 4, v[4:5]
	s_and_saveexec_b64 s[44:45], s[6:7]
	s_xor_b64 s[6:7], exec, s[44:45]
	s_cbranch_execz .LBB42_114
; %bb.109:
	v_mov_b32_e32 v4, s27
	v_add_co_u32_e32 v2, vcc, s26, v2
	v_lshlrev_b64 v[6:7], 4, v[20:21]
	v_addc_co_u32_e32 v3, vcc, v4, v3, vcc
	v_mov_b32_e32 v8, s35
	global_load_dwordx4 v[2:5], v[2:3], off
	v_add_co_u32_e32 v22, vcc, s34, v6
	v_addc_co_u32_e32 v23, vcc, v8, v7, vcc
	global_load_dwordx2 v[12:13], v[22:23], off
	ds_read_b128 v[6:9], v26 offset:4096
	s_mov_b64 s[44:45], 0
	s_waitcnt vmcnt(1) lgkmcnt(0)
	v_mul_f64 v[24:25], v[4:5], -v[8:9]
	v_fmac_f64_e32 v[24:25], v[6:7], v[2:3]
.LBB42_110:                             ; =>This Inner Loop Header: Depth=1
	s_waitcnt vmcnt(0)
	v_add_f64 v[10:11], v[12:13], v[24:25]
	global_atomic_cmpswap_x2 v[10:11], v[22:23], v[10:13], off glc
	s_waitcnt vmcnt(0)
	v_cmp_eq_u64_e32 vcc, v[10:11], v[12:13]
	s_or_b64 s[44:45], vcc, s[44:45]
	v_pk_mov_b32 v[12:13], v[10:11], v[10:11] op_sel:[0,1]
	s_andn2_b64 exec, exec, s[44:45]
	s_cbranch_execnz .LBB42_110
; %bb.111:
	s_or_b64 exec, exec, s[44:45]
	global_load_dwordx2 v[10:11], v[22:23], off offset:8
	v_mul_f64 v[4:5], v[4:5], v[6:7]
	v_fmac_f64_e32 v[4:5], v[8:9], v[2:3]
	s_mov_b64 s[44:45], 0
.LBB42_112:                             ; =>This Inner Loop Header: Depth=1
	s_waitcnt vmcnt(0)
	v_add_f64 v[8:9], v[10:11], v[4:5]
	global_atomic_cmpswap_x2 v[2:3], v[22:23], v[8:11], off offset:8 glc
	s_waitcnt vmcnt(0)
	v_cmp_eq_u64_e32 vcc, v[2:3], v[10:11]
	s_or_b64 s[44:45], vcc, s[44:45]
	v_pk_mov_b32 v[10:11], v[2:3], v[2:3] op_sel:[0,1]
	s_andn2_b64 exec, exec, s[44:45]
	s_cbranch_execnz .LBB42_112
; %bb.113:
	s_or_b64 exec, exec, s[44:45]
                                        ; implicit-def: $vgpr2_vgpr3
.LBB42_114:
	s_andn2_saveexec_b64 s[6:7], s[6:7]
	s_cbranch_execz .LBB42_116
; %bb.115:
	v_mov_b32_e32 v4, s27
	v_add_co_u32_e32 v2, vcc, s26, v2
	v_addc_co_u32_e32 v3, vcc, v4, v3, vcc
	global_load_dwordx4 v[2:5], v[2:3], off
	ds_read_b128 v[6:9], v26 offset:4096
	v_subrev_u32_e32 v10, s8, v20
	v_mov_b32_e32 v11, 0x4000
	v_lshl_add_u32 v12, v10, 4, v11
	s_waitcnt vmcnt(0) lgkmcnt(0)
	v_mul_f64 v[10:11], v[4:5], -v[8:9]
	v_mul_f64 v[4:5], v[4:5], v[6:7]
	v_fmac_f64_e32 v[10:11], v[6:7], v[2:3]
	v_fmac_f64_e32 v[4:5], v[8:9], v[2:3]
	ds_add_f64 v12, v[10:11]
	ds_add_f64 v12, v[4:5] offset:8
.LBB42_116:
	s_or_b64 exec, exec, s[42:43]
	v_lshlrev_b64 v[2:3], 4, v[20:21]
	v_mov_b32_e32 v4, s27
	v_add_co_u32_e32 v2, vcc, s26, v2
	v_addc_co_u32_e32 v3, vcc, v4, v3, vcc
	global_load_dwordx4 v[6:9], v[2:3], off
	ds_read_b128 v[10:13], v26 offset:4096
	v_add_co_u32_e32 v2, vcc, 0x200, v14
	v_addc_co_u32_e32 v3, vcc, 0, v15, vcc
	v_pk_mov_b32 v[4:5], s[28:29], s[28:29] op_sel:[0,1]
	s_and_b64 vcc, exec, s[4:5]
	s_waitcnt vmcnt(0) lgkmcnt(0)
	v_mul_f64 v[20:21], v[8:9], -v[12:13]
	v_mul_f64 v[22:23], v[8:9], v[10:11]
	v_fmac_f64_e32 v[20:21], v[10:11], v[6:7]
	v_fmac_f64_e32 v[22:23], v[12:13], v[6:7]
	v_pk_mov_b32 v[6:7], s[40:41], s[40:41] op_sel:[0,1]
	ds_write_b128 v26, v[20:23] offset:4096
	s_cbranch_vccnz .LBB42_120
; %bb.117:
	s_mov_b64 s[42:43], 0
	v_pk_mov_b32 v[4:5], s[28:29], s[28:29] op_sel:[0,1]
	v_pk_mov_b32 v[6:7], s[40:41], s[40:41] op_sel:[0,1]
	v_mov_b32_e32 v8, s21
	v_mov_b32_e32 v9, s33
.LBB42_118:                             ; =>This Inner Loop Header: Depth=1
	v_add_co_u32_e32 v10, vcc, v6, v4
	v_addc_co_u32_e32 v11, vcc, v7, v5, vcc
	v_lshrrev_b32_e32 v12, 31, v11
	v_add_co_u32_e32 v10, vcc, v10, v12
	v_addc_co_u32_e32 v11, vcc, 0, v11, vcc
	v_ashrrev_i64 v[10:11], 1, v[10:11]
	v_lshlrev_b64 v[12:13], 3, v[10:11]
	v_add_co_u32_e32 v12, vcc, s20, v12
	v_addc_co_u32_e32 v13, vcc, v8, v13, vcc
	global_load_dwordx2 v[12:13], v[12:13], off
	s_waitcnt vmcnt(0)
	v_subrev_co_u32_e32 v12, vcc, s38, v12
	v_subb_co_u32_e32 v13, vcc, v13, v9, vcc
	v_cmp_gt_i64_e32 vcc, v[12:13], v[2:3]
	v_cndmask_b32_e32 v6, v6, v10, vcc
	v_cndmask_b32_e32 v7, v7, v11, vcc
	;; [unrolled: 1-line block ×3, first 2 shown]
	v_add_co_u32_e64 v10, s[6:7], -1, v6
	v_cndmask_b32_e32 v5, v11, v5, vcc
	v_addc_co_u32_e64 v11, s[6:7], -1, v7, s[6:7]
	v_cmp_ge_i64_e32 vcc, v[4:5], v[6:7]
	v_cmp_eq_u64_e64 s[6:7], v[4:5], v[10:11]
	s_or_b64 s[6:7], vcc, s[6:7]
	s_and_b64 s[6:7], exec, s[6:7]
	s_or_b64 s[42:43], s[6:7], s[42:43]
	s_andn2_b64 exec, exec, s[42:43]
	s_cbranch_execnz .LBB42_118
; %bb.119:
	s_or_b64 exec, exec, s[42:43]
.LBB42_120:
	v_lshlrev_b64 v[8:9], 3, v[6:7]
	v_mov_b32_e32 v10, s21
	v_add_co_u32_e32 v8, vcc, s20, v8
	v_addc_co_u32_e32 v9, vcc, v10, v9, vcc
	global_load_dwordx2 v[8:9], v[8:9], off
	v_add_co_u32_e32 v10, vcc, 0x1000, v18
	v_addc_co_u32_e32 v11, vcc, 0, v19, vcc
	global_load_dwordx2 v[10:11], v[10:11], off
	v_mov_b32_e32 v12, s33
	s_waitcnt vmcnt(1)
	v_subrev_co_u32_e32 v8, vcc, s38, v8
	v_subb_co_u32_e32 v9, vcc, v9, v12, vcc
	v_cmp_gt_i64_e32 vcc, v[8:9], v[2:3]
	v_cndmask_b32_e32 v5, v7, v5, vcc
	v_cndmask_b32_e32 v4, v6, v4, vcc
	s_waitcnt vmcnt(0)
	v_subrev_co_u32_e32 v14, vcc, s38, v10
	v_subb_co_u32_e32 v15, vcc, v11, v12, vcc
	v_cmp_ne_u64_e32 vcc, v[14:15], v[4:5]
	s_and_saveexec_b64 s[42:43], vcc
	s_cbranch_execz .LBB42_130
; %bb.121:
	s_load_dwordx2 s[6:7], s[22:23], 0x0
	s_waitcnt lgkmcnt(0)
	s_sub_u32 s6, s6, s38
	s_subb_u32 s7, s7, 0
	v_cmp_gt_i64_e32 vcc, s[6:7], v[2:3]
	s_and_b64 exec, exec, vcc
	s_cbranch_execz .LBB42_130
; %bb.122:
	v_cmp_gt_i64_e32 vcc, s[8:9], v[14:15]
	v_cmp_le_i64_e64 s[6:7], s[30:31], v[14:15]
	s_or_b64 s[6:7], vcc, s[6:7]
	v_lshlrev_b64 v[2:3], 4, v[4:5]
	s_and_saveexec_b64 s[44:45], s[6:7]
	s_xor_b64 s[6:7], exec, s[44:45]
	s_cbranch_execz .LBB42_128
; %bb.123:
	v_mov_b32_e32 v4, s27
	v_add_co_u32_e32 v2, vcc, s26, v2
	v_lshlrev_b64 v[6:7], 4, v[14:15]
	v_addc_co_u32_e32 v3, vcc, v4, v3, vcc
	v_mov_b32_e32 v8, s35
	global_load_dwordx4 v[2:5], v[2:3], off
	v_add_co_u32_e32 v20, vcc, s34, v6
	v_addc_co_u32_e32 v21, vcc, v8, v7, vcc
	global_load_dwordx2 v[12:13], v[20:21], off
	ds_read_b128 v[6:9], v26 offset:8192
	s_mov_b64 s[44:45], 0
	s_waitcnt vmcnt(1) lgkmcnt(0)
	v_mul_f64 v[22:23], v[4:5], -v[8:9]
	v_fmac_f64_e32 v[22:23], v[6:7], v[2:3]
.LBB42_124:                             ; =>This Inner Loop Header: Depth=1
	s_waitcnt vmcnt(0)
	v_add_f64 v[10:11], v[12:13], v[22:23]
	global_atomic_cmpswap_x2 v[10:11], v[20:21], v[10:13], off glc
	s_waitcnt vmcnt(0)
	v_cmp_eq_u64_e32 vcc, v[10:11], v[12:13]
	s_or_b64 s[44:45], vcc, s[44:45]
	v_pk_mov_b32 v[12:13], v[10:11], v[10:11] op_sel:[0,1]
	s_andn2_b64 exec, exec, s[44:45]
	s_cbranch_execnz .LBB42_124
; %bb.125:
	s_or_b64 exec, exec, s[44:45]
	global_load_dwordx2 v[10:11], v[20:21], off offset:8
	v_mul_f64 v[4:5], v[4:5], v[6:7]
	v_fmac_f64_e32 v[4:5], v[8:9], v[2:3]
	s_mov_b64 s[44:45], 0
.LBB42_126:                             ; =>This Inner Loop Header: Depth=1
	s_waitcnt vmcnt(0)
	v_add_f64 v[8:9], v[10:11], v[4:5]
	global_atomic_cmpswap_x2 v[2:3], v[20:21], v[8:11], off offset:8 glc
	s_waitcnt vmcnt(0)
	v_cmp_eq_u64_e32 vcc, v[2:3], v[10:11]
	s_or_b64 s[44:45], vcc, s[44:45]
	v_pk_mov_b32 v[10:11], v[2:3], v[2:3] op_sel:[0,1]
	s_andn2_b64 exec, exec, s[44:45]
	s_cbranch_execnz .LBB42_126
; %bb.127:
	s_or_b64 exec, exec, s[44:45]
                                        ; implicit-def: $vgpr2_vgpr3
.LBB42_128:
	s_andn2_saveexec_b64 s[6:7], s[6:7]
	s_cbranch_execz .LBB42_130
; %bb.129:
	v_mov_b32_e32 v4, s27
	v_add_co_u32_e32 v2, vcc, s26, v2
	v_addc_co_u32_e32 v3, vcc, v4, v3, vcc
	global_load_dwordx4 v[2:5], v[2:3], off
	ds_read_b128 v[6:9], v26 offset:8192
	v_subrev_u32_e32 v10, s8, v14
	v_mov_b32_e32 v11, 0x4000
	v_lshl_add_u32 v12, v10, 4, v11
	s_waitcnt vmcnt(0) lgkmcnt(0)
	v_mul_f64 v[10:11], v[4:5], -v[8:9]
	v_mul_f64 v[4:5], v[4:5], v[6:7]
	v_fmac_f64_e32 v[10:11], v[6:7], v[2:3]
	v_fmac_f64_e32 v[4:5], v[8:9], v[2:3]
	ds_add_f64 v12, v[10:11]
	ds_add_f64 v12, v[4:5] offset:8
.LBB42_130:
	s_or_b64 exec, exec, s[42:43]
	v_lshlrev_b64 v[2:3], 4, v[14:15]
	v_mov_b32_e32 v4, s27
	v_add_co_u32_e32 v2, vcc, s26, v2
	v_addc_co_u32_e32 v3, vcc, v4, v3, vcc
	global_load_dwordx4 v[4:7], v[2:3], off
	ds_read_b128 v[8:11], v26 offset:8192
	s_and_b64 vcc, exec, s[4:5]
	v_pk_mov_b32 v[2:3], s[28:29], s[28:29] op_sel:[0,1]
	s_waitcnt vmcnt(0) lgkmcnt(0)
	v_mul_f64 v[12:13], v[6:7], -v[10:11]
	v_mul_f64 v[14:15], v[6:7], v[8:9]
	v_fmac_f64_e32 v[12:13], v[8:9], v[4:5]
	v_fmac_f64_e32 v[14:15], v[10:11], v[4:5]
	v_pk_mov_b32 v[4:5], s[40:41], s[40:41] op_sel:[0,1]
	ds_write_b128 v26, v[12:15] offset:8192
	s_cbranch_vccnz .LBB42_134
; %bb.131:
	s_mov_b64 s[6:7], 0
	v_pk_mov_b32 v[2:3], s[28:29], s[28:29] op_sel:[0,1]
	v_pk_mov_b32 v[4:5], s[40:41], s[40:41] op_sel:[0,1]
	v_mov_b32_e32 v6, s21
	v_mov_b32_e32 v7, s33
.LBB42_132:                             ; =>This Inner Loop Header: Depth=1
	v_add_co_u32_e32 v8, vcc, v4, v2
	v_addc_co_u32_e32 v9, vcc, v5, v3, vcc
	v_lshrrev_b32_e32 v10, 31, v9
	v_add_co_u32_e32 v8, vcc, v8, v10
	v_addc_co_u32_e32 v9, vcc, 0, v9, vcc
	v_ashrrev_i64 v[8:9], 1, v[8:9]
	v_lshlrev_b64 v[10:11], 3, v[8:9]
	v_add_co_u32_e32 v10, vcc, s20, v10
	v_addc_co_u32_e32 v11, vcc, v6, v11, vcc
	global_load_dwordx2 v[10:11], v[10:11], off
	s_waitcnt vmcnt(0)
	v_subrev_co_u32_e32 v10, vcc, s38, v10
	v_subb_co_u32_e32 v11, vcc, v11, v7, vcc
	v_cmp_gt_i64_e32 vcc, v[10:11], v[16:17]
	v_cndmask_b32_e32 v4, v4, v8, vcc
	v_cndmask_b32_e32 v5, v5, v9, vcc
	;; [unrolled: 1-line block ×3, first 2 shown]
	v_add_co_u32_e64 v8, s[4:5], -1, v4
	v_cndmask_b32_e32 v3, v9, v3, vcc
	v_addc_co_u32_e64 v9, s[4:5], -1, v5, s[4:5]
	v_cmp_ge_i64_e32 vcc, v[2:3], v[4:5]
	v_cmp_eq_u64_e64 s[4:5], v[2:3], v[8:9]
	s_or_b64 s[4:5], vcc, s[4:5]
	s_and_b64 s[4:5], exec, s[4:5]
	s_or_b64 s[6:7], s[4:5], s[6:7]
	s_andn2_b64 exec, exec, s[6:7]
	s_cbranch_execnz .LBB42_132
; %bb.133:
	s_or_b64 exec, exec, s[6:7]
.LBB42_134:
	v_lshlrev_b64 v[6:7], 3, v[4:5]
	v_mov_b32_e32 v8, s21
	v_add_co_u32_e32 v6, vcc, s20, v6
	v_addc_co_u32_e32 v7, vcc, v8, v7, vcc
	global_load_dwordx2 v[6:7], v[6:7], off
	v_add_co_u32_e32 v8, vcc, 0x1000, v18
	v_addc_co_u32_e32 v9, vcc, 0, v19, vcc
	global_load_dwordx2 v[8:9], v[8:9], off offset:2048
	v_mov_b32_e32 v10, s33
	s_waitcnt vmcnt(1)
	v_subrev_co_u32_e32 v6, vcc, s38, v6
	v_subb_co_u32_e32 v7, vcc, v7, v10, vcc
	v_cmp_gt_i64_e32 vcc, v[6:7], v[16:17]
	v_cndmask_b32_e32 v3, v5, v3, vcc
	v_cndmask_b32_e32 v2, v4, v2, vcc
	s_waitcnt vmcnt(0)
	v_subrev_co_u32_e32 v14, vcc, s38, v8
	v_subb_co_u32_e32 v15, vcc, v9, v10, vcc
	v_cmp_ne_u64_e32 vcc, v[14:15], v[2:3]
	s_and_saveexec_b64 s[6:7], vcc
	s_cbranch_execz .LBB42_144
; %bb.135:
	s_load_dwordx2 s[4:5], s[22:23], 0x0
	s_waitcnt lgkmcnt(0)
	s_sub_u32 s4, s4, s38
	s_subb_u32 s5, s5, 0
	v_cmp_gt_i64_e32 vcc, s[4:5], v[16:17]
	s_and_b64 exec, exec, vcc
	s_cbranch_execz .LBB42_144
; %bb.136:
	v_cmp_gt_i64_e32 vcc, s[8:9], v[14:15]
	v_cmp_le_i64_e64 s[4:5], s[30:31], v[14:15]
	s_or_b64 s[4:5], vcc, s[4:5]
	v_lshlrev_b64 v[2:3], 4, v[2:3]
	s_and_saveexec_b64 s[22:23], s[4:5]
	s_xor_b64 s[4:5], exec, s[22:23]
	s_cbranch_execz .LBB42_142
; %bb.137:
	v_mov_b32_e32 v4, s27
	v_add_co_u32_e32 v2, vcc, s26, v2
	v_lshlrev_b64 v[6:7], 4, v[14:15]
	v_addc_co_u32_e32 v3, vcc, v4, v3, vcc
	v_mov_b32_e32 v8, s35
	global_load_dwordx4 v[2:5], v[2:3], off
	v_add_co_u32_e32 v16, vcc, s34, v6
	v_addc_co_u32_e32 v17, vcc, v8, v7, vcc
	global_load_dwordx2 v[12:13], v[16:17], off
	ds_read_b128 v[6:9], v26 offset:12288
	s_mov_b64 s[22:23], 0
	s_waitcnt vmcnt(1) lgkmcnt(0)
	v_mul_f64 v[18:19], v[4:5], -v[8:9]
	v_fmac_f64_e32 v[18:19], v[6:7], v[2:3]
.LBB42_138:                             ; =>This Inner Loop Header: Depth=1
	s_waitcnt vmcnt(0)
	v_add_f64 v[10:11], v[12:13], v[18:19]
	global_atomic_cmpswap_x2 v[10:11], v[16:17], v[10:13], off glc
	s_waitcnt vmcnt(0)
	v_cmp_eq_u64_e32 vcc, v[10:11], v[12:13]
	s_or_b64 s[22:23], vcc, s[22:23]
	v_pk_mov_b32 v[12:13], v[10:11], v[10:11] op_sel:[0,1]
	s_andn2_b64 exec, exec, s[22:23]
	s_cbranch_execnz .LBB42_138
; %bb.139:
	s_or_b64 exec, exec, s[22:23]
	global_load_dwordx2 v[10:11], v[16:17], off offset:8
	v_mul_f64 v[4:5], v[4:5], v[6:7]
	v_fmac_f64_e32 v[4:5], v[8:9], v[2:3]
	s_mov_b64 s[22:23], 0
.LBB42_140:                             ; =>This Inner Loop Header: Depth=1
	s_waitcnt vmcnt(0)
	v_add_f64 v[8:9], v[10:11], v[4:5]
	global_atomic_cmpswap_x2 v[2:3], v[16:17], v[8:11], off offset:8 glc
	s_waitcnt vmcnt(0)
	v_cmp_eq_u64_e32 vcc, v[2:3], v[10:11]
	s_or_b64 s[22:23], vcc, s[22:23]
	v_pk_mov_b32 v[10:11], v[2:3], v[2:3] op_sel:[0,1]
	s_andn2_b64 exec, exec, s[22:23]
	s_cbranch_execnz .LBB42_140
; %bb.141:
	s_or_b64 exec, exec, s[22:23]
                                        ; implicit-def: $vgpr2_vgpr3
.LBB42_142:
	s_andn2_saveexec_b64 s[4:5], s[4:5]
	s_cbranch_execz .LBB42_144
; %bb.143:
	v_mov_b32_e32 v4, s27
	v_add_co_u32_e32 v2, vcc, s26, v2
	v_addc_co_u32_e32 v3, vcc, v4, v3, vcc
	global_load_dwordx4 v[2:5], v[2:3], off
	ds_read_b128 v[6:9], v26 offset:12288
	v_subrev_u32_e32 v10, s8, v14
	v_mov_b32_e32 v11, 0x4000
	v_lshl_add_u32 v12, v10, 4, v11
	s_waitcnt vmcnt(0) lgkmcnt(0)
	v_mul_f64 v[10:11], v[4:5], -v[8:9]
	v_mul_f64 v[4:5], v[4:5], v[6:7]
	v_fmac_f64_e32 v[10:11], v[6:7], v[2:3]
	v_fmac_f64_e32 v[4:5], v[8:9], v[2:3]
	ds_add_f64 v12, v[10:11]
	ds_add_f64 v12, v[4:5] offset:8
.LBB42_144:
	s_or_b64 exec, exec, s[6:7]
	v_lshlrev_b64 v[2:3], 4, v[14:15]
	v_mov_b32_e32 v4, s27
	v_add_co_u32_e32 v2, vcc, s26, v2
	v_addc_co_u32_e32 v3, vcc, v4, v3, vcc
	global_load_dwordx4 v[2:5], v[2:3], off
	ds_read_b128 v[6:9], v26 offset:12288
	s_waitcnt vmcnt(0) lgkmcnt(0)
	v_mul_f64 v[10:11], v[4:5], -v[8:9]
	v_mul_f64 v[12:13], v[4:5], v[6:7]
	v_fmac_f64_e32 v[10:11], v[6:7], v[2:3]
	v_fmac_f64_e32 v[12:13], v[8:9], v[2:3]
	ds_write_b128 v26, v[10:13] offset:12288
.LBB42_145:
	s_or_b64 exec, exec, s[24:25]
	v_pk_mov_b32 v[2:3], s[10:11], s[10:11] op_sel:[0,1]
	v_cmp_lt_i64_e32 vcc, s[30:31], v[2:3]
	s_and_b64 s[4:5], vcc, exec
	s_cselect_b32 s19, s30, s10
	s_cselect_b32 s4, s31, s11
	s_sub_u32 s6, s19, s36
	s_subb_u32 s7, s4, s37
	v_cmp_gt_i64_e32 vcc, s[6:7], v[0:1]
	s_waitcnt lgkmcnt(0)
	s_barrier
	s_and_saveexec_b64 s[4:5], vcc
	s_cbranch_execz .LBB42_152
; %bb.146:
	s_lshl_b64 s[8:9], s[8:9], 4
	s_add_u32 s22, s34, s8
	s_addc_u32 s10, s35, s9
	s_mov_b64 s[8:9], 0
	v_mov_b32_e32 v14, s10
	v_mov_b32_e32 v15, 0x4000
	v_pk_mov_b32 v[10:11], v[0:1], v[0:1] op_sel:[0,1]
.LBB42_147:                             ; =>This Loop Header: Depth=1
                                        ;     Child Loop BB42_148 Depth 2
                                        ;     Child Loop BB42_150 Depth 2
	v_lshlrev_b64 v[2:3], 4, v[10:11]
	v_add_co_u32_e32 v12, vcc, s22, v2
	v_addc_co_u32_e32 v13, vcc, v14, v3, vcc
	global_load_dwordx2 v[8:9], v[12:13], off
	v_lshl_add_u32 v2, v10, 4, v15
	ds_read2_b64 v[2:5], v2 offset1:1
	s_mov_b64 s[10:11], 0
.LBB42_148:                             ;   Parent Loop BB42_147 Depth=1
                                        ; =>  This Inner Loop Header: Depth=2
	s_waitcnt vmcnt(0) lgkmcnt(0)
	v_add_f64 v[6:7], v[8:9], v[2:3]
	global_atomic_cmpswap_x2 v[6:7], v[12:13], v[6:9], off glc
	s_waitcnt vmcnt(0)
	v_cmp_eq_u64_e32 vcc, v[6:7], v[8:9]
	s_or_b64 s[10:11], vcc, s[10:11]
	v_pk_mov_b32 v[8:9], v[6:7], v[6:7] op_sel:[0,1]
	s_andn2_b64 exec, exec, s[10:11]
	s_cbranch_execnz .LBB42_148
; %bb.149:                              ;   in Loop: Header=BB42_147 Depth=1
	s_or_b64 exec, exec, s[10:11]
	global_load_dwordx2 v[8:9], v[12:13], off offset:8
	s_mov_b64 s[10:11], 0
.LBB42_150:                             ;   Parent Loop BB42_147 Depth=1
                                        ; =>  This Inner Loop Header: Depth=2
	s_waitcnt vmcnt(0)
	v_add_f64 v[6:7], v[8:9], v[4:5]
	global_atomic_cmpswap_x2 v[2:3], v[12:13], v[6:9], off offset:8 glc
	s_waitcnt vmcnt(0)
	v_cmp_eq_u64_e32 vcc, v[2:3], v[8:9]
	s_or_b64 s[10:11], vcc, s[10:11]
	v_pk_mov_b32 v[8:9], v[2:3], v[2:3] op_sel:[0,1]
	s_andn2_b64 exec, exec, s[10:11]
	s_cbranch_execnz .LBB42_150
; %bb.151:                              ;   in Loop: Header=BB42_147 Depth=1
	s_or_b64 exec, exec, s[10:11]
	v_add_co_u32_e32 v10, vcc, 0x100, v10
	v_addc_co_u32_e32 v11, vcc, 0, v11, vcc
	v_cmp_le_i64_e32 vcc, s[6:7], v[10:11]
	s_or_b64 s[8:9], vcc, s[8:9]
	s_andn2_b64 exec, exec, s[8:9]
	s_cbranch_execnz .LBB42_147
.LBB42_152:
	s_or_b64 exec, exec, s[4:5]
	s_add_i32 s4, s18, -1
	s_ashr_i32 s5, s4, 1
	s_or_b32 s4, s5, s4
	s_ashr_i32 s5, s4, 2
	s_or_b32 s4, s5, s4
	;; [unrolled: 2-line block ×5, first 2 shown]
	s_add_i32 s7, s7, 1
	s_ashr_i32 s22, s7, 1
	v_mov_b32_e32 v2, s29
	v_add_co_u32_e32 v10, vcc, s28, v0
	v_addc_co_u32_e32 v11, vcc, 0, v2, vcc
	s_cmp_gt_i32 s22, 1
	s_mov_b64 s[4:5], -1
	s_barrier
	s_cbranch_scc1 .LBB42_165
; %bb.153:
	v_cmp_gt_i64_e32 vcc, s[30:31], v[10:11]
	s_and_saveexec_b64 s[4:5], vcc
	s_cbranch_execz .LBB42_164
; %bb.154:
	s_sub_i32 s8, s19, s30
	s_lshl_b32 s8, s8, 4
	s_add_i32 s23, s8, 0x4000
	s_lshl_b32 s8, s12, 4
	s_sub_i32 s24, 0, s8
	s_mov_b64 s[8:9], 0
	v_mov_b32_e32 v18, s21
	v_mov_b32_e32 v19, s35
	;; [unrolled: 1-line block ×3, first 2 shown]
	v_pk_mov_b32 v[12:13], v[10:11], v[10:11] op_sel:[0,1]
.LBB42_155:                             ; =>This Loop Header: Depth=1
                                        ;     Child Loop BB42_157 Depth 2
                                        ;     Child Loop BB42_160 Depth 2
	;; [unrolled: 1-line block ×3, first 2 shown]
	v_lshlrev_b64 v[2:3], 3, v[12:13]
	v_add_co_u32_e32 v2, vcc, s20, v2
	v_addc_co_u32_e32 v3, vcc, v18, v3, vcc
	global_load_dwordx4 v[2:5], v[2:3], off
	v_pk_mov_b32 v[14:15], 0, 0
	v_pk_mov_b32 v[6:7], v[14:15], v[14:15] op_sel:[0,1]
	s_waitcnt vmcnt(0)
	v_cmp_lt_i64_e32 vcc, v[2:3], v[4:5]
	s_and_saveexec_b64 s[10:11], vcc
	s_cbranch_execz .LBB42_159
; %bb.156:                              ;   in Loop: Header=BB42_155 Depth=1
	v_mov_b32_e32 v6, s13
	v_subrev_co_u32_e32 v4, vcc, s12, v4
	v_subb_co_u32_e32 v5, vcc, v5, v6, vcc
	v_subrev_co_u32_e32 v8, vcc, s12, v2
	v_pk_mov_b32 v[14:15], 0, 0
	v_subb_co_u32_e32 v9, vcc, v3, v6, vcc
	v_lshl_add_u32 v2, v2, 4, s24
	s_mov_b64 s[18:19], 0
	v_pk_mov_b32 v[6:7], v[14:15], v[14:15] op_sel:[0,1]
.LBB42_157:                             ;   Parent Loop BB42_155 Depth=1
                                        ; =>  This Inner Loop Header: Depth=2
	ds_read_b128 v[22:25], v2
	v_add_co_u32_e32 v8, vcc, 1, v8
	v_addc_co_u32_e32 v9, vcc, 0, v9, vcc
	v_cmp_ge_i64_e32 vcc, v[8:9], v[4:5]
	v_add_u32_e32 v2, 16, v2
	s_or_b64 s[18:19], vcc, s[18:19]
	s_waitcnt lgkmcnt(0)
	v_add_f64 v[6:7], v[6:7], v[22:23]
	v_add_f64 v[14:15], v[14:15], v[24:25]
	s_andn2_b64 exec, exec, s[18:19]
	s_cbranch_execnz .LBB42_157
; %bb.158:                              ;   in Loop: Header=BB42_155 Depth=1
	s_or_b64 exec, exec, s[18:19]
.LBB42_159:                             ;   in Loop: Header=BB42_155 Depth=1
	s_or_b64 exec, exec, s[10:11]
	v_lshlrev_b64 v[2:3], 4, v[12:13]
	v_add_co_u32_e32 v16, vcc, s34, v2
	v_addc_co_u32_e32 v17, vcc, v19, v3, vcc
	global_load_dwordx2 v[8:9], v[16:17], off
	v_lshl_add_u32 v2, v12, 4, s23
	ds_read2_b64 v[2:5], v2 offset1:1
	s_mov_b64 s[10:11], 0
	s_waitcnt lgkmcnt(0)
	v_add_f64 v[2:3], v[6:7], v[2:3]
.LBB42_160:                             ;   Parent Loop BB42_155 Depth=1
                                        ; =>  This Inner Loop Header: Depth=2
	s_waitcnt vmcnt(0)
	v_add_f64 v[6:7], v[8:9], v[2:3]
	global_atomic_cmpswap_x2 v[6:7], v[16:17], v[6:9], off glc
	s_waitcnt vmcnt(0)
	v_cmp_eq_u64_e32 vcc, v[6:7], v[8:9]
	s_or_b64 s[10:11], vcc, s[10:11]
	v_pk_mov_b32 v[8:9], v[6:7], v[6:7] op_sel:[0,1]
	s_andn2_b64 exec, exec, s[10:11]
	s_cbranch_execnz .LBB42_160
; %bb.161:                              ;   in Loop: Header=BB42_155 Depth=1
	s_or_b64 exec, exec, s[10:11]
	global_load_dwordx2 v[6:7], v[16:17], off offset:8
	v_add_f64 v[2:3], v[14:15], v[4:5]
	s_mov_b64 s[10:11], 0
.LBB42_162:                             ;   Parent Loop BB42_155 Depth=1
                                        ; =>  This Inner Loop Header: Depth=2
	s_waitcnt vmcnt(0)
	v_add_f64 v[4:5], v[6:7], v[2:3]
	global_atomic_cmpswap_x2 v[4:5], v[16:17], v[4:7], off offset:8 glc
	s_waitcnt vmcnt(0)
	v_cmp_eq_u64_e32 vcc, v[4:5], v[6:7]
	s_or_b64 s[10:11], vcc, s[10:11]
	v_pk_mov_b32 v[6:7], v[4:5], v[4:5] op_sel:[0,1]
	s_andn2_b64 exec, exec, s[10:11]
	s_cbranch_execnz .LBB42_162
; %bb.163:                              ;   in Loop: Header=BB42_155 Depth=1
	s_or_b64 exec, exec, s[10:11]
	v_add_co_u32_e32 v12, vcc, s16, v12
	v_addc_co_u32_e32 v13, vcc, v13, v20, vcc
	v_cmp_le_i64_e32 vcc, s[30:31], v[12:13]
	s_or_b64 s[8:9], vcc, s[8:9]
	s_andn2_b64 exec, exec, s[8:9]
	s_cbranch_execnz .LBB42_155
.LBB42_164:
	s_or_b64 exec, exec, s[4:5]
	s_mov_b64 s[4:5], 0
.LBB42_165:
	s_andn2_b64 vcc, exec, s[4:5]
	s_cbranch_vccnz .LBB42_196
; %bb.166:
	v_cvt_f32_u32_e32 v14, s22
	s_sub_i32 s10, 0, s22
	v_mov_b32_e32 v7, 0
	v_mov_b32_e32 v4, s15
	v_rcp_iflag_f32_e32 v2, v14
	v_mov_b32_e32 v12, s13
	v_mul_f32_e32 v2, 0x4f7ffffe, v2
	v_cvt_u32_f32_e32 v2, v2
	v_mul_lo_u32 v3, s10, v2
	v_mul_hi_u32 v3, v2, v3
	v_add_u32_e32 v2, v2, v3
	v_mul_hi_u32 v2, v0, v2
	v_mul_lo_u32 v3, v2, s22
	v_sub_u32_e32 v3, v0, v3
	v_add_u32_e32 v5, 1, v2
	v_cmp_le_u32_e32 vcc, s22, v3
	v_cndmask_b32_e32 v2, v2, v5, vcc
	v_subrev_u32_e32 v5, s22, v3
	v_cndmask_b32_e32 v3, v3, v5, vcc
	v_add_u32_e32 v5, 1, v2
	v_cmp_le_u32_e32 vcc, s22, v3
	v_cndmask_b32_e32 v6, v2, v5, vcc
	v_lshlrev_b64 v[2:3], 3, v[6:7]
	v_add_co_u32_e32 v2, vcc, s14, v2
	v_addc_co_u32_e32 v3, vcc, v4, v3, vcc
	global_load_dwordx4 v[2:5], v[2:3], off
	s_waitcnt vmcnt(0)
	v_subrev_co_u32_e32 v8, vcc, s12, v2
	v_subb_co_u32_e32 v9, vcc, v3, v12, vcc
	v_subrev_co_u32_e32 v20, vcc, s12, v4
	v_subb_co_u32_e32 v21, vcc, v5, v12, vcc
	v_sub_co_u32_e32 v3, vcc, v20, v8
	v_subb_co_u32_e32 v5, vcc, v21, v9, vcc
	v_mov_b32_e32 v4, v7
	v_cmp_ne_u64_e32 vcc, 0, v[4:5]
                                        ; implicit-def: $vgpr12_vgpr13
	s_and_saveexec_b64 s[4:5], vcc
	s_xor_b64 s[8:9], exec, s[4:5]
	s_cbranch_execz .LBB42_168
; %bb.167:
	v_cvt_f32_ubyte0_e32 v4, 0
	v_madmk_f32 v4, v4, 0x4f800000, v14
	v_rcp_f32_e32 v4, v4
	s_sub_u32 s4, 0, s22
	s_subb_u32 s5, 0, 0
	v_mul_f32_e32 v4, 0x5f7ffffc, v4
	v_mul_f32_e32 v12, 0x2f800000, v4
	v_trunc_f32_e32 v12, v12
	v_madmk_f32 v4, v12, 0xcf800000, v4
	v_cvt_u32_f32_e32 v12, v12
	v_cvt_u32_f32_e32 v4, v4
	v_mul_lo_u32 v13, s4, v12
	v_mul_hi_u32 v15, s4, v4
	v_mul_lo_u32 v14, s5, v4
	v_add_u32_e32 v13, v15, v13
	v_add_u32_e32 v13, v13, v14
	v_mul_lo_u32 v16, s4, v4
	v_mul_lo_u32 v15, v4, v13
	v_mul_hi_u32 v17, v4, v16
	v_mul_hi_u32 v14, v4, v13
	v_add_co_u32_e32 v15, vcc, v17, v15
	v_addc_co_u32_e32 v14, vcc, 0, v14, vcc
	v_mul_hi_u32 v18, v12, v16
	v_mul_lo_u32 v16, v12, v16
	v_add_co_u32_e32 v15, vcc, v15, v16
	v_mul_hi_u32 v17, v12, v13
	v_addc_co_u32_e32 v14, vcc, v14, v18, vcc
	v_addc_co_u32_e32 v15, vcc, 0, v17, vcc
	v_mul_lo_u32 v13, v12, v13
	v_add_co_u32_e32 v13, vcc, v14, v13
	v_addc_co_u32_e32 v14, vcc, 0, v15, vcc
	v_add_co_u32_e32 v4, vcc, v4, v13
	v_addc_co_u32_e32 v12, vcc, v12, v14, vcc
	v_mul_lo_u32 v13, s4, v12
	v_mul_hi_u32 v14, s4, v4
	v_add_u32_e32 v13, v14, v13
	v_mul_lo_u32 v14, s5, v4
	v_add_u32_e32 v13, v13, v14
	v_mul_lo_u32 v15, s4, v4
	v_mul_hi_u32 v16, v12, v15
	v_mul_lo_u32 v17, v12, v15
	v_mul_lo_u32 v19, v4, v13
	v_mul_hi_u32 v15, v4, v15
	v_mul_hi_u32 v18, v4, v13
	v_add_co_u32_e32 v15, vcc, v15, v19
	v_addc_co_u32_e32 v18, vcc, 0, v18, vcc
	v_add_co_u32_e32 v15, vcc, v15, v17
	v_mul_hi_u32 v14, v12, v13
	v_addc_co_u32_e32 v15, vcc, v18, v16, vcc
	v_addc_co_u32_e32 v14, vcc, 0, v14, vcc
	v_mul_lo_u32 v13, v12, v13
	v_add_co_u32_e32 v13, vcc, v15, v13
	v_addc_co_u32_e32 v14, vcc, 0, v14, vcc
	v_add_co_u32_e32 v13, vcc, v4, v13
	v_addc_co_u32_e32 v12, vcc, v12, v14, vcc
	v_ashrrev_i32_e32 v14, 31, v5
	v_add_co_u32_e32 v3, vcc, v3, v14
	v_addc_co_u32_e32 v4, vcc, v5, v14, vcc
	v_xor_b32_e32 v3, v3, v14
	v_xor_b32_e32 v15, v4, v14
	v_mad_u64_u32 v[4:5], s[4:5], v3, v12, 0
	v_mul_hi_u32 v16, v3, v13
	v_add_co_u32_e32 v16, vcc, v16, v4
	v_addc_co_u32_e32 v17, vcc, 0, v5, vcc
	v_mad_u64_u32 v[4:5], s[4:5], v15, v12, 0
	v_mad_u64_u32 v[12:13], s[4:5], v15, v13, 0
	v_add_co_u32_e32 v12, vcc, v16, v12
	v_addc_co_u32_e32 v12, vcc, v17, v13, vcc
	v_addc_co_u32_e32 v5, vcc, 0, v5, vcc
	v_add_co_u32_e32 v16, vcc, v12, v4
	v_addc_co_u32_e32 v17, vcc, 0, v5, vcc
	v_mad_u64_u32 v[4:5], s[4:5], s22, v16, 0
	v_mov_b32_e32 v12, v5
	v_mad_u64_u32 v[12:13], s[4:5], s22, v17, v[12:13]
	v_sub_co_u32_e32 v3, vcc, v3, v4
	v_subb_co_u32_e32 v4, vcc, v15, v12, vcc
	v_subrev_co_u32_e32 v5, vcc, s22, v3
	v_subbrev_co_u32_e32 v12, vcc, 0, v4, vcc
	v_cmp_le_u32_e32 vcc, s22, v5
	v_cndmask_b32_e64 v5, 0, -1, vcc
	v_cmp_eq_u32_e32 vcc, 0, v12
	v_cndmask_b32_e32 v5, -1, v5, vcc
	v_add_co_u32_e32 v12, vcc, 2, v16
	v_addc_co_u32_e32 v13, vcc, 0, v17, vcc
	v_add_co_u32_e32 v15, vcc, 1, v16
	v_cmp_le_u32_e64 s[4:5], s22, v3
	v_addc_co_u32_e32 v18, vcc, 0, v17, vcc
	v_cndmask_b32_e64 v3, 0, -1, s[4:5]
	v_cmp_eq_u32_e64 s[4:5], 0, v4
	v_cmp_ne_u32_e32 vcc, 0, v5
	v_cndmask_b32_e64 v3, -1, v3, s[4:5]
	v_cmp_ne_u32_e64 s[4:5], 0, v3
	v_cndmask_b32_e32 v4, v15, v12, vcc
	v_cndmask_b32_e32 v5, v18, v13, vcc
	v_cndmask_b32_e64 v4, v16, v4, s[4:5]
	v_cndmask_b32_e64 v3, v17, v5, s[4:5]
	v_xor_b32_e32 v4, v4, v14
	v_xor_b32_e32 v3, v3, v14
	v_sub_co_u32_e32 v12, vcc, v4, v14
	v_subb_co_u32_e32 v13, vcc, v3, v14, vcc
                                        ; implicit-def: $vgpr3
.LBB42_168:
	s_andn2_saveexec_b64 s[4:5], s[8:9]
	s_cbranch_execz .LBB42_170
; %bb.169:
	v_cvt_f32_u32_e32 v4, s22
	v_mov_b32_e32 v13, 0
	v_rcp_iflag_f32_e32 v4, v4
	v_mul_f32_e32 v4, 0x4f7ffffe, v4
	v_cvt_u32_f32_e32 v4, v4
	v_mul_lo_u32 v5, s10, v4
	v_mul_hi_u32 v5, v4, v5
	v_add_u32_e32 v4, v4, v5
	v_mul_hi_u32 v4, v3, v4
	v_mul_lo_u32 v5, v4, s22
	v_sub_u32_e32 v3, v3, v5
	v_add_u32_e32 v12, 1, v4
	v_subrev_u32_e32 v5, s22, v3
	v_cmp_le_u32_e32 vcc, s22, v3
	v_cndmask_b32_e32 v3, v3, v5, vcc
	v_cndmask_b32_e32 v4, v4, v12, vcc
	v_add_u32_e32 v5, 1, v4
	v_cmp_le_u32_e32 vcc, s22, v3
	v_cndmask_b32_e32 v12, v4, v5, vcc
.LBB42_170:
	s_or_b64 exec, exec, s[4:5]
	v_cmp_gt_i64_e32 vcc, s[36:37], v[6:7]
	v_pk_mov_b32 v[6:7], 0, 0
	v_pk_mov_b32 v[4:5], v[6:7], v[6:7] op_sel:[0,1]
	s_and_saveexec_b64 s[4:5], vcc
	s_cbranch_execz .LBB42_184
; %bb.171:
	s_add_i32 s8, s22, -1
	v_pk_mov_b32 v[6:7], 0, 0
	v_and_b32_e32 v14, s8, v0
	v_cmp_lt_i64_e32 vcc, 0, v[12:13]
	v_pk_mov_b32 v[4:5], v[6:7], v[6:7] op_sel:[0,1]
	s_and_saveexec_b64 s[8:9], vcc
	s_cbranch_execz .LBB42_181
; %bb.172:
	v_pk_mov_b32 v[4:5], 0, 0
	v_cmp_lt_u64_e32 vcc, 3, v[12:13]
	v_pk_mov_b32 v[16:17], 0, 0
	v_pk_mov_b32 v[6:7], v[4:5], v[4:5] op_sel:[0,1]
	s_and_saveexec_b64 s[10:11], vcc
	s_cbranch_execz .LBB42_176
; %bb.173:
	v_add_u32_e32 v3, v14, v2
	v_subrev_u32_e32 v3, s12, v3
	v_pk_mov_b32 v[6:7], 0, 0
	v_and_b32_e32 v17, 0x7fffffff, v13
	v_and_b32_e32 v16, -4, v12
	v_lshlrev_b32_e32 v3, 4, v3
	s_lshl_b32 s13, s22, 6
	s_lshl_b32 s18, s22, 4
	s_mov_b64 s[14:15], 0
	s_mov_b64 s[16:17], 0
	v_pk_mov_b32 v[4:5], v[6:7], v[6:7] op_sel:[0,1]
.LBB42_174:                             ; =>This Inner Loop Header: Depth=1
	ds_read_b128 v[22:25], v3
	v_add_u32_e32 v15, s18, v3
	v_add_u32_e32 v18, s18, v15
	ds_read_b128 v[28:31], v15
	ds_read_b128 v[32:35], v18
	v_add_u32_e32 v15, s18, v18
	ds_read_b128 v[36:39], v15
	s_add_u32 s16, s16, 4
	s_waitcnt lgkmcnt(3)
	v_add_f64 v[4:5], v[4:5], v[22:23]
	v_add_f64 v[6:7], v[6:7], v[24:25]
	s_addc_u32 s17, s17, 0
	s_waitcnt lgkmcnt(2)
	v_add_f64 v[4:5], v[4:5], v[28:29]
	v_add_f64 v[6:7], v[6:7], v[30:31]
	v_cmp_eq_u64_e32 vcc, s[16:17], v[16:17]
	s_waitcnt lgkmcnt(1)
	v_add_f64 v[4:5], v[4:5], v[32:33]
	v_add_f64 v[6:7], v[6:7], v[34:35]
	v_add_u32_e32 v3, s13, v3
	s_or_b64 s[14:15], vcc, s[14:15]
	s_waitcnt lgkmcnt(0)
	v_add_f64 v[4:5], v[4:5], v[36:37]
	v_add_f64 v[6:7], v[6:7], v[38:39]
	s_andn2_b64 exec, exec, s[14:15]
	s_cbranch_execnz .LBB42_174
; %bb.175:
	s_or_b64 exec, exec, s[14:15]
.LBB42_176:
	s_or_b64 exec, exec, s[10:11]
	v_and_b32_e32 v18, 3, v12
	v_mov_b32_e32 v19, 0
	s_mov_b64 s[14:15], 0
	v_cmp_ne_u64_e32 vcc, 0, v[18:19]
	s_and_saveexec_b64 s[10:11], vcc
	s_cbranch_execz .LBB42_180
; %bb.177:
	v_mul_lo_u32 v3, s22, v16
	v_add3_u32 v2, v14, v3, v2
	v_subrev_u32_e32 v2, s12, v2
	v_lshlrev_b32_e32 v2, 4, v2
	s_lshl_b32 s12, s22, 4
.LBB42_178:                             ; =>This Inner Loop Header: Depth=1
	ds_read_b128 v[22:25], v2
	v_add_co_u32_e32 v18, vcc, -1, v18
	v_addc_co_u32_e32 v19, vcc, -1, v19, vcc
	v_cmp_eq_u64_e32 vcc, 0, v[18:19]
	v_add_u32_e32 v2, s12, v2
	s_or_b64 s[14:15], vcc, s[14:15]
	s_waitcnt lgkmcnt(0)
	v_add_f64 v[4:5], v[4:5], v[22:23]
	v_add_f64 v[6:7], v[6:7], v[24:25]
	s_andn2_b64 exec, exec, s[14:15]
	s_cbranch_execnz .LBB42_178
; %bb.179:
	s_or_b64 exec, exec, s[14:15]
.LBB42_180:
	s_or_b64 exec, exec, s[10:11]
.LBB42_181:
	s_or_b64 exec, exec, s[8:9]
	v_mad_u64_u32 v[2:3], s[8:9], v12, s22, v[8:9]
	v_mov_b32_e32 v8, v3
	v_mad_u64_u32 v[8:9], s[8:9], v13, s22, v[8:9]
	v_mov_b32_e32 v3, v8
	v_sub_co_u32_e32 v8, vcc, v20, v2
	v_mov_b32_e32 v15, 0
	v_subb_co_u32_e32 v9, vcc, v21, v3, vcc
	v_cmp_gt_i64_e32 vcc, v[8:9], v[14:15]
	s_and_saveexec_b64 s[8:9], vcc
	s_cbranch_execz .LBB42_183
; %bb.182:
	v_add_lshl_u32 v2, v14, v2, 4
	ds_read_b128 v[12:15], v2
	s_waitcnt lgkmcnt(0)
	v_add_f64 v[4:5], v[4:5], v[12:13]
	v_add_f64 v[6:7], v[6:7], v[14:15]
.LBB42_183:
	s_or_b64 exec, exec, s[8:9]
.LBB42_184:
	s_or_b64 exec, exec, s[4:5]
	v_cmp_gt_i64_e32 vcc, s[36:37], v[0:1]
	s_barrier
	ds_write_b128 v26, v[4:7]
	s_waitcnt lgkmcnt(0)
	s_barrier
	s_and_b64 exec, exec, vcc
	s_cbranch_execz .LBB42_196
; %bb.185:
	v_mul_lo_u32 v1, s22, v0
	s_cmp_lt_u32 s22, 8
	v_pk_mov_b32 v[4:5], 0, 0
	s_cbranch_scc1 .LBB42_188
; %bb.186:
	v_pk_mov_b32 v[8:9], 0, 0
	s_and_b32 s4, s22, 0x7ffffff8
	v_lshlrev_b32_e32 v2, 4, v1
	s_mov_b32 s5, 0
	v_pk_mov_b32 v[4:5], v[8:9], v[8:9] op_sel:[0,1]
.LBB42_187:                             ; =>This Inner Loop Header: Depth=1
	ds_read_b128 v[12:15], v2
	ds_read_b128 v[16:19], v2 offset:16
	ds_read_b128 v[20:23], v2 offset:32
	;; [unrolled: 1-line block ×7, first 2 shown]
	s_waitcnt lgkmcnt(7)
	v_add_f64 v[4:5], v[4:5], v[12:13]
	v_add_f64 v[6:7], v[8:9], v[14:15]
	s_waitcnt lgkmcnt(6)
	v_add_f64 v[4:5], v[4:5], v[16:17]
	v_add_f64 v[6:7], v[6:7], v[18:19]
	;; [unrolled: 3-line block ×6, first 2 shown]
	s_add_i32 s5, s5, 8
	s_waitcnt lgkmcnt(1)
	v_add_f64 v[4:5], v[4:5], v[36:37]
	v_add_f64 v[6:7], v[6:7], v[38:39]
	v_add_u32_e32 v2, 0x80, v2
	s_cmp_eq_u32 s4, s5
	s_waitcnt lgkmcnt(0)
	v_add_f64 v[4:5], v[4:5], v[40:41]
	v_add_f64 v[8:9], v[6:7], v[42:43]
	s_cbranch_scc0 .LBB42_187
	s_branch .LBB42_189
.LBB42_188:
	s_mov_b32 s4, 0
	v_pk_mov_b32 v[8:9], v[4:5], v[4:5] op_sel:[0,1]
.LBB42_189:
	s_bfe_u32 s5, s7, 0x30001
	s_cmp_eq_u32 s5, 0
	s_cbranch_scc1 .LBB42_192
; %bb.190:
	v_add_lshl_u32 v1, s4, v1, 4
.LBB42_191:                             ; =>This Inner Loop Header: Depth=1
	ds_read_b128 v[12:15], v1
	s_add_i32 s5, s5, -1
	v_add_u32_e32 v1, 16, v1
	s_cmp_lg_u32 s5, 0
	s_waitcnt lgkmcnt(0)
	v_add_f64 v[4:5], v[4:5], v[12:13]
	v_add_f64 v[8:9], v[8:9], v[14:15]
	s_cbranch_scc1 .LBB42_191
.LBB42_192:
	v_lshlrev_b64 v[2:3], 4, v[10:11]
	v_mov_b32_e32 v1, s35
	v_add_co_u32_e32 v10, vcc, s34, v2
	v_addc_co_u32_e32 v11, vcc, v1, v3, vcc
	global_load_dwordx2 v[6:7], v[10:11], off
	s_lshl_b32 s4, s6, 4
	s_addk_i32 s4, 0x4000
	v_lshl_add_u32 v0, v0, 4, s4
	ds_read2_b64 v[0:3], v0 offset1:1
	s_mov_b64 s[4:5], 0
	s_waitcnt lgkmcnt(0)
	v_add_f64 v[0:1], v[4:5], v[0:1]
.LBB42_193:                             ; =>This Inner Loop Header: Depth=1
	s_waitcnt vmcnt(0)
	v_add_f64 v[4:5], v[6:7], v[0:1]
	global_atomic_cmpswap_x2 v[4:5], v[10:11], v[4:7], off glc
	s_waitcnt vmcnt(0)
	v_cmp_eq_u64_e32 vcc, v[4:5], v[6:7]
	s_or_b64 s[4:5], vcc, s[4:5]
	v_pk_mov_b32 v[6:7], v[4:5], v[4:5] op_sel:[0,1]
	s_andn2_b64 exec, exec, s[4:5]
	s_cbranch_execnz .LBB42_193
; %bb.194:
	s_or_b64 exec, exec, s[4:5]
	global_load_dwordx2 v[4:5], v[10:11], off offset:8
	v_add_f64 v[0:1], v[8:9], v[2:3]
	s_mov_b64 s[4:5], 0
.LBB42_195:                             ; =>This Inner Loop Header: Depth=1
	s_waitcnt vmcnt(0)
	v_add_f64 v[2:3], v[4:5], v[0:1]
	global_atomic_cmpswap_x2 v[2:3], v[10:11], v[2:5], off offset:8 glc
	s_waitcnt vmcnt(0)
	v_cmp_eq_u64_e32 vcc, v[2:3], v[4:5]
	s_or_b64 s[4:5], vcc, s[4:5]
	v_pk_mov_b32 v[4:5], v[2:3], v[2:3] op_sel:[0,1]
	s_andn2_b64 exec, exec, s[4:5]
	s_cbranch_execnz .LBB42_195
.LBB42_196:
	s_endpgm
	.section	.rodata,"a",@progbits
	.p2align	6, 0x0
	.amdhsa_kernel _ZN9rocsparseL27csrmvn_symm_adaptive_kernelIll21rocsparse_complex_numIdES2_S2_S2_EEvbT_S3_PKS3_NS_24const_host_device_scalarIT4_EES5_PKT0_PKT1_PKT2_S8_PT3_21rocsparse_index_base_b
		.amdhsa_group_segment_fixed_size 16384
		.amdhsa_private_segment_fixed_size 24
		.amdhsa_kernarg_size 368
		.amdhsa_user_sgpr_count 8
		.amdhsa_user_sgpr_private_segment_buffer 1
		.amdhsa_user_sgpr_dispatch_ptr 0
		.amdhsa_user_sgpr_queue_ptr 0
		.amdhsa_user_sgpr_kernarg_segment_ptr 1
		.amdhsa_user_sgpr_dispatch_id 0
		.amdhsa_user_sgpr_flat_scratch_init 1
		.amdhsa_user_sgpr_kernarg_preload_length 0
		.amdhsa_user_sgpr_kernarg_preload_offset 0
		.amdhsa_user_sgpr_private_segment_size 0
		.amdhsa_uses_dynamic_stack 0
		.amdhsa_system_sgpr_private_segment_wavefront_offset 1
		.amdhsa_system_sgpr_workgroup_id_x 1
		.amdhsa_system_sgpr_workgroup_id_y 0
		.amdhsa_system_sgpr_workgroup_id_z 0
		.amdhsa_system_sgpr_workgroup_info 0
		.amdhsa_system_vgpr_workitem_id 0
		.amdhsa_next_free_vgpr 44
		.amdhsa_next_free_sgpr 58
		.amdhsa_accum_offset 44
		.amdhsa_reserve_vcc 1
		.amdhsa_reserve_flat_scratch 1
		.amdhsa_float_round_mode_32 0
		.amdhsa_float_round_mode_16_64 0
		.amdhsa_float_denorm_mode_32 3
		.amdhsa_float_denorm_mode_16_64 3
		.amdhsa_dx10_clamp 1
		.amdhsa_ieee_mode 1
		.amdhsa_fp16_overflow 0
		.amdhsa_tg_split 0
		.amdhsa_exception_fp_ieee_invalid_op 0
		.amdhsa_exception_fp_denorm_src 0
		.amdhsa_exception_fp_ieee_div_zero 0
		.amdhsa_exception_fp_ieee_overflow 0
		.amdhsa_exception_fp_ieee_underflow 0
		.amdhsa_exception_fp_ieee_inexact 0
		.amdhsa_exception_int_div_zero 0
	.end_amdhsa_kernel
	.section	.text._ZN9rocsparseL27csrmvn_symm_adaptive_kernelIll21rocsparse_complex_numIdES2_S2_S2_EEvbT_S3_PKS3_NS_24const_host_device_scalarIT4_EES5_PKT0_PKT1_PKT2_S8_PT3_21rocsparse_index_base_b,"axG",@progbits,_ZN9rocsparseL27csrmvn_symm_adaptive_kernelIll21rocsparse_complex_numIdES2_S2_S2_EEvbT_S3_PKS3_NS_24const_host_device_scalarIT4_EES5_PKT0_PKT1_PKT2_S8_PT3_21rocsparse_index_base_b,comdat
.Lfunc_end42:
	.size	_ZN9rocsparseL27csrmvn_symm_adaptive_kernelIll21rocsparse_complex_numIdES2_S2_S2_EEvbT_S3_PKS3_NS_24const_host_device_scalarIT4_EES5_PKT0_PKT1_PKT2_S8_PT3_21rocsparse_index_base_b, .Lfunc_end42-_ZN9rocsparseL27csrmvn_symm_adaptive_kernelIll21rocsparse_complex_numIdES2_S2_S2_EEvbT_S3_PKS3_NS_24const_host_device_scalarIT4_EES5_PKT0_PKT1_PKT2_S8_PT3_21rocsparse_index_base_b
                                        ; -- End function
	.section	.AMDGPU.csdata,"",@progbits
; Kernel info:
; codeLenInByte = 10460
; NumSgprs: 64
; NumVgprs: 44
; NumAgprs: 0
; TotalNumVgprs: 44
; ScratchSize: 24
; MemoryBound: 0
; FloatMode: 240
; IeeeMode: 1
; LDSByteSize: 16384 bytes/workgroup (compile time only)
; SGPRBlocks: 7
; VGPRBlocks: 5
; NumSGPRsForWavesPerEU: 64
; NumVGPRsForWavesPerEU: 44
; AccumOffset: 44
; Occupancy: 4
; WaveLimiterHint : 1
; COMPUTE_PGM_RSRC2:SCRATCH_EN: 1
; COMPUTE_PGM_RSRC2:USER_SGPR: 8
; COMPUTE_PGM_RSRC2:TRAP_HANDLER: 0
; COMPUTE_PGM_RSRC2:TGID_X_EN: 1
; COMPUTE_PGM_RSRC2:TGID_Y_EN: 0
; COMPUTE_PGM_RSRC2:TGID_Z_EN: 0
; COMPUTE_PGM_RSRC2:TIDIG_COMP_CNT: 0
; COMPUTE_PGM_RSRC3_GFX90A:ACCUM_OFFSET: 10
; COMPUTE_PGM_RSRC3_GFX90A:TG_SPLIT: 0
	.section	.text._ZL33csrmvn_symm_large_adaptive_kernelIll21rocsparse_complex_numIdES1_S1_S1_EvbT_PKS2_N9rocsparse24const_host_device_scalarIT4_EES4_PKT0_PKT1_PKT2_S8_PT3_21rocsparse_index_base_b,"axG",@progbits,_ZL33csrmvn_symm_large_adaptive_kernelIll21rocsparse_complex_numIdES1_S1_S1_EvbT_PKS2_N9rocsparse24const_host_device_scalarIT4_EES4_PKT0_PKT1_PKT2_S8_PT3_21rocsparse_index_base_b,comdat
	.globl	_ZL33csrmvn_symm_large_adaptive_kernelIll21rocsparse_complex_numIdES1_S1_S1_EvbT_PKS2_N9rocsparse24const_host_device_scalarIT4_EES4_PKT0_PKT1_PKT2_S8_PT3_21rocsparse_index_base_b ; -- Begin function _ZL33csrmvn_symm_large_adaptive_kernelIll21rocsparse_complex_numIdES1_S1_S1_EvbT_PKS2_N9rocsparse24const_host_device_scalarIT4_EES4_PKT0_PKT1_PKT2_S8_PT3_21rocsparse_index_base_b
	.p2align	8
	.type	_ZL33csrmvn_symm_large_adaptive_kernelIll21rocsparse_complex_numIdES1_S1_S1_EvbT_PKS2_N9rocsparse24const_host_device_scalarIT4_EES4_PKT0_PKT1_PKT2_S8_PT3_21rocsparse_index_base_b,@function
_ZL33csrmvn_symm_large_adaptive_kernelIll21rocsparse_complex_numIdES1_S1_S1_EvbT_PKS2_N9rocsparse24const_host_device_scalarIT4_EES4_PKT0_PKT1_PKT2_S8_PT3_21rocsparse_index_base_b: ; @_ZL33csrmvn_symm_large_adaptive_kernelIll21rocsparse_complex_numIdES1_S1_S1_EvbT_PKS2_N9rocsparse24const_host_device_scalarIT4_EES4_PKT0_PKT1_PKT2_S8_PT3_21rocsparse_index_base_b
; %bb.0:
	s_add_u32 flat_scratch_lo, s6, s9
	s_addc_u32 flat_scratch_hi, s7, 0
	s_load_dwordx2 s[34:35], s[4:5], 0x60
	s_load_dwordx4 s[16:19], s[4:5], 0x18
	s_load_dwordx4 s[12:15], s[4:5], 0x48
	s_add_u32 s0, s0, s9
	s_addc_u32 s1, s1, 0
	s_waitcnt lgkmcnt(0)
	s_bitcmp1_b32 s35, 0
	v_mov_b32_e32 v1, 0
	v_mov_b32_e32 v3, s16
	s_cselect_b64 s[6:7], -1, 0
	v_cndmask_b32_e64 v2, v3, v1, s[6:7]
	v_mov_b32_e32 v1, s17
	s_mov_b64 s[10:11], src_private_base
	s_and_b64 vcc, s[6:7], exec
	buffer_store_dword v1, off, s[0:3], 0 offset:4
	buffer_store_dword v3, off, s[0:3], 0
	v_mov_b32_e32 v1, s13
	s_cselect_b32 s9, s11, s17
	buffer_store_dword v1, off, s[0:3], 0 offset:12
	v_mov_b32_e32 v1, s12
	buffer_store_dword v1, off, s[0:3], 0 offset:8
	v_mov_b32_e32 v3, s9
	flat_load_dwordx2 v[8:9], v[2:3]
	s_xor_b64 s[20:21], s[6:7], -1
	v_pk_mov_b32 v[10:11], s[18:19], s[18:19] op_sel:[0,1]
	s_cbranch_vccnz .LBB43_2
; %bb.1:
	v_pk_mov_b32 v[2:3], s[16:17], s[16:17] op_sel:[0,1]
	flat_load_dwordx2 v[10:11], v[2:3] offset:8
.LBB43_2:
	s_and_b64 s[16:17], s[6:7], exec
	s_cselect_b32 s9, s11, s13
	v_mov_b32_e32 v1, 8
	v_mov_b32_e32 v2, s12
	v_cndmask_b32_e64 v2, v2, v1, s[6:7]
	v_mov_b32_e32 v3, s9
	flat_load_dwordx2 v[2:3], v[2:3]
	s_andn2_b64 vcc, exec, s[20:21]
	v_pk_mov_b32 v[4:5], s[14:15], s[14:15] op_sel:[0,1]
	s_cbranch_vccnz .LBB43_4
; %bb.3:
	v_pk_mov_b32 v[4:5], s[12:13], s[12:13] op_sel:[0,1]
	flat_load_dwordx2 v[4:5], v[4:5] offset:8
.LBB43_4:
	s_waitcnt vmcnt(0) lgkmcnt(0)
	v_cmp_eq_f64_e32 vcc, 0, v[8:9]
	v_cmp_eq_f64_e64 s[6:7], 0, v[10:11]
	s_and_b64 s[12:13], vcc, s[6:7]
	s_mov_b64 s[6:7], -1
	s_and_saveexec_b64 s[10:11], s[12:13]
; %bb.5:
	v_cmp_neq_f64_e32 vcc, 1.0, v[2:3]
	v_cmp_neq_f64_e64 s[6:7], 0, v[4:5]
	s_or_b64 s[6:7], vcc, s[6:7]
	s_orn2_b64 s[6:7], s[6:7], exec
; %bb.6:
	s_or_b64 exec, exec, s[10:11]
	s_and_saveexec_b64 s[10:11], s[6:7]
	s_cbranch_execz .LBB43_51
; %bb.7:
	s_load_dword s9, s[4:5], 0x0
	s_load_dwordx2 s[6:7], s[4:5], 0x10
	s_mov_b32 s12, 0
	s_mov_b32 s13, s12
	;; [unrolled: 1-line block ×3, first 2 shown]
	s_waitcnt lgkmcnt(0)
	s_bitcmp1_b32 s9, 0
	s_cselect_b64 s[16:17], -1, 0
	s_ashr_i32 s9, s8, 31
	s_lshl_b64 s[8:9], s[8:9], 3
	s_mov_b32 s15, s12
	v_pk_mov_b32 v[2:3], s[12:13], s[12:13] op_sel:[0,1]
	s_add_u32 s6, s6, s8
	v_lshlrev_b32_e32 v14, 4, v0
	v_pk_mov_b32 v[4:5], s[14:15], s[14:15] op_sel:[0,1]
	s_addc_u32 s7, s7, s9
	ds_write_b128 v14, v[2:5]
	ds_write_b128 v14, v[2:5] offset:4096
	ds_write_b128 v14, v[2:5] offset:8192
	;; [unrolled: 1-line block ×3, first 2 shown]
	s_waitcnt lgkmcnt(0)
	s_barrier
	s_load_dwordx4 s[28:31], s[6:7], 0x0
	s_load_dwordx2 s[18:19], s[4:5], 0x58
	s_load_dwordx8 s[20:27], s[4:5], 0x28
	v_subrev_co_u32_e64 v15, s[4:5], s34, v0
	s_waitcnt lgkmcnt(0)
	v_pk_mov_b32 v[2:3], s[30:31], s[30:31] op_sel:[0,1]
	v_cmp_lt_i64_e32 vcc, s[28:29], v[2:3]
	s_mov_b32 s33, s12
	v_subb_co_u32_e64 v16, s[4:5], 0, 0, s[4:5]
	s_cbranch_vccnz .LBB43_9
; %bb.8:
	s_lshl_b64 s[4:5], s[28:29], 3
	s_add_u32 s4, s20, s4
	s_addc_u32 s5, s21, s5
	s_load_dwordx2 s[36:37], s[4:5], 0x0
	s_cbranch_execz .LBB43_10
	s_branch .LBB43_39
.LBB43_9:
                                        ; implicit-def: $sgpr36_sgpr37
.LBB43_10:
	s_lshl_b64 s[4:5], s[28:29], 3
	s_add_u32 s4, s20, s4
	s_addc_u32 s5, s21, s5
	s_waitcnt lgkmcnt(0)
	s_load_dwordx2 s[36:37], s[4:5], 0x0
	s_add_u32 s48, s20, 8
	s_addc_u32 s49, s21, 0
	s_movk_i32 s35, 0x100
	s_add_u32 s50, s24, 8
	v_cmp_gt_u32_e64 s[6:7], s35, v0
	v_cmp_gt_u32_e64 s[8:9], 64, v0
	;; [unrolled: 1-line block ×4, first 2 shown]
	v_cmp_eq_u32_e64 s[14:15], 0, v0
	s_addc_u32 s51, s25, 0
	v_mov_b32_e32 v17, s33
	v_mov_b32_e32 v18, s27
	;; [unrolled: 1-line block ×3, first 2 shown]
	s_waitcnt lgkmcnt(0)
	s_mov_b64 s[40:41], s[36:37]
	s_mov_b64 s[38:39], s[28:29]
	s_branch .LBB43_12
.LBB43_11:                              ;   in Loop: Header=BB43_12 Depth=1
	s_or_b64 exec, exec, s[4:5]
	s_add_u32 s38, s38, 1
	s_addc_u32 s39, s39, 0
	v_pk_mov_b32 v[0:1], s[30:31], s[30:31] op_sel:[0,1]
	v_cmp_ge_i64_e32 vcc, s[38:39], v[0:1]
	s_cbranch_vccnz .LBB43_39
.LBB43_12:                              ; =>This Loop Header: Depth=1
                                        ;     Child Loop BB43_14 Depth 2
                                        ;     Child Loop BB43_28 Depth 2
	;; [unrolled: 1-line block ×5, first 2 shown]
	s_mov_b64 s[4:5], s[40:41]
	s_lshl_b64 s[40:41], s[38:39], 3
	s_add_u32 s40, s48, s40
	s_addc_u32 s41, s49, s41
	s_load_dwordx2 s[40:41], s[40:41], 0x0
	v_mov_b32_e32 v0, s5
	v_add_co_u32_e32 v4, vcc, s4, v15
	v_addc_co_u32_e32 v5, vcc, v0, v16, vcc
	s_waitcnt lgkmcnt(0)
	s_sub_u32 s42, s40, s34
	s_subb_u32 s43, s41, 0
	v_pk_mov_b32 v[2:3], 0, 0
	v_cmp_gt_i64_e32 vcc, s[42:43], v[4:5]
	v_pk_mov_b32 v[0:1], v[2:3], v[2:3] op_sel:[0,1]
	s_and_saveexec_b64 s[44:45], vcc
	s_cbranch_execz .LBB43_16
; %bb.13:                               ;   in Loop: Header=BB43_12 Depth=1
	v_lshlrev_b64 v[0:1], 3, v[4:5]
	v_mov_b32_e32 v2, s23
	v_add_co_u32_e32 v6, vcc, s22, v0
	v_addc_co_u32_e32 v7, vcc, v2, v1, vcc
	v_lshlrev_b64 v[0:1], 4, v[4:5]
	v_mov_b32_e32 v2, s51
	v_add_co_u32_e32 v12, vcc, s50, v0
	v_addc_co_u32_e32 v13, vcc, v2, v1, vcc
	v_pk_mov_b32 v[2:3], 0, 0
	s_mov_b64 s[46:47], 0
	v_pk_mov_b32 v[0:1], v[2:3], v[2:3] op_sel:[0,1]
.LBB43_14:                              ;   Parent Loop BB43_12 Depth=1
                                        ; =>  This Inner Loop Header: Depth=2
	global_load_dwordx2 v[24:25], v[6:7], off
	global_load_dwordx4 v[20:23], v[12:13], off offset:-8
	s_waitcnt vmcnt(1)
	v_subrev_co_u32_e32 v24, vcc, s34, v24
	v_subb_co_u32_e32 v25, vcc, v25, v17, vcc
	v_lshlrev_b64 v[24:25], 4, v[24:25]
	v_add_co_u32_e32 v24, vcc, s26, v24
	v_addc_co_u32_e32 v25, vcc, v18, v25, vcc
	global_load_dwordx4 v[24:27], v[24:25], off
	v_add_co_u32_e32 v4, vcc, s35, v4
	v_addc_co_u32_e32 v5, vcc, 0, v5, vcc
	v_add_co_u32_e32 v6, vcc, 0x800, v6
	s_waitcnt vmcnt(1)
	v_xor_b32_e32 v28, 0x80000000, v23
	v_addc_co_u32_e32 v7, vcc, 0, v7, vcc
	v_cndmask_b32_e64 v23, v23, v28, s[16:17]
	v_add_co_u32_e32 v12, vcc, 0x1000, v12
	v_cmp_le_i64_e64 s[4:5], s[42:43], v[4:5]
	v_addc_co_u32_e32 v13, vcc, 0, v13, vcc
	s_or_b64 s[46:47], s[4:5], s[46:47]
	s_waitcnt vmcnt(0)
	v_fmac_f64_e32 v[0:1], v[20:21], v[24:25]
	v_fmac_f64_e32 v[2:3], v[22:23], v[24:25]
	v_fma_f64 v[0:1], -v[22:23], v[26:27], v[0:1]
	v_fmac_f64_e32 v[2:3], v[20:21], v[26:27]
	s_andn2_b64 exec, exec, s[46:47]
	s_cbranch_execnz .LBB43_14
; %bb.15:                               ;   in Loop: Header=BB43_12 Depth=1
	s_or_b64 exec, exec, s[46:47]
.LBB43_16:                              ;   in Loop: Header=BB43_12 Depth=1
	s_or_b64 exec, exec, s[44:45]
	ds_write_b128 v14, v[0:3]
	s_waitcnt lgkmcnt(0)
	s_barrier
	s_and_saveexec_b64 s[4:5], s[6:7]
	s_cbranch_execz .LBB43_18
; %bb.17:                               ;   in Loop: Header=BB43_12 Depth=1
	ds_read_b128 v[0:3], v14 offset:4096
	ds_read_b128 v[4:7], v14 offset:8192
	ds_read_b128 v[20:23], v14 offset:12288
	ds_read_b128 v[24:27], v14
	s_waitcnt lgkmcnt(2)
	v_add_f64 v[0:1], v[4:5], v[0:1]
	v_add_f64 v[2:3], v[6:7], v[2:3]
	s_waitcnt lgkmcnt(1)
	v_add_f64 v[0:1], v[0:1], v[20:21]
	v_add_f64 v[2:3], v[2:3], v[22:23]
	s_waitcnt lgkmcnt(0)
	v_add_f64 v[0:1], v[0:1], v[24:25]
	v_add_f64 v[2:3], v[2:3], v[26:27]
	ds_write_b128 v14, v[0:3]
.LBB43_18:                              ;   in Loop: Header=BB43_12 Depth=1
	s_or_b64 exec, exec, s[4:5]
	s_waitcnt lgkmcnt(0)
	s_barrier
	s_and_saveexec_b64 s[4:5], s[8:9]
	s_cbranch_execz .LBB43_20
; %bb.19:                               ;   in Loop: Header=BB43_12 Depth=1
	ds_read_b128 v[0:3], v14 offset:1024
	ds_read_b128 v[4:7], v14 offset:2048
	ds_read_b128 v[20:23], v14 offset:3072
	ds_read_b128 v[24:27], v14
	s_waitcnt lgkmcnt(2)
	v_add_f64 v[0:1], v[4:5], v[0:1]
	v_add_f64 v[2:3], v[6:7], v[2:3]
	s_waitcnt lgkmcnt(1)
	v_add_f64 v[0:1], v[0:1], v[20:21]
	v_add_f64 v[2:3], v[2:3], v[22:23]
	s_waitcnt lgkmcnt(0)
	v_add_f64 v[0:1], v[0:1], v[24:25]
	v_add_f64 v[2:3], v[2:3], v[26:27]
	ds_write_b128 v14, v[0:3]
.LBB43_20:                              ;   in Loop: Header=BB43_12 Depth=1
	s_or_b64 exec, exec, s[4:5]
	s_waitcnt lgkmcnt(0)
	s_barrier
	s_and_saveexec_b64 s[4:5], s[10:11]
	s_cbranch_execz .LBB43_22
; %bb.21:                               ;   in Loop: Header=BB43_12 Depth=1
	ds_read_b128 v[0:3], v14 offset:256
	ds_read_b128 v[4:7], v14 offset:512
	ds_read_b128 v[20:23], v14 offset:768
	ds_read_b128 v[24:27], v14
	s_waitcnt lgkmcnt(2)
	v_add_f64 v[0:1], v[4:5], v[0:1]
	v_add_f64 v[2:3], v[6:7], v[2:3]
	s_waitcnt lgkmcnt(1)
	v_add_f64 v[0:1], v[0:1], v[20:21]
	v_add_f64 v[2:3], v[2:3], v[22:23]
	s_waitcnt lgkmcnt(0)
	v_add_f64 v[0:1], v[0:1], v[24:25]
	v_add_f64 v[2:3], v[2:3], v[26:27]
	ds_write_b128 v14, v[0:3]
.LBB43_22:                              ;   in Loop: Header=BB43_12 Depth=1
	s_or_b64 exec, exec, s[4:5]
	s_waitcnt lgkmcnt(0)
	s_barrier
	s_and_saveexec_b64 s[4:5], s[12:13]
	s_cbranch_execz .LBB43_24
; %bb.23:                               ;   in Loop: Header=BB43_12 Depth=1
	ds_read_b128 v[0:3], v14 offset:64
	ds_read_b128 v[4:7], v14 offset:128
	ds_read_b128 v[20:23], v14 offset:192
	ds_read_b128 v[24:27], v14
	s_waitcnt lgkmcnt(2)
	v_add_f64 v[0:1], v[4:5], v[0:1]
	v_add_f64 v[2:3], v[6:7], v[2:3]
	s_waitcnt lgkmcnt(1)
	v_add_f64 v[0:1], v[0:1], v[20:21]
	v_add_f64 v[2:3], v[2:3], v[22:23]
	s_waitcnt lgkmcnt(0)
	v_add_f64 v[0:1], v[0:1], v[24:25]
	v_add_f64 v[2:3], v[2:3], v[26:27]
	ds_write_b128 v14, v[0:3]
.LBB43_24:                              ;   in Loop: Header=BB43_12 Depth=1
	s_or_b64 exec, exec, s[4:5]
	s_waitcnt lgkmcnt(0)
	s_barrier
	s_and_saveexec_b64 s[4:5], s[14:15]
	s_cbranch_execz .LBB43_26
; %bb.25:                               ;   in Loop: Header=BB43_12 Depth=1
	ds_read_b128 v[0:3], v19 offset:16
	ds_read_b128 v[4:7], v19 offset:32
	ds_read_b128 v[20:23], v19 offset:48
	ds_read_b128 v[24:27], v14
	s_waitcnt lgkmcnt(2)
	v_add_f64 v[0:1], v[4:5], v[0:1]
	v_add_f64 v[2:3], v[6:7], v[2:3]
	s_waitcnt lgkmcnt(1)
	v_add_f64 v[0:1], v[0:1], v[20:21]
	v_add_f64 v[2:3], v[2:3], v[22:23]
	s_waitcnt lgkmcnt(0)
	v_add_f64 v[0:1], v[0:1], v[24:25]
	v_add_f64 v[2:3], v[2:3], v[26:27]
	ds_write_b128 v14, v[0:3]
.LBB43_26:                              ;   in Loop: Header=BB43_12 Depth=1
	s_or_b64 exec, exec, s[4:5]
	s_waitcnt lgkmcnt(0)
	s_barrier
	s_and_saveexec_b64 s[4:5], s[14:15]
	s_cbranch_execz .LBB43_11
; %bb.27:                               ;   in Loop: Header=BB43_12 Depth=1
	ds_read_b128 v[0:3], v19
	v_mov_b32_e32 v12, 0
	s_mov_b64 s[42:43], exec
	v_bfrev_b32_e32 v13, 1
	s_waitcnt lgkmcnt(0)
	v_mul_f64 v[4:5], v[2:3], -v[10:11]
	v_fmac_f64_e32 v[4:5], v[8:9], v[0:1]
.LBB43_28:                              ;   Parent Loop BB43_12 Depth=1
                                        ; =>  This Inner Loop Header: Depth=2
	s_ff1_i32_b64 s46, s[42:43]
	v_readlane_b32 s45, v5, s46
	v_readlane_b32 s44, v4, s46
	s_lshl_b64 s[46:47], 1, s46
	s_andn2_b64 s[42:43], s[42:43], s[46:47]
	s_cmp_lg_u64 s[42:43], 0
	v_add_f64 v[12:13], v[12:13], s[44:45]
	s_cbranch_scc1 .LBB43_28
; %bb.29:                               ;   in Loop: Header=BB43_12 Depth=1
	s_lshl_b64 s[42:43], s[38:39], 4
	v_mbcnt_lo_u32_b32 v4, exec_lo, 0
	s_add_u32 s42, s18, s42
	v_mbcnt_hi_u32_b32 v4, exec_hi, v4
	s_addc_u32 s43, s19, s43
	v_cmp_eq_u32_e32 vcc, 0, v4
	s_and_saveexec_b64 s[44:45], vcc
	s_xor_b64 s[44:45], exec, s[44:45]
	s_cbranch_execz .LBB43_33
; %bb.30:                               ;   in Loop: Header=BB43_12 Depth=1
	global_load_dwordx2 v[6:7], v19, s[42:43]
	s_mov_b64 s[46:47], 0
.LBB43_31:                              ;   Parent Loop BB43_12 Depth=1
                                        ; =>  This Inner Loop Header: Depth=2
	s_waitcnt vmcnt(0)
	v_add_f64 v[4:5], v[6:7], v[12:13]
	global_atomic_cmpswap_x2 v[4:5], v19, v[4:7], s[42:43] glc
	s_waitcnt vmcnt(0)
	v_cmp_eq_u64_e32 vcc, v[4:5], v[6:7]
	s_or_b64 s[46:47], vcc, s[46:47]
	v_pk_mov_b32 v[6:7], v[4:5], v[4:5] op_sel:[0,1]
	s_andn2_b64 exec, exec, s[46:47]
	s_cbranch_execnz .LBB43_31
; %bb.32:                               ;   in Loop: Header=BB43_12 Depth=1
	s_or_b64 exec, exec, s[46:47]
.LBB43_33:                              ;   in Loop: Header=BB43_12 Depth=1
	s_or_b64 exec, exec, s[44:45]
	v_mul_f64 v[2:3], v[8:9], v[2:3]
	v_mov_b32_e32 v4, 0
	s_mov_b64 s[44:45], exec
	v_fmac_f64_e32 v[2:3], v[10:11], v[0:1]
	v_bfrev_b32_e32 v5, 1
.LBB43_34:                              ;   Parent Loop BB43_12 Depth=1
                                        ; =>  This Inner Loop Header: Depth=2
	s_ff1_i32_b64 s52, s[44:45]
	v_readlane_b32 s47, v3, s52
	v_readlane_b32 s46, v2, s52
	s_lshl_b64 s[52:53], 1, s52
	s_andn2_b64 s[44:45], s[44:45], s[52:53]
	s_cmp_lg_u64 s[44:45], 0
	v_add_f64 v[4:5], v[4:5], s[46:47]
	s_cbranch_scc1 .LBB43_34
; %bb.35:                               ;   in Loop: Header=BB43_12 Depth=1
	v_mbcnt_lo_u32_b32 v0, exec_lo, 0
	v_mbcnt_hi_u32_b32 v0, exec_hi, v0
	v_cmp_eq_u32_e32 vcc, 0, v0
	s_and_saveexec_b64 s[44:45], vcc
	s_xor_b64 s[44:45], exec, s[44:45]
	s_cbranch_execz .LBB43_11
; %bb.36:                               ;   in Loop: Header=BB43_12 Depth=1
	global_load_dwordx2 v[2:3], v19, s[42:43] offset:8
	s_mov_b64 s[44:45], 0
.LBB43_37:                              ;   Parent Loop BB43_12 Depth=1
                                        ; =>  This Inner Loop Header: Depth=2
	s_waitcnt vmcnt(0)
	v_add_f64 v[0:1], v[2:3], v[4:5]
	global_atomic_cmpswap_x2 v[0:1], v19, v[0:3], s[42:43] offset:8 glc
	s_waitcnt vmcnt(0)
	v_cmp_eq_u64_e32 vcc, v[0:1], v[2:3]
	s_or_b64 s[44:45], vcc, s[44:45]
	v_pk_mov_b32 v[2:3], v[0:1], v[0:1] op_sel:[0,1]
	s_andn2_b64 exec, exec, s[44:45]
	s_cbranch_execnz .LBB43_37
; %bb.38:                               ;   in Loop: Header=BB43_12 Depth=1
	s_or_b64 exec, exec, s[44:45]
	s_branch .LBB43_11
.LBB43_39:
	s_lshl_b64 s[4:5], s[30:31], 3
	s_add_u32 s4, s20, s4
	s_addc_u32 s5, s21, s5
	s_load_dwordx2 s[4:5], s[4:5], 0x0
	s_waitcnt lgkmcnt(0)
	v_mov_b32_e32 v0, s37
	v_add_co_u32_e32 v12, vcc, s36, v15
	v_addc_co_u32_e32 v13, vcc, v0, v16, vcc
	s_sub_u32 s8, s4, s34
	s_subb_u32 s9, s5, 0
	v_cmp_gt_i64_e32 vcc, s[8:9], v[12:13]
	s_and_b64 exec, exec, vcc
	s_cbranch_execz .LBB43_51
; %bb.40:
	s_add_u32 s10, s30, -1
	s_addc_u32 s11, s31, -1
	s_add_u32 s4, s30, -2
	s_addc_u32 s5, s31, -1
	v_pk_mov_b32 v[0:1], s[28:29], s[28:29] op_sel:[0,1]
	s_cmp_lg_u64 s[4:5], s[28:29]
	v_cmp_gt_i64_e32 vcc, s[10:11], v[0:1]
	s_cselect_b64 s[4:5], -1, 0
	s_and_b64 s[4:5], vcc, s[4:5]
	v_cndmask_b32_e64 v0, 0, 1, s[4:5]
	s_mov_b64 s[12:13], 0
	v_cmp_ne_u32_e64 s[6:7], 1, v0
	v_mov_b32_e32 v22, s21
	v_mov_b32_e32 v23, s33
	;; [unrolled: 1-line block ×3, first 2 shown]
	s_branch .LBB43_42
.LBB43_41:                              ;   in Loop: Header=BB43_42 Depth=1
	s_or_b64 exec, exec, s[4:5]
	v_add_co_u32_e32 v12, vcc, 0x100, v12
	v_addc_co_u32_e32 v13, vcc, 0, v13, vcc
	v_cmp_le_i64_e32 vcc, s[8:9], v[12:13]
	s_or_b64 s[12:13], vcc, s[12:13]
	s_andn2_b64 exec, exec, s[12:13]
	s_cbranch_execz .LBB43_51
.LBB43_42:                              ; =>This Loop Header: Depth=1
                                        ;     Child Loop BB43_44 Depth 2
                                        ;     Child Loop BB43_48 Depth 2
	;; [unrolled: 1-line block ×3, first 2 shown]
	s_and_b64 vcc, exec, s[6:7]
	v_pk_mov_b32 v[0:1], s[28:29], s[28:29] op_sel:[0,1]
	v_pk_mov_b32 v[2:3], s[10:11], s[10:11] op_sel:[0,1]
	s_cbranch_vccnz .LBB43_46
; %bb.43:                               ;   in Loop: Header=BB43_42 Depth=1
	s_mov_b64 s[14:15], 0
	v_pk_mov_b32 v[0:1], s[28:29], s[28:29] op_sel:[0,1]
	v_pk_mov_b32 v[2:3], s[10:11], s[10:11] op_sel:[0,1]
.LBB43_44:                              ;   Parent Loop BB43_42 Depth=1
                                        ; =>  This Inner Loop Header: Depth=2
	v_add_co_u32_e32 v4, vcc, v2, v0
	v_addc_co_u32_e32 v5, vcc, v3, v1, vcc
	v_lshrrev_b32_e32 v6, 31, v5
	v_add_co_u32_e32 v4, vcc, v4, v6
	v_addc_co_u32_e32 v5, vcc, 0, v5, vcc
	v_ashrrev_i64 v[4:5], 1, v[4:5]
	v_lshlrev_b64 v[6:7], 3, v[4:5]
	v_mov_b32_e32 v14, s21
	v_add_co_u32_e32 v6, vcc, s20, v6
	v_addc_co_u32_e32 v7, vcc, v14, v7, vcc
	global_load_dwordx2 v[6:7], v[6:7], off
	v_mov_b32_e32 v14, s33
	s_waitcnt vmcnt(0)
	v_subrev_co_u32_e32 v6, vcc, s34, v6
	v_subb_co_u32_e32 v7, vcc, v7, v14, vcc
	v_cmp_gt_i64_e32 vcc, v[6:7], v[12:13]
	v_cndmask_b32_e32 v2, v2, v4, vcc
	v_cndmask_b32_e32 v3, v3, v5, vcc
	;; [unrolled: 1-line block ×3, first 2 shown]
	v_add_co_u32_e64 v4, s[4:5], -1, v2
	v_cndmask_b32_e32 v1, v5, v1, vcc
	v_addc_co_u32_e64 v5, s[4:5], -1, v3, s[4:5]
	v_cmp_ge_i64_e32 vcc, v[0:1], v[2:3]
	v_cmp_eq_u64_e64 s[4:5], v[0:1], v[4:5]
	s_or_b64 s[4:5], vcc, s[4:5]
	s_and_b64 s[4:5], exec, s[4:5]
	s_or_b64 s[14:15], s[4:5], s[14:15]
	s_andn2_b64 exec, exec, s[14:15]
	s_cbranch_execnz .LBB43_44
; %bb.45:                               ;   in Loop: Header=BB43_42 Depth=1
	s_or_b64 exec, exec, s[14:15]
.LBB43_46:                              ;   in Loop: Header=BB43_42 Depth=1
	v_lshlrev_b64 v[4:5], 3, v[2:3]
	v_add_co_u32_e32 v4, vcc, s20, v4
	v_addc_co_u32_e32 v5, vcc, v22, v5, vcc
	global_load_dwordx2 v[4:5], v[4:5], off
	v_lshlrev_b64 v[6:7], 3, v[12:13]
	v_add_co_u32_e32 v6, vcc, s22, v6
	v_addc_co_u32_e32 v7, vcc, v24, v7, vcc
	global_load_dwordx2 v[6:7], v[6:7], off
	s_waitcnt vmcnt(1)
	v_subrev_co_u32_e32 v4, vcc, s34, v4
	v_subb_co_u32_e32 v5, vcc, v5, v23, vcc
	v_cmp_gt_i64_e32 vcc, v[4:5], v[12:13]
	v_cndmask_b32_e32 v1, v3, v1, vcc
	v_cndmask_b32_e32 v0, v2, v0, vcc
	s_waitcnt vmcnt(0)
	v_subrev_co_u32_e32 v2, vcc, s34, v6
	v_subb_co_u32_e32 v3, vcc, v7, v23, vcc
	v_cmp_ne_u64_e32 vcc, v[2:3], v[0:1]
	s_and_saveexec_b64 s[4:5], vcc
	s_cbranch_execz .LBB43_41
; %bb.47:                               ;   in Loop: Header=BB43_42 Depth=1
	v_lshlrev_b64 v[4:5], 4, v[2:3]
	v_lshlrev_b64 v[2:3], 4, v[12:13]
	v_mov_b32_e32 v7, s25
	v_add_co_u32_e32 v2, vcc, s24, v2
	v_addc_co_u32_e32 v3, vcc, v7, v3, vcc
	global_load_dwordx4 v[26:29], v[2:3], off
	v_lshlrev_b64 v[0:1], 4, v[0:1]
	v_mov_b32_e32 v2, s27
	v_add_co_u32_e32 v0, vcc, s26, v0
	v_addc_co_u32_e32 v1, vcc, v2, v1, vcc
	v_mov_b32_e32 v6, s19
	global_load_dwordx4 v[0:3], v[0:1], off
	v_add_co_u32_e32 v14, vcc, s18, v4
	v_addc_co_u32_e32 v15, vcc, v6, v5, vcc
	global_load_dwordx2 v[6:7], v[14:15], off
	s_mov_b64 s[14:15], 0
	s_waitcnt vmcnt(2)
	v_xor_b32_e32 v4, 0x80000000, v29
	v_cndmask_b32_e64 v29, v29, v4, s[16:17]
	v_mul_f64 v[18:19], v[8:9], v[28:29]
	v_mul_f64 v[16:17], v[28:29], -v[10:11]
	v_fmac_f64_e32 v[18:19], v[10:11], v[26:27]
	v_fmac_f64_e32 v[16:17], v[8:9], v[26:27]
	s_waitcnt vmcnt(1)
	v_mul_f64 v[20:21], v[2:3], -v[18:19]
	v_fmac_f64_e32 v[20:21], v[16:17], v[0:1]
.LBB43_48:                              ;   Parent Loop BB43_42 Depth=1
                                        ; =>  This Inner Loop Header: Depth=2
	s_waitcnt vmcnt(0)
	v_add_f64 v[4:5], v[6:7], v[20:21]
	global_atomic_cmpswap_x2 v[4:5], v[14:15], v[4:7], off glc
	s_waitcnt vmcnt(0)
	v_cmp_eq_u64_e32 vcc, v[4:5], v[6:7]
	s_or_b64 s[14:15], vcc, s[14:15]
	v_pk_mov_b32 v[6:7], v[4:5], v[4:5] op_sel:[0,1]
	s_andn2_b64 exec, exec, s[14:15]
	s_cbranch_execnz .LBB43_48
; %bb.49:                               ;   in Loop: Header=BB43_42 Depth=1
	s_or_b64 exec, exec, s[14:15]
	global_load_dwordx2 v[4:5], v[14:15], off offset:8
	v_mul_f64 v[6:7], v[2:3], v[16:17]
	v_fmac_f64_e32 v[6:7], v[18:19], v[0:1]
	s_mov_b64 s[14:15], 0
.LBB43_50:                              ;   Parent Loop BB43_42 Depth=1
                                        ; =>  This Inner Loop Header: Depth=2
	s_waitcnt vmcnt(0)
	v_add_f64 v[2:3], v[4:5], v[6:7]
	global_atomic_cmpswap_x2 v[0:1], v[14:15], v[2:5], off offset:8 glc
	s_waitcnt vmcnt(0)
	v_cmp_eq_u64_e32 vcc, v[0:1], v[4:5]
	s_or_b64 s[14:15], vcc, s[14:15]
	v_pk_mov_b32 v[4:5], v[0:1], v[0:1] op_sel:[0,1]
	s_andn2_b64 exec, exec, s[14:15]
	s_cbranch_execnz .LBB43_50
	s_branch .LBB43_41
.LBB43_51:
	s_endpgm
	.section	.rodata,"a",@progbits
	.p2align	6, 0x0
	.amdhsa_kernel _ZL33csrmvn_symm_large_adaptive_kernelIll21rocsparse_complex_numIdES1_S1_S1_EvbT_PKS2_N9rocsparse24const_host_device_scalarIT4_EES4_PKT0_PKT1_PKT2_S8_PT3_21rocsparse_index_base_b
		.amdhsa_group_segment_fixed_size 16384
		.amdhsa_private_segment_fixed_size 24
		.amdhsa_kernarg_size 104
		.amdhsa_user_sgpr_count 8
		.amdhsa_user_sgpr_private_segment_buffer 1
		.amdhsa_user_sgpr_dispatch_ptr 0
		.amdhsa_user_sgpr_queue_ptr 0
		.amdhsa_user_sgpr_kernarg_segment_ptr 1
		.amdhsa_user_sgpr_dispatch_id 0
		.amdhsa_user_sgpr_flat_scratch_init 1
		.amdhsa_user_sgpr_kernarg_preload_length 0
		.amdhsa_user_sgpr_kernarg_preload_offset 0
		.amdhsa_user_sgpr_private_segment_size 0
		.amdhsa_uses_dynamic_stack 0
		.amdhsa_system_sgpr_private_segment_wavefront_offset 1
		.amdhsa_system_sgpr_workgroup_id_x 1
		.amdhsa_system_sgpr_workgroup_id_y 0
		.amdhsa_system_sgpr_workgroup_id_z 0
		.amdhsa_system_sgpr_workgroup_info 0
		.amdhsa_system_vgpr_workitem_id 0
		.amdhsa_next_free_vgpr 30
		.amdhsa_next_free_sgpr 54
		.amdhsa_accum_offset 32
		.amdhsa_reserve_vcc 1
		.amdhsa_reserve_flat_scratch 1
		.amdhsa_float_round_mode_32 0
		.amdhsa_float_round_mode_16_64 0
		.amdhsa_float_denorm_mode_32 3
		.amdhsa_float_denorm_mode_16_64 3
		.amdhsa_dx10_clamp 1
		.amdhsa_ieee_mode 1
		.amdhsa_fp16_overflow 0
		.amdhsa_tg_split 0
		.amdhsa_exception_fp_ieee_invalid_op 0
		.amdhsa_exception_fp_denorm_src 0
		.amdhsa_exception_fp_ieee_div_zero 0
		.amdhsa_exception_fp_ieee_overflow 0
		.amdhsa_exception_fp_ieee_underflow 0
		.amdhsa_exception_fp_ieee_inexact 0
		.amdhsa_exception_int_div_zero 0
	.end_amdhsa_kernel
	.section	.text._ZL33csrmvn_symm_large_adaptive_kernelIll21rocsparse_complex_numIdES1_S1_S1_EvbT_PKS2_N9rocsparse24const_host_device_scalarIT4_EES4_PKT0_PKT1_PKT2_S8_PT3_21rocsparse_index_base_b,"axG",@progbits,_ZL33csrmvn_symm_large_adaptive_kernelIll21rocsparse_complex_numIdES1_S1_S1_EvbT_PKS2_N9rocsparse24const_host_device_scalarIT4_EES4_PKT0_PKT1_PKT2_S8_PT3_21rocsparse_index_base_b,comdat
.Lfunc_end43:
	.size	_ZL33csrmvn_symm_large_adaptive_kernelIll21rocsparse_complex_numIdES1_S1_S1_EvbT_PKS2_N9rocsparse24const_host_device_scalarIT4_EES4_PKT0_PKT1_PKT2_S8_PT3_21rocsparse_index_base_b, .Lfunc_end43-_ZL33csrmvn_symm_large_adaptive_kernelIll21rocsparse_complex_numIdES1_S1_S1_EvbT_PKS2_N9rocsparse24const_host_device_scalarIT4_EES4_PKT0_PKT1_PKT2_S8_PT3_21rocsparse_index_base_b
                                        ; -- End function
	.section	.AMDGPU.csdata,"",@progbits
; Kernel info:
; codeLenInByte = 2652
; NumSgprs: 60
; NumVgprs: 30
; NumAgprs: 0
; TotalNumVgprs: 30
; ScratchSize: 24
; MemoryBound: 0
; FloatMode: 240
; IeeeMode: 1
; LDSByteSize: 16384 bytes/workgroup (compile time only)
; SGPRBlocks: 7
; VGPRBlocks: 3
; NumSGPRsForWavesPerEU: 60
; NumVGPRsForWavesPerEU: 30
; AccumOffset: 32
; Occupancy: 4
; WaveLimiterHint : 1
; COMPUTE_PGM_RSRC2:SCRATCH_EN: 1
; COMPUTE_PGM_RSRC2:USER_SGPR: 8
; COMPUTE_PGM_RSRC2:TRAP_HANDLER: 0
; COMPUTE_PGM_RSRC2:TGID_X_EN: 1
; COMPUTE_PGM_RSRC2:TGID_Y_EN: 0
; COMPUTE_PGM_RSRC2:TGID_Z_EN: 0
; COMPUTE_PGM_RSRC2:TIDIG_COMP_CNT: 0
; COMPUTE_PGM_RSRC3_GFX90A:ACCUM_OFFSET: 7
; COMPUTE_PGM_RSRC3_GFX90A:TG_SPLIT: 0
	.section	.text._ZN9rocsparseL22csrmvn_adaptive_kernelIiiaaiiEEvbT_PKS1_PjPKT0_NS_24const_host_device_scalarIT4_EES3_S7_PKT1_PKT2_SA_PT3_21rocsparse_index_base_b,"axG",@progbits,_ZN9rocsparseL22csrmvn_adaptive_kernelIiiaaiiEEvbT_PKS1_PjPKT0_NS_24const_host_device_scalarIT4_EES3_S7_PKT1_PKT2_SA_PT3_21rocsparse_index_base_b,comdat
	.globl	_ZN9rocsparseL22csrmvn_adaptive_kernelIiiaaiiEEvbT_PKS1_PjPKT0_NS_24const_host_device_scalarIT4_EES3_S7_PKT1_PKT2_SA_PT3_21rocsparse_index_base_b ; -- Begin function _ZN9rocsparseL22csrmvn_adaptive_kernelIiiaaiiEEvbT_PKS1_PjPKT0_NS_24const_host_device_scalarIT4_EES3_S7_PKT1_PKT2_SA_PT3_21rocsparse_index_base_b
	.p2align	8
	.type	_ZN9rocsparseL22csrmvn_adaptive_kernelIiiaaiiEEvbT_PKS1_PjPKT0_NS_24const_host_device_scalarIT4_EES3_S7_PKT1_PKT2_SA_PT3_21rocsparse_index_base_b,@function
_ZN9rocsparseL22csrmvn_adaptive_kernelIiiaaiiEEvbT_PKS1_PjPKT0_NS_24const_host_device_scalarIT4_EES3_S7_PKT1_PKT2_SA_PT3_21rocsparse_index_base_b: ; @_ZN9rocsparseL22csrmvn_adaptive_kernelIiiaaiiEEvbT_PKS1_PjPKT0_NS_24const_host_device_scalarIT4_EES3_S7_PKT1_PKT2_SA_PT3_21rocsparse_index_base_b
; %bb.0:
	s_load_dwordx2 s[38:39], s[4:5], 0x58
	s_load_dwordx2 s[8:9], s[4:5], 0x20
	s_mov_b64 s[10:11], -1
                                        ; implicit-def: $sgpr57
	s_waitcnt lgkmcnt(0)
	s_bitcmp1_b32 s39, 0
	s_cselect_b64 s[0:1], -1, 0
	s_xor_b64 s[2:3], s[0:1], -1
	s_and_b64 vcc, exec, s[2:3]
	s_cbranch_vccnz .LBB44_4
; %bb.1:
	s_load_dwordx2 s[0:1], s[4:5], 0x48
	s_andn2_b64 vcc, exec, s[10:11]
	s_cbranch_vccz .LBB44_5
.LBB44_2:
	s_and_b64 vcc, exec, s[2:3]
	s_cbranch_vccz .LBB44_6
.LBB44_3:
	s_waitcnt lgkmcnt(0)
	s_load_dword s33, s[0:1], 0x0
	s_cbranch_execz .LBB44_7
	s_branch .LBB44_8
.LBB44_4:
	s_load_dword s57, s[8:9], 0x0
	s_load_dwordx2 s[0:1], s[4:5], 0x48
	s_cbranch_execnz .LBB44_2
.LBB44_5:
	s_waitcnt lgkmcnt(0)
	s_mov_b32 s57, s8
	s_and_b64 vcc, exec, s[2:3]
	s_cbranch_vccnz .LBB44_3
.LBB44_6:
                                        ; implicit-def: $sgpr33
.LBB44_7:
	s_waitcnt lgkmcnt(0)
	s_mov_b32 s33, s0
.LBB44_8:
	s_waitcnt lgkmcnt(0)
	s_cmp_lg_u32 s57, 0
	s_cselect_b64 s[0:1], -1, 0
	s_cmp_lg_u32 s33, 1
	s_cselect_b64 s[2:3], -1, 0
	s_or_b64 s[0:1], s[0:1], s[2:3]
	s_andn2_b64 vcc, exec, s[0:1]
	s_cbranch_vccnz .LBB44_154
; %bb.9:
	s_load_dwordx2 s[0:1], s[4:5], 0x8
	s_load_dwordx2 s[8:9], s[4:5], 0x18
	s_ashr_i32 s7, s6, 31
	s_lshl_b64 s[42:43], s[6:7], 2
	s_waitcnt lgkmcnt(0)
	s_add_u32 s0, s0, s42
	s_addc_u32 s1, s1, s43
	s_load_dwordx2 s[34:35], s[0:1], 0x0
	s_load_dwordx2 s[22:23], s[4:5], 0x50
	s_load_dwordx8 s[24:31], s[4:5], 0x28
	s_waitcnt lgkmcnt(0)
	s_sub_i32 s2, s35, s34
	s_add_u32 s8, s8, s42
	s_mov_b32 s0, s34
	s_addc_u32 s9, s9, s43
	s_ashr_i32 s1, s34, 31
	s_lshl_b64 s[40:41], s[0:1], 2
	s_add_u32 s36, s24, s40
	s_addc_u32 s37, s25, s41
	s_load_dword s39, s[8:9], 0x0
	s_load_dword s56, s[36:37], 0x0
	s_cmp_lt_i32 s2, 2
	s_mov_b64 s[0:1], -1
	s_cbranch_scc0 .LBB44_87
; %bb.10:
	s_cmp_lg_u32 s2, 1
	s_cselect_b64 s[0:1], -1, 0
	s_waitcnt lgkmcnt(0)
	s_cmp_lg_u32 s39, 0
	s_cselect_b64 s[2:3], -1, 0
	s_or_b64 s[2:3], s[0:1], s[2:3]
	s_mov_b64 s[0:1], -1
	s_and_b64 vcc, exec, s[2:3]
	s_cbranch_vccnz .LBB44_45
; %bb.11:
	s_cmp_le_i32 s35, s34
	s_cbranch_scc1 .LBB44_44
; %bb.12:
	s_cmp_lg_u32 s33, 0
	v_subrev_u32_e32 v1, s38, v0
	s_movk_i32 s0, 0x80
	s_cselect_b64 s[44:45], -1, 0
	s_add_u32 s60, s24, 4
	v_lshlrev_b32_e32 v10, 2, v0
	v_cmp_gt_u32_e64 s[0:1], s0, v0
	v_cmp_gt_u32_e64 s[2:3], 64, v0
	;; [unrolled: 1-line block ×7, first 2 shown]
	v_cmp_eq_u32_e64 s[18:19], 0, v0
	v_xad_u32 v11, v0, -1, s38
	s_movk_i32 s7, 0x100
	v_add_u32_e32 v12, 0x100, v1
	s_mov_b32 s58, s57
	s_mov_b32 s59, s38
	s_addc_u32 s61, s25, 0
	s_movk_i32 s62, 0xff
	v_mov_b32_e32 v13, 0
	s_mov_b32 s20, s56
	s_mov_b32 s46, s34
	s_branch .LBB44_15
.LBB44_13:                              ;   in Loop: Header=BB44_15 Depth=1
	s_add_u32 s48, s22, s48
	s_addc_u32 s49, s23, s49
	s_waitcnt lgkmcnt(0)
	global_store_dword v13, v2, s[48:49]
.LBB44_14:                              ;   in Loop: Header=BB44_15 Depth=1
	s_or_b64 exec, exec, s[20:21]
	s_add_i32 s46, s46, 1
	s_cmp_ge_i32 s46, s35
	s_mov_b32 s20, s47
	s_cbranch_scc1 .LBB44_44
.LBB44_15:                              ; =>This Loop Header: Depth=1
                                        ;     Child Loop BB44_18 Depth 2
                                        ;     Child Loop BB44_22 Depth 2
	s_ashr_i32 s47, s46, 31
	s_lshl_b64 s[48:49], s[46:47], 2
	s_add_u32 s50, s60, s48
	s_addc_u32 s51, s61, s49
	s_load_dword s47, s[50:51], 0x0
	v_add_u32_e32 v2, s20, v1
	v_mov_b32_e32 v4, 0
	s_waitcnt lgkmcnt(0)
	s_sub_i32 s63, s47, s38
	v_cmp_gt_i32_e32 vcc, s63, v2
	s_and_saveexec_b64 s[50:51], vcc
	s_cbranch_execz .LBB44_25
; %bb.16:                               ;   in Loop: Header=BB44_15 Depth=1
	v_add_u32_e32 v3, s20, v12
	v_max_i32_e32 v3, s63, v3
	v_add_u32_e32 v3, v11, v3
	v_subrev_u32_e32 v3, s20, v3
	v_cmp_lt_u32_e32 vcc, s62, v3
	s_mov_b64 s[20:21], -1
	v_mov_b32_e32 v4, 0
	s_and_saveexec_b64 s[52:53], vcc
	s_cbranch_execz .LBB44_20
; %bb.17:                               ;   in Loop: Header=BB44_15 Depth=1
	v_lshrrev_b32_e32 v3, 8, v3
	v_add_u32_e32 v14, 1, v3
	v_and_b32_e32 v15, 0x1fffffe, v14
	v_add_u32_e32 v3, 0x100, v2
	s_mov_b64 s[54:55], 0
	v_mov_b32_e32 v4, 0
	v_mov_b32_e32 v16, v15
	v_pk_mov_b32 v[8:9], v[2:3], v[2:3] op_sel:[0,1]
	v_mov_b32_e32 v6, 0
.LBB44_18:                              ;   Parent Loop BB44_15 Depth=1
                                        ; =>  This Inner Loop Header: Depth=2
	v_ashrrev_i32_e32 v21, 31, v8
	v_mov_b32_e32 v20, v8
	v_lshlrev_b64 v[22:23], 2, v[20:21]
	v_ashrrev_i32_e32 v19, 31, v9
	v_mov_b32_e32 v18, v9
	v_mov_b32_e32 v3, s27
	v_add_co_u32_e32 v22, vcc, s26, v22
	v_lshlrev_b64 v[24:25], 2, v[18:19]
	v_addc_co_u32_e32 v23, vcc, v3, v23, vcc
	v_add_co_u32_e32 v24, vcc, s26, v24
	v_addc_co_u32_e32 v25, vcc, v3, v25, vcc
	global_load_dword v3, v[22:23], off
	global_load_dword v5, v[24:25], off
	v_mov_b32_e32 v7, s29
	v_add_co_u32_e32 v20, vcc, s28, v20
	v_addc_co_u32_e32 v21, vcc, v7, v21, vcc
	v_add_co_u32_e32 v18, vcc, s28, v18
	v_addc_co_u32_e32 v19, vcc, v7, v19, vcc
	v_mov_b32_e32 v17, s31
	global_load_sbyte v7, v[18:19], off
	global_load_sbyte v22, v[20:21], off
	v_add_u32_e32 v16, -2, v16
	v_add_u32_e32 v9, 0x200, v9
	v_add_u32_e32 v8, 0x200, v8
	s_waitcnt vmcnt(3)
	v_subrev_u32_e32 v3, s38, v3
	s_waitcnt vmcnt(2)
	v_subrev_u32_e32 v5, s59, v5
	v_ashrrev_i32_e32 v19, 31, v5
	v_add_co_u32_e32 v18, vcc, s30, v5
	v_ashrrev_i32_e32 v21, 31, v3
	v_add_co_u32_e64 v20, s[20:21], s30, v3
	v_addc_co_u32_e32 v19, vcc, v17, v19, vcc
	v_addc_co_u32_e64 v21, s[20:21], v17, v21, s[20:21]
	global_load_sbyte v3, v[18:19], off
	global_load_sbyte v5, v[20:21], off
	v_cmp_eq_u32_e32 vcc, 0, v16
	s_waitcnt vmcnt(2)
	v_mul_lo_u32 v17, s57, v22
	v_mul_lo_u32 v7, s58, v7
	s_or_b64 s[54:55], vcc, s[54:55]
	s_waitcnt vmcnt(1)
	v_mad_u64_u32 v[6:7], s[20:21], v7, v3, v[6:7]
	s_waitcnt vmcnt(0)
	v_mad_u64_u32 v[4:5], s[20:21], v17, v5, v[4:5]
	s_andn2_b64 exec, exec, s[54:55]
	s_cbranch_execnz .LBB44_18
; %bb.19:                               ;   in Loop: Header=BB44_15 Depth=1
	s_or_b64 exec, exec, s[54:55]
	v_mov_b32_e32 v3, v6
	v_cmp_ne_u32_e32 vcc, v14, v15
	v_lshl_add_u32 v2, v15, 8, v2
	v_add_u32_e32 v4, v4, v3
	s_orn2_b64 s[20:21], vcc, exec
.LBB44_20:                              ;   in Loop: Header=BB44_15 Depth=1
	s_or_b64 exec, exec, s[52:53]
	s_and_saveexec_b64 s[52:53], s[20:21]
	s_cbranch_execz .LBB44_24
; %bb.21:                               ;   in Loop: Header=BB44_15 Depth=1
	v_ashrrev_i32_e32 v3, 31, v2
	v_lshlrev_b64 v[6:7], 2, v[2:3]
	v_mov_b32_e32 v5, s27
	v_add_co_u32_e32 v6, vcc, s26, v6
	v_addc_co_u32_e32 v7, vcc, v5, v7, vcc
	s_mov_b64 s[54:55], 0
.LBB44_22:                              ;   Parent Loop BB44_15 Depth=1
                                        ; =>  This Inner Loop Header: Depth=2
	global_load_dword v5, v[6:7], off
	v_mov_b32_e32 v9, s29
	v_add_co_u32_e32 v8, vcc, s28, v2
	v_addc_co_u32_e32 v9, vcc, v9, v3, vcc
	v_mov_b32_e32 v14, s31
	global_load_sbyte v15, v[8:9], off
	s_waitcnt vmcnt(1)
	v_subrev_u32_e32 v5, s38, v5
	v_ashrrev_i32_e32 v9, 31, v5
	v_add_co_u32_e32 v8, vcc, s30, v5
	v_addc_co_u32_e32 v9, vcc, v14, v9, vcc
	global_load_sbyte v5, v[8:9], off
	v_add_co_u32_e32 v2, vcc, s7, v2
	v_addc_co_u32_e32 v3, vcc, 0, v3, vcc
	v_add_co_u32_e32 v6, vcc, 0x400, v6
	v_cmp_le_i32_e64 s[20:21], s63, v2
	s_waitcnt vmcnt(1)
	v_mul_lo_u32 v8, s57, v15
	v_addc_co_u32_e32 v7, vcc, 0, v7, vcc
	s_or_b64 s[54:55], s[20:21], s[54:55]
	s_waitcnt vmcnt(0)
	v_mad_u64_u32 v[4:5], s[20:21], v8, v5, v[4:5]
	s_andn2_b64 exec, exec, s[54:55]
	s_cbranch_execnz .LBB44_22
; %bb.23:                               ;   in Loop: Header=BB44_15 Depth=1
	s_or_b64 exec, exec, s[54:55]
.LBB44_24:                              ;   in Loop: Header=BB44_15 Depth=1
	s_or_b64 exec, exec, s[52:53]
.LBB44_25:                              ;   in Loop: Header=BB44_15 Depth=1
	s_or_b64 exec, exec, s[50:51]
	ds_write_b32 v10, v4
	s_waitcnt lgkmcnt(0)
	s_barrier
	s_and_saveexec_b64 s[20:21], s[0:1]
	s_cbranch_execz .LBB44_27
; %bb.26:                               ;   in Loop: Header=BB44_15 Depth=1
	ds_read2st64_b32 v[2:3], v10 offset1:2
	s_waitcnt lgkmcnt(0)
	v_add_u32_e32 v2, v3, v2
	ds_write_b32 v10, v2
.LBB44_27:                              ;   in Loop: Header=BB44_15 Depth=1
	s_or_b64 exec, exec, s[20:21]
	s_waitcnt lgkmcnt(0)
	s_barrier
	s_and_saveexec_b64 s[20:21], s[2:3]
	s_cbranch_execz .LBB44_29
; %bb.28:                               ;   in Loop: Header=BB44_15 Depth=1
	ds_read2st64_b32 v[2:3], v10 offset1:1
	s_waitcnt lgkmcnt(0)
	v_add_u32_e32 v2, v3, v2
	ds_write_b32 v10, v2
.LBB44_29:                              ;   in Loop: Header=BB44_15 Depth=1
	s_or_b64 exec, exec, s[20:21]
	s_waitcnt lgkmcnt(0)
	s_barrier
	s_and_saveexec_b64 s[20:21], s[8:9]
	s_cbranch_execz .LBB44_31
; %bb.30:                               ;   in Loop: Header=BB44_15 Depth=1
	ds_read2_b32 v[2:3], v10 offset1:32
	s_waitcnt lgkmcnt(0)
	v_add_u32_e32 v2, v3, v2
	ds_write_b32 v10, v2
.LBB44_31:                              ;   in Loop: Header=BB44_15 Depth=1
	s_or_b64 exec, exec, s[20:21]
	s_waitcnt lgkmcnt(0)
	s_barrier
	s_and_saveexec_b64 s[20:21], s[10:11]
	s_cbranch_execz .LBB44_33
; %bb.32:                               ;   in Loop: Header=BB44_15 Depth=1
	ds_read2_b32 v[2:3], v10 offset1:16
	s_waitcnt lgkmcnt(0)
	v_add_u32_e32 v2, v3, v2
	ds_write_b32 v10, v2
.LBB44_33:                              ;   in Loop: Header=BB44_15 Depth=1
	;; [unrolled: 11-line block ×5, first 2 shown]
	s_or_b64 exec, exec, s[20:21]
	s_waitcnt lgkmcnt(0)
	s_barrier
	s_and_saveexec_b64 s[20:21], s[18:19]
	s_cbranch_execz .LBB44_41
; %bb.40:                               ;   in Loop: Header=BB44_15 Depth=1
	ds_read_b64 v[2:3], v13
	s_waitcnt lgkmcnt(0)
	v_add_u32_e32 v2, v3, v2
	ds_write_b32 v13, v2
.LBB44_41:                              ;   in Loop: Header=BB44_15 Depth=1
	s_or_b64 exec, exec, s[20:21]
	s_waitcnt lgkmcnt(0)
	s_barrier
	s_and_saveexec_b64 s[20:21], s[18:19]
	s_cbranch_execz .LBB44_14
; %bb.42:                               ;   in Loop: Header=BB44_15 Depth=1
	ds_read_b32 v2, v13
	s_andn2_b64 vcc, exec, s[44:45]
	s_cbranch_vccnz .LBB44_13
; %bb.43:                               ;   in Loop: Header=BB44_15 Depth=1
	s_add_u32 s50, s22, s48
	s_addc_u32 s51, s23, s49
	global_load_dword v3, v13, s[50:51]
	s_waitcnt vmcnt(0)
	v_mul_lo_u32 v3, v3, s33
	s_waitcnt lgkmcnt(0)
	v_add_u32_e32 v2, v3, v2
	s_branch .LBB44_13
.LBB44_44:
	s_mov_b64 s[0:1], 0
.LBB44_45:
	s_andn2_b64 vcc, exec, s[0:1]
	s_cbranch_vccnz .LBB44_86
; %bb.46:
	s_load_dwordx2 s[8:9], s[4:5], 0x10
	s_sub_i32 s6, s6, s39
	v_or_b32_e32 v1, s39, v0
	v_cmp_eq_u32_e32 vcc, 0, v1
	v_mov_b32_e32 v2, 0
	s_waitcnt lgkmcnt(0)
	s_add_u32 s2, s8, s42
	s_addc_u32 s3, s9, s43
	s_load_dword s16, s[2:3], 0x0
	s_and_saveexec_b64 s[0:1], vcc
	s_cbranch_execz .LBB44_50
; %bb.47:
	s_add_u32 s12, s22, s40
	s_addc_u32 s13, s23, s41
	s_load_dword s14, s[12:13], 0x0
	s_mov_b64 s[10:11], exec
	v_mbcnt_lo_u32_b32 v1, s10, 0
	s_add_i32 s7, s33, -1
	v_mbcnt_hi_u32_b32 v1, s11, v1
	s_waitcnt lgkmcnt(0)
	s_mul_i32 s14, s14, s7
	v_cmp_eq_u32_e32 vcc, 0, v1
	s_waitcnt vmcnt(0) expcnt(0) lgkmcnt(0)
	s_and_saveexec_b64 s[12:13], vcc
	s_cbranch_execz .LBB44_49
; %bb.48:
	s_ashr_i32 s7, s6, 31
	s_lshl_b64 s[18:19], s[6:7], 2
	s_add_u32 s18, s8, s18
	s_addc_u32 s19, s9, s19
	s_bcnt1_i32_b64 s7, s[10:11]
	s_and_b32 s7, s7, 1
	v_mov_b32_e32 v1, 0
	v_mov_b32_e32 v2, s7
	global_atomic_xor v1, v2, s[18:19]
.LBB44_49:
	s_or_b64 exec, exec, s[12:13]
	v_mov_b32_e32 v2, s14
.LBB44_50:
	s_or_b64 exec, exec, s[0:1]
	s_load_dword s7, s[36:37], 0x4
	s_mul_i32 s0, s39, 0xc00
	s_sub_i32 s1, s56, s38
	s_add_i32 s1, s1, s0
	v_add_u32_e32 v4, s1, v0
	s_waitcnt lgkmcnt(0)
	s_sub_i32 s7, s7, s38
	v_cmp_gt_i32_e32 vcc, s7, v4
	s_and_saveexec_b64 s[10:11], vcc
	s_cbranch_execz .LBB44_60
; %bb.51:
	s_add_i32 s0, s56, s0
	v_add_u32_e32 v1, s0, v0
	s_addk_i32 s1, 0xc00
	v_subrev_u32_e32 v1, s38, v1
	s_min_i32 s7, s1, s7
	v_add_u32_e32 v1, 0x100, v1
	v_max_i32_e32 v1, s7, v1
	v_not_b32_e32 v3, v0
	v_add3_u32 v1, v1, s38, v3
	v_subrev_u32_e32 v1, s0, v1
	s_movk_i32 s0, 0xff
	v_cmp_lt_u32_e32 vcc, s0, v1
	s_mov_b64 s[0:1], -1
	s_and_saveexec_b64 s[12:13], vcc
	s_cbranch_execz .LBB44_55
; %bb.52:
	v_lshrrev_b32_e32 v1, 8, v1
	v_add_u32_e32 v1, 1, v1
	v_and_b32_e32 v10, 0x1fffffe, v1
	v_add_u32_e32 v5, 0x100, v4
	s_mov_b32 s17, s57
	s_mov_b32 s18, s38
	s_mov_b64 s[14:15], 0
	v_mov_b32_e32 v6, 0
	v_mov_b32_e32 v11, s29
	v_mov_b32_e32 v12, s27
	v_mov_b32_e32 v13, s31
	v_mov_b32_e32 v14, v10
	v_pk_mov_b32 v[8:9], v[4:5], v[4:5] op_sel:[0,1]
.LBB44_53:                              ; =>This Inner Loop Header: Depth=1
	v_ashrrev_i32_e32 v19, 31, v8
	v_mov_b32_e32 v18, v8
	v_lshlrev_b64 v[20:21], 2, v[18:19]
	v_ashrrev_i32_e32 v17, 31, v9
	v_mov_b32_e32 v16, v9
	v_add_co_u32_e32 v20, vcc, s26, v20
	v_lshlrev_b64 v[22:23], 2, v[16:17]
	v_addc_co_u32_e32 v21, vcc, v12, v21, vcc
	v_add_co_u32_e32 v22, vcc, s26, v22
	v_addc_co_u32_e32 v23, vcc, v12, v23, vcc
	global_load_dword v3, v[20:21], off
	global_load_dword v5, v[22:23], off
	v_add_co_u32_e32 v18, vcc, s28, v18
	v_addc_co_u32_e32 v19, vcc, v11, v19, vcc
	v_add_co_u32_e32 v16, vcc, s28, v16
	v_addc_co_u32_e32 v17, vcc, v11, v17, vcc
	global_load_sbyte v7, v[16:17], off
	global_load_sbyte v15, v[18:19], off
	v_add_u32_e32 v14, -2, v14
	v_add_u32_e32 v9, 0x200, v9
	v_add_u32_e32 v8, 0x200, v8
	s_waitcnt vmcnt(3)
	v_subrev_u32_e32 v3, s38, v3
	s_waitcnt vmcnt(2)
	v_subrev_u32_e32 v5, s18, v5
	v_ashrrev_i32_e32 v17, 31, v5
	v_add_co_u32_e32 v16, vcc, s30, v5
	v_ashrrev_i32_e32 v19, 31, v3
	v_add_co_u32_e64 v18, s[0:1], s30, v3
	v_addc_co_u32_e32 v17, vcc, v13, v17, vcc
	v_addc_co_u32_e64 v19, s[0:1], v13, v19, s[0:1]
	global_load_sbyte v3, v[16:17], off
	global_load_sbyte v5, v[18:19], off
	v_cmp_eq_u32_e32 vcc, 0, v14
	s_waitcnt vmcnt(2)
	v_mul_lo_u32 v15, s57, v15
	v_mul_lo_u32 v7, s17, v7
	s_or_b64 s[14:15], vcc, s[14:15]
	s_waitcnt vmcnt(1)
	v_mad_u64_u32 v[6:7], s[0:1], v7, v3, v[6:7]
	s_waitcnt vmcnt(0)
	v_mad_u64_u32 v[2:3], s[0:1], v15, v5, v[2:3]
	s_andn2_b64 exec, exec, s[14:15]
	s_cbranch_execnz .LBB44_53
; %bb.54:
	s_or_b64 exec, exec, s[14:15]
	v_mov_b32_e32 v3, v6
	v_cmp_ne_u32_e32 vcc, v1, v10
	v_lshl_add_u32 v4, v10, 8, v4
	v_add_u32_e32 v2, v2, v3
	s_orn2_b64 s[0:1], vcc, exec
.LBB44_55:
	s_or_b64 exec, exec, s[12:13]
	s_and_saveexec_b64 s[12:13], s[0:1]
	s_cbranch_execz .LBB44_59
; %bb.56:
	v_ashrrev_i32_e32 v5, 31, v4
	v_lshlrev_b64 v[6:7], 2, v[4:5]
	v_mov_b32_e32 v1, s27
	v_add_co_u32_e32 v6, vcc, s26, v6
	v_addc_co_u32_e32 v7, vcc, v1, v7, vcc
	s_mov_b64 s[14:15], 0
	v_mov_b32_e32 v1, s29
	v_mov_b32_e32 v8, s31
.LBB44_57:                              ; =>This Inner Loop Header: Depth=1
	global_load_dword v3, v[6:7], off
	v_add_co_u32_e32 v10, vcc, s28, v4
	v_addc_co_u32_e32 v11, vcc, v1, v5, vcc
	global_load_sbyte v9, v[10:11], off
	s_waitcnt vmcnt(1)
	v_subrev_u32_e32 v3, s38, v3
	v_ashrrev_i32_e32 v11, 31, v3
	v_add_co_u32_e32 v10, vcc, s30, v3
	v_addc_co_u32_e32 v11, vcc, v8, v11, vcc
	global_load_sbyte v3, v[10:11], off
	v_add_co_u32_e32 v4, vcc, 0x100, v4
	v_addc_co_u32_e32 v5, vcc, 0, v5, vcc
	v_add_co_u32_e32 v6, vcc, 0x400, v6
	v_cmp_le_i32_e64 s[0:1], s7, v4
	s_waitcnt vmcnt(1)
	v_mul_lo_u32 v9, s57, v9
	v_addc_co_u32_e32 v7, vcc, 0, v7, vcc
	s_or_b64 s[14:15], s[0:1], s[14:15]
	s_waitcnt vmcnt(0)
	v_mad_u64_u32 v[2:3], s[0:1], v9, v3, v[2:3]
	s_andn2_b64 exec, exec, s[14:15]
	s_cbranch_execnz .LBB44_57
; %bb.58:
	s_or_b64 exec, exec, s[14:15]
.LBB44_59:
	s_or_b64 exec, exec, s[12:13]
.LBB44_60:
	s_or_b64 exec, exec, s[10:11]
	s_movk_i32 s0, 0x80
	v_lshlrev_b32_e32 v1, 2, v0
	v_cmp_gt_u32_e32 vcc, s0, v0
	ds_write_b32 v1, v2
	s_waitcnt lgkmcnt(0)
	s_barrier
	s_and_saveexec_b64 s[0:1], vcc
	s_cbranch_execz .LBB44_62
; %bb.61:
	ds_read2st64_b32 v[2:3], v1 offset1:2
	s_waitcnt lgkmcnt(0)
	v_add_u32_e32 v2, v3, v2
	ds_write_b32 v1, v2
.LBB44_62:
	s_or_b64 exec, exec, s[0:1]
	v_cmp_gt_u32_e32 vcc, 64, v0
	s_waitcnt lgkmcnt(0)
	s_barrier
	s_and_saveexec_b64 s[0:1], vcc
	s_cbranch_execz .LBB44_64
; %bb.63:
	ds_read2st64_b32 v[2:3], v1 offset1:1
	s_waitcnt lgkmcnt(0)
	v_add_u32_e32 v2, v3, v2
	ds_write_b32 v1, v2
.LBB44_64:
	s_or_b64 exec, exec, s[0:1]
	v_cmp_gt_u32_e32 vcc, 32, v0
	s_waitcnt lgkmcnt(0)
	s_barrier
	s_and_saveexec_b64 s[0:1], vcc
	s_cbranch_execz .LBB44_66
; %bb.65:
	ds_read2_b32 v[2:3], v1 offset1:32
	s_waitcnt lgkmcnt(0)
	v_add_u32_e32 v2, v3, v2
	ds_write_b32 v1, v2
.LBB44_66:
	s_or_b64 exec, exec, s[0:1]
	v_cmp_gt_u32_e32 vcc, 16, v0
	s_waitcnt lgkmcnt(0)
	s_barrier
	s_and_saveexec_b64 s[0:1], vcc
	s_cbranch_execz .LBB44_68
; %bb.67:
	ds_read2_b32 v[2:3], v1 offset1:16
	s_waitcnt lgkmcnt(0)
	v_add_u32_e32 v2, v3, v2
	ds_write_b32 v1, v2
.LBB44_68:
	;; [unrolled: 12-line block ×5, first 2 shown]
	s_or_b64 exec, exec, s[0:1]
	v_cmp_eq_u32_e32 vcc, 0, v0
	s_waitcnt lgkmcnt(0)
	s_barrier
	s_and_saveexec_b64 s[0:1], vcc
	s_cbranch_execz .LBB44_76
; %bb.75:
	v_mov_b32_e32 v1, 0
	ds_read_b64 v[2:3], v1
	s_waitcnt lgkmcnt(0)
	v_add_u32_e32 v2, v3, v2
	ds_write_b32 v1, v2
.LBB44_76:
	s_or_b64 exec, exec, s[0:1]
	s_waitcnt lgkmcnt(0)
	s_barrier
	s_and_saveexec_b64 s[0:1], vcc
	s_cbranch_execz .LBB44_85
; %bb.77:
	s_cmp_eq_u32 s39, 0
	s_cbranch_scc1 .LBB44_83
; %bb.78:
	s_ashr_i32 s7, s6, 31
	s_lshl_b64 s[6:7], s[6:7], 2
	s_add_u32 s6, s8, s6
	s_addc_u32 s7, s9, s7
	v_mov_b32_e32 v1, 0
	s_branch .LBB44_80
.LBB44_79:                              ;   in Loop: Header=BB44_80 Depth=1
	s_or_b64 exec, exec, s[8:9]
	s_waitcnt vmcnt(0)
	v_readfirstlane_b32 s8, v2
	s_cmp_eq_u32 s8, s16
	s_cbranch_scc0 .LBB44_82
.LBB44_80:                              ; =>This Inner Loop Header: Depth=1
	v_mbcnt_lo_u32_b32 v2, exec_lo, 0
	v_mbcnt_hi_u32_b32 v2, exec_hi, v2
	v_cmp_eq_u32_e32 vcc, 0, v2
                                        ; implicit-def: $vgpr2
	s_and_saveexec_b64 s[8:9], vcc
	s_cbranch_execz .LBB44_79
; %bb.81:                               ;   in Loop: Header=BB44_80 Depth=1
	global_load_dword v2, v1, s[6:7] glc
	s_branch .LBB44_79
.LBB44_82:
	v_mov_b32_e32 v1, 0
	global_load_dword v2, v1, s[2:3]
	s_waitcnt vmcnt(0)
	v_xor_b32_e32 v2, 1, v2
	global_store_dword v1, v2, s[2:3]
.LBB44_83:
	s_mov_b64 s[2:3], exec
	v_mbcnt_lo_u32_b32 v1, s2, 0
	v_mbcnt_hi_u32_b32 v1, s3, v1
	v_cmp_eq_u32_e32 vcc, 0, v1
	s_and_b64 s[6:7], exec, vcc
	s_mov_b64 exec, s[6:7]
	s_cbranch_execz .LBB44_85
; %bb.84:
	v_mov_b32_e32 v1, 0
	ds_read_b32 v2, v1
	s_add_u32 s6, s22, s40
	s_addc_u32 s7, s23, s41
	s_bcnt1_i32_b64 s2, s[2:3]
	s_waitcnt lgkmcnt(0)
	v_mul_lo_u32 v2, v2, s2
	global_atomic_add v1, v2, s[6:7]
.LBB44_85:
	s_or_b64 exec, exec, s[0:1]
.LBB44_86:
	s_mov_b64 s[0:1], 0
.LBB44_87:
	s_andn2_b64 vcc, exec, s[0:1]
	s_cbranch_vccnz .LBB44_154
; %bb.88:
	s_load_dword s0, s[4:5], 0x4
	v_subrev_u32_e32 v1, s38, v0
	s_waitcnt lgkmcnt(0)
	v_add_u32_e32 v2, s56, v1
	v_add_u32_e32 v1, 0x300, v2
	v_cmp_le_i32_e32 vcc, s0, v1
	s_and_saveexec_b64 s[0:1], vcc
	s_xor_b64 s[2:3], exec, s[0:1]
	s_cbranch_execz .LBB44_104
; %bb.89:
	s_ashr_i32 s1, s35, 31
	s_mov_b32 s0, s35
	s_lshl_b64 s[0:1], s[0:1], 2
	s_add_u32 s0, s24, s0
	s_addc_u32 s1, s25, s1
	s_load_dword s0, s[0:1], 0x0
	s_waitcnt lgkmcnt(0)
	s_sub_i32 s16, s0, s38
	v_cmp_gt_i32_e32 vcc, s16, v2
	s_and_saveexec_b64 s[4:5], vcc
	s_cbranch_execz .LBB44_103
; %bb.90:
	v_add_u32_e32 v1, s56, v0
	v_subrev_u32_e32 v1, s38, v1
	v_add_u32_e32 v1, 0x100, v1
	v_max_i32_e32 v1, s16, v1
	v_not_b32_e32 v3, v0
	v_add3_u32 v1, v1, s38, v3
	v_subrev_u32_e32 v3, s56, v1
	s_movk_i32 s0, 0xd00
	v_cmp_gt_u32_e64 s[6:7], s0, v3
	s_movk_i32 s0, 0xcff
	v_cmp_lt_u32_e32 vcc, s0, v3
	v_mov_b32_e32 v1, 0
	s_and_saveexec_b64 s[8:9], vcc
	s_cbranch_execz .LBB44_100
; %bb.91:
	v_and_b32_e32 v1, 0xffffff00, v3
	v_add_u32_e32 v1, v2, v1
	v_cmp_ge_i32_e32 vcc, v1, v2
	s_mov_b64 s[0:1], -1
	v_mov_b32_e32 v1, 0
	s_and_saveexec_b64 s[10:11], vcc
	s_cbranch_execz .LBB44_99
; %bb.92:
	v_lshrrev_b32_e32 v1, 8, v3
	v_add_u32_e32 v3, -1, v1
	s_mov_b32 s17, s38
	v_cmp_lt_u32_e32 vcc, 1, v3
	v_mov_b32_e32 v8, 0x100
	v_mov_b32_e32 v9, 0
	s_and_saveexec_b64 s[12:13], vcc
	s_cbranch_execz .LBB44_96
; %bb.93:
	v_lshrrev_b32_e32 v4, 1, v3
	v_add_u32_e32 v4, 1, v4
	v_and_b32_e32 v4, -2, v4
	s_movk_i32 s18, 0x100
	s_mov_b32 s19, 0
	s_mov_b64 s[14:15], 0
	v_mov_b32_e32 v5, s29
	v_mov_b32_e32 v6, s27
	;; [unrolled: 1-line block ×3, first 2 shown]
.LBB44_94:                              ; =>This Inner Loop Header: Depth=1
	v_add_u32_e32 v8, s19, v2
	v_ashrrev_i32_e32 v9, 31, v8
	v_add_u32_e32 v10, s18, v2
	v_lshlrev_b64 v[16:17], 2, v[8:9]
	s_add_i32 s21, s19, 0x200
	v_ashrrev_i32_e32 v11, 31, v10
	v_add_co_u32_e32 v16, vcc, s26, v16
	v_add_u32_e32 v12, s21, v2
	v_lshlrev_b64 v[18:19], 2, v[10:11]
	v_addc_co_u32_e32 v17, vcc, v6, v17, vcc
	s_add_i32 s20, s18, 0x200
	v_ashrrev_i32_e32 v13, 31, v12
	v_add_co_u32_e32 v18, vcc, s26, v18
	v_add_u32_e32 v14, s20, v2
	v_addc_co_u32_e32 v19, vcc, v6, v19, vcc
	v_lshlrev_b64 v[20:21], 2, v[12:13]
	v_ashrrev_i32_e32 v15, 31, v14
	global_load_dword v24, v[16:17], off
	global_load_dword v25, v[18:19], off
	v_add_co_u32_e32 v16, vcc, s26, v20
	v_lshlrev_b64 v[22:23], 2, v[14:15]
	v_addc_co_u32_e32 v17, vcc, v6, v21, vcc
	v_add_co_u32_e32 v18, vcc, s26, v22
	v_addc_co_u32_e32 v19, vcc, v6, v23, vcc
	global_load_dword v20, v[16:17], off
	global_load_dword v21, v[18:19], off
	v_add_co_u32_e32 v10, vcc, s28, v10
	v_add_co_u32_e64 v8, s[0:1], s28, v8
	v_addc_co_u32_e64 v9, s[0:1], v5, v9, s[0:1]
	v_addc_co_u32_e32 v11, vcc, v5, v11, vcc
	v_add_co_u32_e32 v12, vcc, s28, v12
	v_add_co_u32_e64 v14, s[0:1], s28, v14
	global_load_sbyte v16, v[10:11], off
	global_load_sbyte v17, v[8:9], off
	v_addc_co_u32_e32 v13, vcc, v5, v13, vcc
	v_addc_co_u32_e64 v15, vcc, v5, v15, s[0:1]
	global_load_sbyte v18, v[14:15], off
	global_load_sbyte v19, v[12:13], off
	v_add_u32_e32 v4, -2, v4
	s_waitcnt vmcnt(7)
	v_subrev_u32_e32 v9, s38, v24
	s_waitcnt vmcnt(6)
	v_subrev_u32_e32 v8, s17, v25
	v_ashrrev_i32_e32 v12, 31, v8
	v_ashrrev_i32_e32 v11, 31, v9
	v_add_co_u32_e32 v8, vcc, s30, v8
	v_add_co_u32_e64 v10, s[0:1], s30, v9
	v_addc_co_u32_e64 v11, s[0:1], v7, v11, s[0:1]
	s_waitcnt vmcnt(5)
	v_subrev_u32_e32 v13, s38, v20
	s_waitcnt vmcnt(4)
	v_subrev_u32_e32 v14, s17, v21
	v_addc_co_u32_e32 v9, vcc, v7, v12, vcc
	v_ashrrev_i32_e32 v15, 31, v14
	v_ashrrev_i32_e32 v20, 31, v13
	v_add_co_u32_e32 v12, vcc, s30, v13
	v_add_co_u32_e64 v14, s[0:1], s30, v14
	v_addc_co_u32_e32 v13, vcc, v7, v20, vcc
	v_addc_co_u32_e64 v15, vcc, v7, v15, s[0:1]
	global_load_sbyte v21, v[10:11], off
	global_load_sbyte v22, v[8:9], off
	s_nop 0
	global_load_sbyte v10, v[14:15], off
	global_load_sbyte v11, v[12:13], off
	v_add_lshl_u32 v12, s19, v0, 2
	v_add_lshl_u32 v13, s18, v0, 2
	s_addk_i32 s19, 0x400
	s_addk_i32 s18, 0x400
	v_cmp_eq_u32_e32 vcc, 0, v4
	s_waitcnt vmcnt(6)
	v_mul_lo_u32 v17, s57, v17
	s_waitcnt vmcnt(4)
	v_mul_lo_u32 v19, s57, v19
	v_add_lshl_u32 v14, s21, v0, 2
	v_mov_b32_e32 v9, s19
	v_mov_b32_e32 v8, s18
	s_or_b64 s[14:15], vcc, s[14:15]
	v_mul_lo_u32 v16, s57, v16
	v_mul_lo_u32 v18, s57, v18
	v_add_lshl_u32 v15, s20, v0, 2
	s_waitcnt vmcnt(3)
	v_mul_lo_u32 v17, v17, v21
	s_waitcnt vmcnt(2)
	v_mul_lo_u32 v16, v16, v22
	;; [unrolled: 2-line block ×3, first 2 shown]
	ds_write_b32 v12, v17
	ds_write_b32 v13, v16
	v_mul_lo_u32 v10, v18, v10
	ds_write_b32 v14, v11
	ds_write_b32 v15, v10
	s_andn2_b64 exec, exec, s[14:15]
	s_cbranch_execnz .LBB44_94
; %bb.95:
	s_or_b64 exec, exec, s[14:15]
.LBB44_96:
	s_or_b64 exec, exec, s[12:13]
	v_and_b32_e32 v3, 2, v3
	v_cmp_eq_u32_e32 vcc, 0, v3
	s_and_saveexec_b64 s[0:1], vcc
	s_cbranch_execz .LBB44_98
; %bb.97:
	v_add_u32_e32 v4, v9, v2
	v_ashrrev_i32_e32 v5, 31, v4
	v_add_u32_e32 v2, v8, v2
	v_lshlrev_b64 v[6:7], 2, v[4:5]
	v_ashrrev_i32_e32 v3, 31, v2
	v_mov_b32_e32 v12, s27
	v_add_co_u32_e32 v6, vcc, s26, v6
	v_addc_co_u32_e32 v7, vcc, v12, v7, vcc
	v_lshlrev_b64 v[10:11], 2, v[2:3]
	v_add_co_u32_e32 v10, vcc, s26, v10
	v_addc_co_u32_e32 v11, vcc, v12, v11, vcc
	global_load_dword v12, v[6:7], off
	global_load_dword v13, v[10:11], off
	v_mov_b32_e32 v6, s29
	v_add_co_u32_e32 v4, vcc, s28, v4
	v_addc_co_u32_e32 v5, vcc, v6, v5, vcc
	v_add_co_u32_e32 v2, vcc, s28, v2
	v_addc_co_u32_e32 v3, vcc, v6, v3, vcc
	global_load_sbyte v6, v[2:3], off
	global_load_sbyte v10, v[4:5], off
	v_mov_b32_e32 v7, s31
	s_waitcnt vmcnt(3)
	v_subrev_u32_e32 v2, s38, v12
	v_ashrrev_i32_e32 v3, 31, v2
	v_add_co_u32_e32 v2, vcc, s30, v2
	s_waitcnt vmcnt(2)
	v_subrev_u32_e32 v4, s17, v13
	v_addc_co_u32_e32 v3, vcc, v7, v3, vcc
	v_ashrrev_i32_e32 v5, 31, v4
	v_add_co_u32_e32 v4, vcc, s30, v4
	v_addc_co_u32_e32 v5, vcc, v7, v5, vcc
	global_load_sbyte v7, v[4:5], off
	global_load_sbyte v11, v[2:3], off
	s_waitcnt vmcnt(2)
	v_mul_lo_u32 v4, s57, v10
	v_add_lshl_u32 v2, v9, v0, 2
	v_mul_lo_u32 v5, s57, v6
	v_add_lshl_u32 v3, v8, v0, 2
	s_waitcnt vmcnt(1)
	v_mul_lo_u32 v5, v5, v7
	s_waitcnt vmcnt(0)
	v_mul_lo_u32 v4, v4, v11
	ds_write_b32 v2, v4
	ds_write_b32 v3, v5
.LBB44_98:
	s_or_b64 exec, exec, s[0:1]
	v_add_u32_e32 v2, 1, v1
	v_and_b32_e32 v3, 0x1fffffe, v2
	v_cmp_ne_u32_e32 vcc, v2, v3
	v_lshlrev_b32_e32 v1, 8, v3
	s_orn2_b64 s[0:1], vcc, exec
.LBB44_99:
	s_or_b64 exec, exec, s[10:11]
	s_andn2_b64 s[6:7], s[6:7], exec
	s_and_b64 s[0:1], s[0:1], exec
	s_or_b64 s[6:7], s[6:7], s[0:1]
.LBB44_100:
	s_or_b64 exec, exec, s[8:9]
	s_and_b64 exec, exec, s[6:7]
	s_cbranch_execz .LBB44_103
; %bb.101:
	v_add_u32_e32 v1, v0, v1
	v_add_u32_e32 v2, s56, v1
	v_subrev_u32_e32 v2, s38, v2
	v_lshlrev_b32_e32 v1, 2, v1
	s_mov_b64 s[0:1], 0
	v_mov_b32_e32 v4, s29
	v_mov_b32_e32 v5, s27
	;; [unrolled: 1-line block ×3, first 2 shown]
.LBB44_102:                             ; =>This Inner Loop Header: Depth=1
	v_ashrrev_i32_e32 v3, 31, v2
	v_lshlrev_b64 v[8:9], 2, v[2:3]
	v_add_co_u32_e32 v8, vcc, s26, v8
	v_addc_co_u32_e32 v9, vcc, v5, v9, vcc
	global_load_dword v7, v[8:9], off
	v_add_co_u32_e32 v8, vcc, s28, v2
	v_addc_co_u32_e32 v9, vcc, v4, v3, vcc
	global_load_sbyte v3, v[8:9], off
	v_add_u32_e32 v2, 0x100, v2
	s_waitcnt vmcnt(1)
	v_subrev_u32_e32 v7, s38, v7
	v_ashrrev_i32_e32 v9, 31, v7
	v_add_co_u32_e32 v8, vcc, s30, v7
	v_addc_co_u32_e32 v9, vcc, v6, v9, vcc
	global_load_sbyte v7, v[8:9], off
	s_waitcnt vmcnt(1)
	v_mul_lo_u32 v3, s57, v3
	v_cmp_le_i32_e32 vcc, s16, v2
	s_or_b64 s[0:1], vcc, s[0:1]
	s_waitcnt vmcnt(0)
	v_mul_lo_u32 v3, v3, v7
	ds_write_b32 v1, v3
	v_add_u32_e32 v1, 0x400, v1
	s_andn2_b64 exec, exec, s[0:1]
	s_cbranch_execnz .LBB44_102
.LBB44_103:
	s_or_b64 exec, exec, s[4:5]
                                        ; implicit-def: $vgpr2
.LBB44_104:
	s_or_saveexec_b64 s[0:1], s[2:3]
	v_lshlrev_b32_e32 v1, 2, v0
	s_xor_b64 exec, exec, s[0:1]
	s_cbranch_execz .LBB44_106
; %bb.105:
	v_ashrrev_i32_e32 v3, 31, v2
	v_lshlrev_b64 v[4:5], 2, v[2:3]
	v_mov_b32_e32 v6, s27
	v_add_co_u32_e32 v4, vcc, s26, v4
	v_addc_co_u32_e32 v5, vcc, v6, v5, vcc
	global_load_dword v6, v[4:5], off
	global_load_dword v7, v[4:5], off offset:1024
	global_load_dword v8, v[4:5], off offset:2048
	;; [unrolled: 1-line block ×3, first 2 shown]
	v_mov_b32_e32 v4, s29
	v_add_co_u32_e32 v2, vcc, s28, v2
	v_addc_co_u32_e32 v3, vcc, v4, v3, vcc
	global_load_sbyte v11, v[2:3], off
	global_load_sbyte v12, v[2:3], off offset:256
	global_load_sbyte v13, v[2:3], off offset:512
	;; [unrolled: 1-line block ×3, first 2 shown]
	v_mov_b32_e32 v10, s31
	s_waitcnt vmcnt(7)
	v_subrev_u32_e32 v2, s38, v6
	v_ashrrev_i32_e32 v3, 31, v2
	v_add_co_u32_e32 v2, vcc, s30, v2
	s_waitcnt vmcnt(6)
	v_subrev_u32_e32 v4, s38, v7
	v_addc_co_u32_e32 v3, vcc, v10, v3, vcc
	v_ashrrev_i32_e32 v5, 31, v4
	v_add_co_u32_e32 v4, vcc, s30, v4
	s_waitcnt vmcnt(5)
	v_subrev_u32_e32 v6, s38, v8
	v_addc_co_u32_e32 v5, vcc, v10, v5, vcc
	;; [unrolled: 5-line block ×3, first 2 shown]
	v_ashrrev_i32_e32 v9, 31, v8
	v_add_co_u32_e32 v8, vcc, s30, v8
	v_addc_co_u32_e32 v9, vcc, v10, v9, vcc
	global_load_sbyte v10, v[2:3], off
	global_load_sbyte v15, v[4:5], off
	global_load_sbyte v16, v[6:7], off
	global_load_sbyte v17, v[8:9], off
	s_waitcnt vmcnt(7)
	v_mul_lo_u32 v2, s57, v11
	s_waitcnt vmcnt(6)
	v_mul_lo_u32 v3, s57, v12
	;; [unrolled: 2-line block ×8, first 2 shown]
	ds_write2st64_b32 v1, v2, v3 offset1:4
	ds_write2st64_b32 v1, v4, v5 offset0:8 offset1:12
.LBB44_106:
	s_or_b64 exec, exec, s[0:1]
	s_cmp_lt_i32 s39, 2
	s_mov_b64 s[0:1], -1
	s_waitcnt lgkmcnt(0)
	s_barrier
	s_cbranch_scc0 .LBB44_129
; %bb.107:
	v_add_u32_e32 v2, s34, v0
	v_cmp_gt_i32_e32 vcc, s35, v2
	s_and_saveexec_b64 s[0:1], vcc
	s_cbranch_execz .LBB44_128
; %bb.108:
	s_cmp_lg_u32 s33, 0
	s_cselect_b64 s[2:3], -1, 0
	s_lshl_b32 s4, s56, 2
	s_sub_i32 s16, 0, s4
	s_sub_i32 s17, 0, s56
	s_mov_b64 s[4:5], 0
	v_mov_b32_e32 v10, s25
	s_branch .LBB44_110
.LBB44_109:                             ;   in Loop: Header=BB44_110 Depth=1
	v_mov_b32_e32 v3, s23
	v_add_co_u32_e32 v4, vcc, s22, v4
	v_addc_co_u32_e32 v5, vcc, v3, v5, vcc
	v_add_u32_e32 v2, 0x100, v2
	v_cmp_le_i32_e32 vcc, s35, v2
	s_or_b64 s[4:5], vcc, s[4:5]
	global_store_dword v[4:5], v8, off
	s_andn2_b64 exec, exec, s[4:5]
	s_cbranch_execz .LBB44_128
.LBB44_110:                             ; =>This Loop Header: Depth=1
                                        ;     Child Loop BB44_114 Depth 2
                                        ;     Child Loop BB44_118 Depth 2
	;; [unrolled: 1-line block ×3, first 2 shown]
	v_ashrrev_i32_e32 v3, 31, v2
	v_lshlrev_b64 v[4:5], 2, v[2:3]
	v_add_co_u32_e32 v6, vcc, s24, v4
	v_addc_co_u32_e32 v7, vcc, v10, v5, vcc
	global_load_dwordx2 v[6:7], v[6:7], off
	v_mov_b32_e32 v8, 0
	s_waitcnt vmcnt(0)
	v_cmp_lt_i32_e32 vcc, v6, v7
	s_and_saveexec_b64 s[6:7], vcc
	s_cbranch_execz .LBB44_126
; %bb.111:                              ;   in Loop: Header=BB44_110 Depth=1
	v_subrev_u32_e32 v3, s56, v7
	v_subrev_u32_e32 v7, s56, v6
	v_add_u32_e32 v8, 1, v7
	v_max_i32_e32 v8, v8, v3
	v_add_u32_e32 v8, s56, v8
	v_sub_u32_e32 v11, v8, v6
	v_cmp_lt_u32_e32 vcc, 1, v11
	s_mov_b64 s[10:11], -1
	v_mov_b32_e32 v8, 0
	s_and_saveexec_b64 s[8:9], vcc
	s_cbranch_execz .LBB44_121
; %bb.112:                              ;   in Loop: Header=BB44_110 Depth=1
	v_add_u32_e32 v8, -2, v11
	s_mov_b32 s12, 0
	v_lshrrev_b32_e32 v9, 1, v8
	s_mov_b32 s13, s12
	v_add_u32_e32 v12, 1, v9
	v_cmp_lt_u32_e32 vcc, 13, v8
	v_pk_mov_b32 v[8:9], s[12:13], s[12:13] op_sel:[0,1]
	v_mov_b32_e32 v15, 0
	s_and_saveexec_b64 s[10:11], vcc
	s_cbranch_execz .LBB44_116
; %bb.113:                              ;   in Loop: Header=BB44_110 Depth=1
	v_and_b32_e32 v13, -8, v12
	v_lshl_add_u32 v14, v6, 2, s16
	s_mov_b64 s[14:15], 0
	v_mov_b32_e32 v8, 0
	v_mov_b32_e32 v9, 0
.LBB44_114:                             ;   Parent Loop BB44_110 Depth=1
                                        ; =>  This Inner Loop Header: Depth=2
	ds_read2_b32 v[16:17], v14 offset1:1
	ds_read2_b32 v[18:19], v14 offset0:2 offset1:3
	ds_read2_b32 v[20:21], v14 offset0:4 offset1:5
	;; [unrolled: 1-line block ×7, first 2 shown]
	s_waitcnt lgkmcnt(6)
	v_add3_u32 v8, v16, v8, v18
	v_add3_u32 v9, v17, v9, v19
	v_add_u32_e32 v13, -8, v13
	s_waitcnt lgkmcnt(4)
	v_add3_u32 v9, v21, v9, v23
	v_add3_u32 v8, v20, v8, v22
	s_add_i32 s12, s12, 16
	v_cmp_eq_u32_e32 vcc, 0, v13
	s_waitcnt lgkmcnt(2)
	v_add3_u32 v8, v24, v8, v26
	v_add3_u32 v9, v25, v9, v27
	v_add_u32_e32 v14, 64, v14
	v_mov_b32_e32 v15, s12
	s_or_b64 s[14:15], vcc, s[14:15]
	s_waitcnt lgkmcnt(0)
	v_add3_u32 v9, v29, v9, v31
	v_add3_u32 v8, v28, v8, v30
	s_andn2_b64 exec, exec, s[14:15]
	s_cbranch_execnz .LBB44_114
; %bb.115:                              ;   in Loop: Header=BB44_110 Depth=1
	s_or_b64 exec, exec, s[14:15]
.LBB44_116:                             ;   in Loop: Header=BB44_110 Depth=1
	s_or_b64 exec, exec, s[10:11]
	v_and_b32_e32 v12, 7, v12
	v_cmp_ne_u32_e32 vcc, 0, v12
	s_and_saveexec_b64 s[10:11], vcc
	s_cbranch_execz .LBB44_120
; %bb.117:                              ;   in Loop: Header=BB44_110 Depth=1
	v_add_u32_e32 v6, s17, v6
	v_add_lshl_u32 v6, v6, v15, 2
	v_lshlrev_b32_e32 v12, 3, v12
	s_mov_b64 s[12:13], 0
.LBB44_118:                             ;   Parent Loop BB44_110 Depth=1
                                        ; =>  This Inner Loop Header: Depth=2
	ds_read2_b32 v[14:15], v6 offset1:1
	v_add_u32_e32 v12, -8, v12
	v_cmp_eq_u32_e32 vcc, 0, v12
	v_add_u32_e32 v6, 8, v6
	s_or_b64 s[12:13], vcc, s[12:13]
	s_waitcnt lgkmcnt(0)
	v_add_u32_e32 v9, v15, v9
	v_add_u32_e32 v8, v14, v8
	s_andn2_b64 exec, exec, s[12:13]
	s_cbranch_execnz .LBB44_118
; %bb.119:                              ;   in Loop: Header=BB44_110 Depth=1
	s_or_b64 exec, exec, s[12:13]
.LBB44_120:                             ;   in Loop: Header=BB44_110 Depth=1
	s_or_b64 exec, exec, s[10:11]
	v_and_b32_e32 v6, -2, v11
	v_cmp_ne_u32_e32 vcc, v11, v6
	v_add_u32_e32 v7, v7, v6
	v_add_u32_e32 v8, v8, v9
	s_orn2_b64 s[10:11], vcc, exec
.LBB44_121:                             ;   in Loop: Header=BB44_110 Depth=1
	s_or_b64 exec, exec, s[8:9]
	s_and_saveexec_b64 s[8:9], s[10:11]
	s_cbranch_execz .LBB44_125
; %bb.122:                              ;   in Loop: Header=BB44_110 Depth=1
	v_lshlrev_b32_e32 v6, 2, v7
	s_mov_b64 s[10:11], 0
.LBB44_123:                             ;   Parent Loop BB44_110 Depth=1
                                        ; =>  This Inner Loop Header: Depth=2
	ds_read_b32 v9, v6
	v_add_u32_e32 v7, 1, v7
	v_cmp_ge_i32_e32 vcc, v7, v3
	v_add_u32_e32 v6, 4, v6
	s_or_b64 s[10:11], vcc, s[10:11]
	s_waitcnt lgkmcnt(0)
	v_add_u32_e32 v8, v9, v8
	s_andn2_b64 exec, exec, s[10:11]
	s_cbranch_execnz .LBB44_123
; %bb.124:                              ;   in Loop: Header=BB44_110 Depth=1
	s_or_b64 exec, exec, s[10:11]
.LBB44_125:                             ;   in Loop: Header=BB44_110 Depth=1
	s_or_b64 exec, exec, s[8:9]
.LBB44_126:                             ;   in Loop: Header=BB44_110 Depth=1
	s_or_b64 exec, exec, s[6:7]
	s_and_b64 vcc, exec, s[2:3]
	s_cbranch_vccz .LBB44_109
; %bb.127:                              ;   in Loop: Header=BB44_110 Depth=1
	v_mov_b32_e32 v3, s23
	v_add_co_u32_e32 v6, vcc, s22, v4
	v_addc_co_u32_e32 v7, vcc, v3, v5, vcc
	global_load_dword v3, v[6:7], off
	s_waitcnt vmcnt(0)
	v_mad_u64_u32 v[8:9], s[6:7], v3, s33, v[8:9]
	s_branch .LBB44_109
.LBB44_128:
	s_or_b64 exec, exec, s[0:1]
	s_mov_b64 s[0:1], 0
.LBB44_129:
	s_andn2_b64 vcc, exec, s[0:1]
	s_cbranch_vccnz .LBB44_154
; %bb.130:
	s_flbit_i32_b32 s0, s39
	s_xor_b32 s0, s0, 31
	v_lshrrev_b32_e32 v4, s0, v0
	v_add_u32_e32 v2, s34, v4
	s_add_i32 s0, s39, -1
	v_and_b32_e32 v3, s0, v0
	v_cmp_le_i32_e32 vcc, s35, v2
	v_cmp_gt_i32_e64 s[0:1], s35, v2
	v_mov_b32_e32 v0, 0
	s_and_saveexec_b64 s[2:3], s[0:1]
	s_cbranch_execz .LBB44_136
; %bb.131:
	v_lshlrev_b32_e32 v0, 2, v4
	global_load_dwordx2 v[6:7], v0, s[36:37]
	v_subrev_u32_e32 v0, s56, v3
	s_waitcnt vmcnt(0)
	v_subrev_u32_e32 v4, s56, v7
	v_add_u32_e32 v5, v6, v0
	v_cmp_lt_i32_e64 s[0:1], v5, v4
	v_mov_b32_e32 v0, 0
	s_and_saveexec_b64 s[4:5], s[0:1]
	s_cbranch_execz .LBB44_135
; %bb.132:
	v_lshlrev_b32_e32 v6, 2, v5
	s_lshl_b32 s8, s39, 2
	s_mov_b64 s[6:7], 0
	v_mov_b32_e32 v0, 0
.LBB44_133:                             ; =>This Inner Loop Header: Depth=1
	ds_read_b32 v7, v6
	v_add_u32_e32 v5, s39, v5
	v_cmp_ge_i32_e64 s[0:1], v5, v4
	v_add_u32_e32 v6, s8, v6
	s_or_b64 s[6:7], s[0:1], s[6:7]
	s_waitcnt lgkmcnt(0)
	v_add_u32_e32 v0, v7, v0
	s_andn2_b64 exec, exec, s[6:7]
	s_cbranch_execnz .LBB44_133
; %bb.134:
	s_or_b64 exec, exec, s[6:7]
.LBB44_135:
	s_or_b64 exec, exec, s[4:5]
.LBB44_136:
	s_or_b64 exec, exec, s[2:3]
	s_cmpk_lt_i32 s39, 0x81
	s_barrier
	ds_write_b32 v1, v0
	s_waitcnt lgkmcnt(0)
	s_barrier
	s_cbranch_scc1 .LBB44_138
; %bb.137:
	ds_read_b32 v4, v1 offset:512
	s_waitcnt lgkmcnt(0)
	s_barrier
	v_add_u32_e32 v0, v4, v0
	ds_write_b32 v1, v0
.LBB44_138:
	s_cmpk_lt_i32 s39, 0x41
	s_waitcnt lgkmcnt(0)
	s_barrier
	s_cbranch_scc1 .LBB44_140
; %bb.139:
	ds_read_b32 v4, v1 offset:256
	s_waitcnt lgkmcnt(0)
	s_barrier
	v_add_u32_e32 v0, v4, v0
	ds_write_b32 v1, v0
.LBB44_140:
	s_cmp_lt_i32 s39, 33
	s_waitcnt lgkmcnt(0)
	s_barrier
	s_cbranch_scc1 .LBB44_142
; %bb.141:
	ds_read_b32 v4, v1 offset:128
	s_waitcnt lgkmcnt(0)
	s_barrier
	v_add_u32_e32 v0, v4, v0
	ds_write_b32 v1, v0
.LBB44_142:
	s_cmp_lt_i32 s39, 17
	;; [unrolled: 11-line block ×4, first 2 shown]
	s_waitcnt lgkmcnt(0)
	s_barrier
	s_cbranch_scc1 .LBB44_148
; %bb.147:
	ds_read_b32 v4, v1 offset:16
	s_waitcnt lgkmcnt(0)
	s_barrier
	v_add_u32_e32 v0, v4, v0
	ds_write_b32 v1, v0
.LBB44_148:
	s_cmp_eq_u32 s39, 2
	s_waitcnt lgkmcnt(0)
	s_barrier
	s_cbranch_scc1 .LBB44_150
; %bb.149:
	ds_read_b32 v4, v1 offset:8
	s_waitcnt lgkmcnt(0)
	s_barrier
	v_add_u32_e32 v0, v4, v0
	ds_write_b32 v1, v0
.LBB44_150:
	s_waitcnt lgkmcnt(0)
	s_barrier
	ds_read_b32 v4, v1 offset:4
	v_cmp_eq_u32_e64 s[0:1], 0, v3
	s_xor_b64 s[2:3], vcc, -1
	s_and_b64 s[0:1], s[0:1], s[2:3]
	s_waitcnt lgkmcnt(0)
	v_add_u32_e32 v0, v4, v0
	s_barrier
	ds_write_b32 v1, v0
	s_and_saveexec_b64 s[2:3], s[0:1]
	s_cbranch_execz .LBB44_154
; %bb.151:
	v_ashrrev_i32_e32 v3, 31, v2
	s_cmp_eq_u32 s33, 0
	v_lshlrev_b64 v[2:3], 2, v[2:3]
	s_cbranch_scc1 .LBB44_153
; %bb.152:
	v_mov_b32_e32 v1, s23
	v_add_co_u32_e32 v4, vcc, s22, v2
	v_addc_co_u32_e32 v5, vcc, v1, v3, vcc
	global_load_dword v1, v[4:5], off
	s_waitcnt vmcnt(0)
	v_mad_u64_u32 v[0:1], s[0:1], v1, s33, v[0:1]
.LBB44_153:
	v_mov_b32_e32 v1, s23
	v_add_co_u32_e32 v2, vcc, s22, v2
	v_addc_co_u32_e32 v3, vcc, v1, v3, vcc
	global_store_dword v[2:3], v0, off
.LBB44_154:
	s_endpgm
	.section	.rodata,"a",@progbits
	.p2align	6, 0x0
	.amdhsa_kernel _ZN9rocsparseL22csrmvn_adaptive_kernelIiiaaiiEEvbT_PKS1_PjPKT0_NS_24const_host_device_scalarIT4_EES3_S7_PKT1_PKT2_SA_PT3_21rocsparse_index_base_b
		.amdhsa_group_segment_fixed_size 4096
		.amdhsa_private_segment_fixed_size 0
		.amdhsa_kernarg_size 96
		.amdhsa_user_sgpr_count 6
		.amdhsa_user_sgpr_private_segment_buffer 1
		.amdhsa_user_sgpr_dispatch_ptr 0
		.amdhsa_user_sgpr_queue_ptr 0
		.amdhsa_user_sgpr_kernarg_segment_ptr 1
		.amdhsa_user_sgpr_dispatch_id 0
		.amdhsa_user_sgpr_flat_scratch_init 0
		.amdhsa_user_sgpr_kernarg_preload_length 0
		.amdhsa_user_sgpr_kernarg_preload_offset 0
		.amdhsa_user_sgpr_private_segment_size 0
		.amdhsa_uses_dynamic_stack 0
		.amdhsa_system_sgpr_private_segment_wavefront_offset 0
		.amdhsa_system_sgpr_workgroup_id_x 1
		.amdhsa_system_sgpr_workgroup_id_y 0
		.amdhsa_system_sgpr_workgroup_id_z 0
		.amdhsa_system_sgpr_workgroup_info 0
		.amdhsa_system_vgpr_workitem_id 0
		.amdhsa_next_free_vgpr 32
		.amdhsa_next_free_sgpr 64
		.amdhsa_accum_offset 32
		.amdhsa_reserve_vcc 1
		.amdhsa_reserve_flat_scratch 0
		.amdhsa_float_round_mode_32 0
		.amdhsa_float_round_mode_16_64 0
		.amdhsa_float_denorm_mode_32 3
		.amdhsa_float_denorm_mode_16_64 3
		.amdhsa_dx10_clamp 1
		.amdhsa_ieee_mode 1
		.amdhsa_fp16_overflow 0
		.amdhsa_tg_split 0
		.amdhsa_exception_fp_ieee_invalid_op 0
		.amdhsa_exception_fp_denorm_src 0
		.amdhsa_exception_fp_ieee_div_zero 0
		.amdhsa_exception_fp_ieee_overflow 0
		.amdhsa_exception_fp_ieee_underflow 0
		.amdhsa_exception_fp_ieee_inexact 0
		.amdhsa_exception_int_div_zero 0
	.end_amdhsa_kernel
	.section	.text._ZN9rocsparseL22csrmvn_adaptive_kernelIiiaaiiEEvbT_PKS1_PjPKT0_NS_24const_host_device_scalarIT4_EES3_S7_PKT1_PKT2_SA_PT3_21rocsparse_index_base_b,"axG",@progbits,_ZN9rocsparseL22csrmvn_adaptive_kernelIiiaaiiEEvbT_PKS1_PjPKT0_NS_24const_host_device_scalarIT4_EES3_S7_PKT1_PKT2_SA_PT3_21rocsparse_index_base_b,comdat
.Lfunc_end44:
	.size	_ZN9rocsparseL22csrmvn_adaptive_kernelIiiaaiiEEvbT_PKS1_PjPKT0_NS_24const_host_device_scalarIT4_EES3_S7_PKT1_PKT2_SA_PT3_21rocsparse_index_base_b, .Lfunc_end44-_ZN9rocsparseL22csrmvn_adaptive_kernelIiiaaiiEEvbT_PKS1_PjPKT0_NS_24const_host_device_scalarIT4_EES3_S7_PKT1_PKT2_SA_PT3_21rocsparse_index_base_b
                                        ; -- End function
	.section	.AMDGPU.csdata,"",@progbits
; Kernel info:
; codeLenInByte = 5944
; NumSgprs: 68
; NumVgprs: 32
; NumAgprs: 0
; TotalNumVgprs: 32
; ScratchSize: 0
; MemoryBound: 0
; FloatMode: 240
; IeeeMode: 1
; LDSByteSize: 4096 bytes/workgroup (compile time only)
; SGPRBlocks: 8
; VGPRBlocks: 3
; NumSGPRsForWavesPerEU: 68
; NumVGPRsForWavesPerEU: 32
; AccumOffset: 32
; Occupancy: 8
; WaveLimiterHint : 1
; COMPUTE_PGM_RSRC2:SCRATCH_EN: 0
; COMPUTE_PGM_RSRC2:USER_SGPR: 6
; COMPUTE_PGM_RSRC2:TRAP_HANDLER: 0
; COMPUTE_PGM_RSRC2:TGID_X_EN: 1
; COMPUTE_PGM_RSRC2:TGID_Y_EN: 0
; COMPUTE_PGM_RSRC2:TGID_Z_EN: 0
; COMPUTE_PGM_RSRC2:TIDIG_COMP_CNT: 0
; COMPUTE_PGM_RSRC3_GFX90A:ACCUM_OFFSET: 7
; COMPUTE_PGM_RSRC3_GFX90A:TG_SPLIT: 0
	.section	.text._ZN9rocsparseL22partial_scale_y_kernelIiiiEEvT_S1_S1_NS_24const_host_device_scalarIT1_EEPT0_b,"axG",@progbits,_ZN9rocsparseL22partial_scale_y_kernelIiiiEEvT_S1_S1_NS_24const_host_device_scalarIT1_EEPT0_b,comdat
	.globl	_ZN9rocsparseL22partial_scale_y_kernelIiiiEEvT_S1_S1_NS_24const_host_device_scalarIT1_EEPT0_b ; -- Begin function _ZN9rocsparseL22partial_scale_y_kernelIiiiEEvT_S1_S1_NS_24const_host_device_scalarIT1_EEPT0_b
	.p2align	8
	.type	_ZN9rocsparseL22partial_scale_y_kernelIiiiEEvT_S1_S1_NS_24const_host_device_scalarIT1_EEPT0_b,@function
_ZN9rocsparseL22partial_scale_y_kernelIiiiEEvT_S1_S1_NS_24const_host_device_scalarIT1_EEPT0_b: ; @_ZN9rocsparseL22partial_scale_y_kernelIiiiEEvT_S1_S1_NS_24const_host_device_scalarIT1_EEPT0_b
; %bb.0:
	s_load_dword s2, s[4:5], 0x20
	s_load_dwordx2 s[0:1], s[4:5], 0x10
	s_waitcnt lgkmcnt(0)
	s_bitcmp0_b32 s2, 0
	s_cbranch_scc0 .LBB45_2
; %bb.1:
	s_load_dword s10, s[0:1], 0x0
	s_cbranch_execz .LBB45_3
	s_branch .LBB45_4
.LBB45_2:
                                        ; implicit-def: $sgpr10
.LBB45_3:
	s_waitcnt lgkmcnt(0)
	s_mov_b32 s10, s0
.LBB45_4:
	s_waitcnt lgkmcnt(0)
	s_cmp_eq_u32 s10, 1
	s_cbranch_scc1 .LBB45_14
; %bb.5:
	s_load_dwordx4 s[0:3], s[4:5], 0x0
	v_lshl_or_b32 v0, s6, 8, v0
	s_waitcnt lgkmcnt(0)
	s_add_i32 s0, s1, s0
	s_sub_i32 s0, s0, s2
	v_cmp_gt_i32_e32 vcc, s0, v0
	s_and_saveexec_b64 s[6:7], vcc
	s_cbranch_execz .LBB45_14
; %bb.6:
	s_load_dwordx2 s[4:5], s[4:5], 0x18
	s_cmp_lg_u32 s10, 0
	v_cmp_le_i32_e32 vcc, s1, v0
	s_cselect_b64 s[6:7], -1, 0
	s_and_saveexec_b64 s[8:9], vcc
	s_xor_b64 s[8:9], exec, s[8:9]
	s_cbranch_execz .LBB45_10
; %bb.7:
	v_subrev_u32_e32 v0, s1, v0
	v_add_u32_e32 v0, s2, v0
	v_ashrrev_i32_e32 v1, 31, v0
	v_lshlrev_b64 v[0:1], 2, v[0:1]
	s_waitcnt lgkmcnt(0)
	v_mov_b32_e32 v3, s5
	v_add_co_u32_e32 v2, vcc, s4, v0
	v_addc_co_u32_e32 v3, vcc, v3, v1, vcc
	s_and_b64 vcc, exec, s[6:7]
	s_cbranch_vccz .LBB45_15
; %bb.8:
	global_load_dword v0, v[2:3], off
	s_waitcnt vmcnt(0)
	v_mul_lo_u32 v0, v0, s10
	global_store_dword v[2:3], v0, off
                                        ; implicit-def: $vgpr0
	s_cbranch_execnz .LBB45_10
.LBB45_9:
	v_mov_b32_e32 v0, 0
	global_store_dword v[2:3], v0, off
                                        ; implicit-def: $vgpr0
.LBB45_10:
	s_andn2_saveexec_b64 s[0:1], s[8:9]
	s_cbranch_execz .LBB45_14
; %bb.11:
	v_ashrrev_i32_e32 v1, 31, v0
	v_lshlrev_b64 v[0:1], 2, v[0:1]
	s_waitcnt lgkmcnt(0)
	v_mov_b32_e32 v2, s5
	v_add_co_u32_e32 v0, vcc, s4, v0
	v_addc_co_u32_e32 v1, vcc, v2, v1, vcc
	s_and_b64 vcc, exec, s[6:7]
	s_cbranch_vccz .LBB45_16
; %bb.12:
	global_load_dword v2, v[0:1], off
	s_waitcnt vmcnt(0)
	v_mul_lo_u32 v2, v2, s10
	global_store_dword v[0:1], v2, off
	s_cbranch_execnz .LBB45_14
.LBB45_13:
	v_mov_b32_e32 v2, 0
	global_store_dword v[0:1], v2, off
.LBB45_14:
	s_endpgm
.LBB45_15:
                                        ; implicit-def: $vgpr0
	s_branch .LBB45_9
.LBB45_16:
	s_branch .LBB45_13
	.section	.rodata,"a",@progbits
	.p2align	6, 0x0
	.amdhsa_kernel _ZN9rocsparseL22partial_scale_y_kernelIiiiEEvT_S1_S1_NS_24const_host_device_scalarIT1_EEPT0_b
		.amdhsa_group_segment_fixed_size 0
		.amdhsa_private_segment_fixed_size 0
		.amdhsa_kernarg_size 36
		.amdhsa_user_sgpr_count 6
		.amdhsa_user_sgpr_private_segment_buffer 1
		.amdhsa_user_sgpr_dispatch_ptr 0
		.amdhsa_user_sgpr_queue_ptr 0
		.amdhsa_user_sgpr_kernarg_segment_ptr 1
		.amdhsa_user_sgpr_dispatch_id 0
		.amdhsa_user_sgpr_flat_scratch_init 0
		.amdhsa_user_sgpr_kernarg_preload_length 0
		.amdhsa_user_sgpr_kernarg_preload_offset 0
		.amdhsa_user_sgpr_private_segment_size 0
		.amdhsa_uses_dynamic_stack 0
		.amdhsa_system_sgpr_private_segment_wavefront_offset 0
		.amdhsa_system_sgpr_workgroup_id_x 1
		.amdhsa_system_sgpr_workgroup_id_y 0
		.amdhsa_system_sgpr_workgroup_id_z 0
		.amdhsa_system_sgpr_workgroup_info 0
		.amdhsa_system_vgpr_workitem_id 0
		.amdhsa_next_free_vgpr 4
		.amdhsa_next_free_sgpr 11
		.amdhsa_accum_offset 4
		.amdhsa_reserve_vcc 1
		.amdhsa_reserve_flat_scratch 0
		.amdhsa_float_round_mode_32 0
		.amdhsa_float_round_mode_16_64 0
		.amdhsa_float_denorm_mode_32 3
		.amdhsa_float_denorm_mode_16_64 3
		.amdhsa_dx10_clamp 1
		.amdhsa_ieee_mode 1
		.amdhsa_fp16_overflow 0
		.amdhsa_tg_split 0
		.amdhsa_exception_fp_ieee_invalid_op 0
		.amdhsa_exception_fp_denorm_src 0
		.amdhsa_exception_fp_ieee_div_zero 0
		.amdhsa_exception_fp_ieee_overflow 0
		.amdhsa_exception_fp_ieee_underflow 0
		.amdhsa_exception_fp_ieee_inexact 0
		.amdhsa_exception_int_div_zero 0
	.end_amdhsa_kernel
	.section	.text._ZN9rocsparseL22partial_scale_y_kernelIiiiEEvT_S1_S1_NS_24const_host_device_scalarIT1_EEPT0_b,"axG",@progbits,_ZN9rocsparseL22partial_scale_y_kernelIiiiEEvT_S1_S1_NS_24const_host_device_scalarIT1_EEPT0_b,comdat
.Lfunc_end45:
	.size	_ZN9rocsparseL22partial_scale_y_kernelIiiiEEvT_S1_S1_NS_24const_host_device_scalarIT1_EEPT0_b, .Lfunc_end45-_ZN9rocsparseL22partial_scale_y_kernelIiiiEEvT_S1_S1_NS_24const_host_device_scalarIT1_EEPT0_b
                                        ; -- End function
	.section	.AMDGPU.csdata,"",@progbits
; Kernel info:
; codeLenInByte = 324
; NumSgprs: 15
; NumVgprs: 4
; NumAgprs: 0
; TotalNumVgprs: 4
; ScratchSize: 0
; MemoryBound: 0
; FloatMode: 240
; IeeeMode: 1
; LDSByteSize: 0 bytes/workgroup (compile time only)
; SGPRBlocks: 1
; VGPRBlocks: 0
; NumSGPRsForWavesPerEU: 15
; NumVGPRsForWavesPerEU: 4
; AccumOffset: 4
; Occupancy: 8
; WaveLimiterHint : 0
; COMPUTE_PGM_RSRC2:SCRATCH_EN: 0
; COMPUTE_PGM_RSRC2:USER_SGPR: 6
; COMPUTE_PGM_RSRC2:TRAP_HANDLER: 0
; COMPUTE_PGM_RSRC2:TGID_X_EN: 1
; COMPUTE_PGM_RSRC2:TGID_Y_EN: 0
; COMPUTE_PGM_RSRC2:TGID_Z_EN: 0
; COMPUTE_PGM_RSRC2:TIDIG_COMP_CNT: 0
; COMPUTE_PGM_RSRC3_GFX90A:ACCUM_OFFSET: 0
; COMPUTE_PGM_RSRC3_GFX90A:TG_SPLIT: 0
	.section	.text._ZN9rocsparseL27csrmvn_symm_adaptive_kernelIiiaaiiEEvbT_S1_PKS1_NS_24const_host_device_scalarIT4_EES3_PKT0_PKT1_PKT2_S6_PT3_21rocsparse_index_base_b,"axG",@progbits,_ZN9rocsparseL27csrmvn_symm_adaptive_kernelIiiaaiiEEvbT_S1_PKS1_NS_24const_host_device_scalarIT4_EES3_PKT0_PKT1_PKT2_S6_PT3_21rocsparse_index_base_b,comdat
	.globl	_ZN9rocsparseL27csrmvn_symm_adaptive_kernelIiiaaiiEEvbT_S1_PKS1_NS_24const_host_device_scalarIT4_EES3_PKT0_PKT1_PKT2_S6_PT3_21rocsparse_index_base_b ; -- Begin function _ZN9rocsparseL27csrmvn_symm_adaptive_kernelIiiaaiiEEvbT_S1_PKS1_NS_24const_host_device_scalarIT4_EES3_PKT0_PKT1_PKT2_S6_PT3_21rocsparse_index_base_b
	.p2align	8
	.type	_ZN9rocsparseL27csrmvn_symm_adaptive_kernelIiiaaiiEEvbT_S1_PKS1_NS_24const_host_device_scalarIT4_EES3_PKT0_PKT1_PKT2_S6_PT3_21rocsparse_index_base_b,@function
_ZN9rocsparseL27csrmvn_symm_adaptive_kernelIiiaaiiEEvbT_S1_PKS1_NS_24const_host_device_scalarIT4_EES3_PKT0_PKT1_PKT2_S6_PT3_21rocsparse_index_base_b: ; @_ZN9rocsparseL27csrmvn_symm_adaptive_kernelIiiaaiiEEvbT_S1_PKS1_NS_24const_host_device_scalarIT4_EES3_PKT0_PKT1_PKT2_S6_PT3_21rocsparse_index_base_b
; %bb.0:
	s_load_dwordx2 s[26:27], s[4:5], 0x50
	s_load_dwordx2 s[8:9], s[4:5], 0x18
	s_mov_b64 s[10:11], -1
                                        ; implicit-def: $sgpr48
	s_waitcnt lgkmcnt(0)
	s_bitcmp1_b32 s27, 0
	s_cselect_b64 s[0:1], -1, 0
	s_xor_b64 s[2:3], s[0:1], -1
	s_and_b64 vcc, exec, s[2:3]
	s_cbranch_vccnz .LBB46_4
; %bb.1:
	s_load_dwordx2 s[0:1], s[4:5], 0x40
	s_andn2_b64 vcc, exec, s[10:11]
	s_cbranch_vccz .LBB46_5
.LBB46_2:
	s_and_b64 vcc, exec, s[2:3]
	s_cbranch_vccz .LBB46_6
.LBB46_3:
	s_waitcnt lgkmcnt(0)
	s_load_dword s1, s[0:1], 0x0
	s_cbranch_execz .LBB46_7
	s_branch .LBB46_8
.LBB46_4:
	s_load_dword s48, s[8:9], 0x0
	s_load_dwordx2 s[0:1], s[4:5], 0x40
	s_cbranch_execnz .LBB46_2
.LBB46_5:
	s_waitcnt lgkmcnt(0)
	s_mov_b32 s48, s8
	s_and_b64 vcc, exec, s[2:3]
	s_cbranch_vccnz .LBB46_3
.LBB46_6:
                                        ; implicit-def: $sgpr1
.LBB46_7:
	s_waitcnt lgkmcnt(0)
	s_mov_b32 s1, s0
.LBB46_8:
	s_waitcnt lgkmcnt(0)
	s_cmp_lg_u32 s48, 0
	s_cselect_b64 s[2:3], -1, 0
	s_cmp_lg_u32 s1, 1
	s_cselect_b64 s[0:1], -1, 0
	s_or_b64 s[0:1], s[2:3], s[0:1]
	s_andn2_b64 vcc, exec, s[0:1]
	s_cbranch_vccnz .LBB46_197
; %bb.9:
	s_load_dwordx2 s[0:1], s[4:5], 0x10
	s_ashr_i32 s7, s6, 31
	s_lshl_b64 s[2:3], s[6:7], 2
	v_lshlrev_b32_e32 v1, 2, v0
	v_mov_b32_e32 v2, 0
	s_waitcnt lgkmcnt(0)
	s_add_u32 s0, s0, s2
	s_addc_u32 s1, s1, s3
	ds_write2st64_b32 v1, v2, v2 offset1:4
	ds_write2st64_b32 v1, v2, v2 offset0:8 offset1:12
	s_waitcnt lgkmcnt(0)
	s_barrier
	s_load_dwordx2 s[24:25], s[0:1], 0x0
	s_load_dwordx8 s[16:23], s[4:5], 0x20
	s_load_dwordx2 s[14:15], s[4:5], 0x48
	s_mov_b64 s[0:1], -1
	v_subrev_u32_e32 v6, s26, v0
	s_waitcnt lgkmcnt(0)
	s_sub_i32 s27, s25, s24
	s_cmp_gt_i32 s27, 2
	s_cbranch_scc1 .LBB46_48
; %bb.10:
	s_cmp_gt_i32 s25, s24
	s_cbranch_scc1 .LBB46_12
; %bb.11:
	s_ashr_i32 s1, s24, 31
	s_mov_b32 s0, s24
	s_lshl_b64 s[0:1], s[0:1], 2
	s_add_u32 s0, s16, s0
	s_addc_u32 s1, s17, s1
	s_load_dword s33, s[0:1], 0x0
	s_cbranch_execz .LBB46_13
	s_branch .LBB46_38
.LBB46_12:
                                        ; implicit-def: $sgpr33
	s_andn2_b64 vcc, exec, s[0:1]
	s_cbranch_vccnz .LBB46_38
.LBB46_13:
	s_ashr_i32 s13, s24, 31
	s_mov_b32 s12, s24
	s_lshl_b64 s[12:13], s[12:13], 2
	s_add_u32 s12, s16, s12
	s_addc_u32 s13, s17, s13
	s_waitcnt lgkmcnt(0)
	s_load_dword s33, s[12:13], 0x0
	s_movk_i32 s0, 0x100
	s_add_u32 s41, s16, 4
	v_cmp_gt_u32_e64 s[0:1], s0, v0
	v_cmp_gt_u32_e64 s[2:3], 64, v0
	;; [unrolled: 1-line block ×4, first 2 shown]
	v_cmp_eq_u32_e64 s[10:11], 0, v0
	v_xad_u32 v7, v0, -1, s26
	v_add_u32_e32 v8, 0x100, v6
	s_mov_b32 s40, s26
	s_addc_u32 s42, s17, 0
	s_movk_i32 s43, 0xff
	v_mov_b32_e32 v9, 0
	v_mov_b32_e32 v10, s21
	;; [unrolled: 1-line block ×3, first 2 shown]
	s_waitcnt lgkmcnt(0)
	s_mov_b32 s12, s33
	s_mov_b32 s28, s24
	s_branch .LBB46_15
.LBB46_14:                              ;   in Loop: Header=BB46_15 Depth=1
	s_or_b64 exec, exec, s[12:13]
	s_add_i32 s28, s28, 1
	s_cmp_ge_i32 s28, s25
	s_mov_b32 s12, s29
	s_cbranch_scc1 .LBB46_38
.LBB46_15:                              ; =>This Loop Header: Depth=1
                                        ;     Child Loop BB46_18 Depth 2
                                        ;     Child Loop BB46_22 Depth 2
	s_ashr_i32 s29, s28, 31
	s_lshl_b64 s[30:31], s[28:29], 2
	s_add_u32 s34, s41, s30
	s_addc_u32 s35, s42, s31
	s_load_dword s29, s[34:35], 0x0
	v_add_u32_e32 v2, s12, v6
	v_mov_b32_e32 v12, 0
	s_waitcnt lgkmcnt(0)
	s_sub_i32 s44, s29, s26
	v_cmp_gt_i32_e32 vcc, s44, v2
	s_and_saveexec_b64 s[34:35], vcc
	s_cbranch_execz .LBB46_25
; %bb.16:                               ;   in Loop: Header=BB46_15 Depth=1
	v_add_u32_e32 v3, s12, v8
	v_max_i32_e32 v3, s44, v3
	v_add_u32_e32 v3, v7, v3
	v_subrev_u32_e32 v3, s12, v3
	v_cmp_lt_u32_e32 vcc, s43, v3
	s_mov_b64 s[12:13], -1
	v_mov_b32_e32 v12, 0
	s_and_saveexec_b64 s[36:37], vcc
	s_cbranch_execz .LBB46_20
; %bb.17:                               ;   in Loop: Header=BB46_15 Depth=1
	v_lshrrev_b32_e32 v3, 8, v3
	v_add_u32_e32 v13, 1, v3
	v_and_b32_e32 v14, 0x1fffffe, v13
	v_add_u32_e32 v3, 0x100, v2
	s_mov_b64 s[38:39], 0
	v_mov_b32_e32 v12, 0
	v_mov_b32_e32 v15, v14
	v_pk_mov_b32 v[4:5], v[2:3], v[2:3] op_sel:[0,1]
	v_mov_b32_e32 v3, 0
.LBB46_18:                              ;   Parent Loop BB46_15 Depth=1
                                        ; =>  This Inner Loop Header: Depth=2
	v_ashrrev_i32_e32 v19, 31, v4
	v_mov_b32_e32 v18, v4
	v_lshlrev_b64 v[20:21], 2, v[18:19]
	v_ashrrev_i32_e32 v17, 31, v5
	v_mov_b32_e32 v16, v5
	v_mov_b32_e32 v24, s19
	v_add_co_u32_e32 v20, vcc, s18, v20
	v_lshlrev_b64 v[22:23], 2, v[16:17]
	v_addc_co_u32_e32 v21, vcc, v24, v21, vcc
	v_add_co_u32_e32 v22, vcc, s18, v22
	v_addc_co_u32_e32 v23, vcc, v24, v23, vcc
	global_load_dword v24, v[20:21], off
	global_load_dword v25, v[22:23], off
	v_mov_b32_e32 v20, s21
	v_add_co_u32_e32 v18, vcc, s20, v18
	v_addc_co_u32_e32 v19, vcc, v20, v19, vcc
	v_add_co_u32_e32 v16, vcc, s20, v16
	v_addc_co_u32_e32 v17, vcc, v20, v17, vcc
	global_load_sbyte v20, v[18:19], off
	global_load_sbyte v22, v[16:17], off
	v_mov_b32_e32 v21, s23
	v_add_u32_e32 v15, -2, v15
	v_add_u32_e32 v5, 0x200, v5
	v_add_u32_e32 v4, 0x200, v4
	s_waitcnt vmcnt(3)
	v_subrev_u32_e32 v17, s26, v24
	s_waitcnt vmcnt(2)
	v_subrev_u32_e32 v16, s40, v25
	v_ashrrev_i32_e32 v23, 31, v16
	v_add_co_u32_e32 v16, vcc, s22, v16
	v_ashrrev_i32_e32 v19, 31, v17
	v_add_co_u32_e64 v18, s[12:13], s22, v17
	v_addc_co_u32_e32 v17, vcc, v21, v23, vcc
	v_addc_co_u32_e64 v19, s[12:13], v21, v19, s[12:13]
	global_load_sbyte v16, v[16:17], off
	s_nop 0
	global_load_sbyte v17, v[18:19], off
	v_cmp_eq_u32_e32 vcc, 0, v15
	s_or_b64 s[38:39], vcc, s[38:39]
	s_waitcnt vmcnt(1)
	v_mad_i32_i24 v3, v16, v22, v3
	s_waitcnt vmcnt(0)
	v_mad_i32_i24 v12, v17, v20, v12
	s_andn2_b64 exec, exec, s[38:39]
	s_cbranch_execnz .LBB46_18
; %bb.19:                               ;   in Loop: Header=BB46_15 Depth=1
	s_or_b64 exec, exec, s[38:39]
	v_cmp_ne_u32_e32 vcc, v13, v14
	v_lshl_add_u32 v2, v14, 8, v2
	v_add_u32_e32 v12, v12, v3
	s_orn2_b64 s[12:13], vcc, exec
.LBB46_20:                              ;   in Loop: Header=BB46_15 Depth=1
	s_or_b64 exec, exec, s[36:37]
	s_and_saveexec_b64 s[36:37], s[12:13]
	s_cbranch_execz .LBB46_24
; %bb.21:                               ;   in Loop: Header=BB46_15 Depth=1
	v_ashrrev_i32_e32 v3, 31, v2
	v_lshlrev_b64 v[4:5], 2, v[2:3]
	v_mov_b32_e32 v13, s19
	v_add_co_u32_e32 v4, vcc, s18, v4
	v_addc_co_u32_e32 v5, vcc, v13, v5, vcc
	s_mov_b64 s[38:39], 0
.LBB46_22:                              ;   Parent Loop BB46_15 Depth=1
                                        ; =>  This Inner Loop Header: Depth=2
	global_load_dword v13, v[4:5], off
	v_add_co_u32_e32 v14, vcc, s20, v2
	v_addc_co_u32_e32 v15, vcc, v10, v3, vcc
	global_load_sbyte v16, v[14:15], off
	s_waitcnt vmcnt(1)
	v_subrev_u32_e32 v13, s26, v13
	v_ashrrev_i32_e32 v15, 31, v13
	v_add_co_u32_e32 v14, vcc, s22, v13
	v_addc_co_u32_e32 v15, vcc, v11, v15, vcc
	global_load_sbyte v13, v[14:15], off
	v_add_co_u32_e32 v2, vcc, 0x100, v2
	v_addc_co_u32_e32 v3, vcc, 0, v3, vcc
	v_add_co_u32_e32 v4, vcc, 0x400, v4
	v_cmp_le_i32_e64 s[12:13], s44, v2
	v_addc_co_u32_e32 v5, vcc, 0, v5, vcc
	s_or_b64 s[38:39], s[12:13], s[38:39]
	s_waitcnt vmcnt(0)
	v_mad_i32_i24 v12, v13, v16, v12
	s_andn2_b64 exec, exec, s[38:39]
	s_cbranch_execnz .LBB46_22
; %bb.23:                               ;   in Loop: Header=BB46_15 Depth=1
	s_or_b64 exec, exec, s[38:39]
.LBB46_24:                              ;   in Loop: Header=BB46_15 Depth=1
	s_or_b64 exec, exec, s[36:37]
.LBB46_25:                              ;   in Loop: Header=BB46_15 Depth=1
	s_or_b64 exec, exec, s[34:35]
	ds_write_b32 v1, v12
	s_waitcnt lgkmcnt(0)
	s_barrier
	s_and_saveexec_b64 s[12:13], s[0:1]
	s_cbranch_execz .LBB46_27
; %bb.26:                               ;   in Loop: Header=BB46_15 Depth=1
	ds_read2st64_b32 v[2:3], v1 offset1:4
	ds_read2st64_b32 v[4:5], v1 offset0:8 offset1:12
	s_waitcnt lgkmcnt(0)
	v_add_u32_e32 v3, v4, v3
	v_add3_u32 v2, v3, v5, v2
	ds_write_b32 v1, v2
.LBB46_27:                              ;   in Loop: Header=BB46_15 Depth=1
	s_or_b64 exec, exec, s[12:13]
	s_waitcnt lgkmcnt(0)
	s_barrier
	s_and_saveexec_b64 s[12:13], s[2:3]
	s_cbranch_execz .LBB46_29
; %bb.28:                               ;   in Loop: Header=BB46_15 Depth=1
	ds_read2st64_b32 v[2:3], v1 offset1:1
	ds_read2st64_b32 v[4:5], v1 offset0:2 offset1:3
	s_waitcnt lgkmcnt(0)
	v_add_u32_e32 v3, v4, v3
	v_add3_u32 v2, v3, v5, v2
	ds_write_b32 v1, v2
.LBB46_29:                              ;   in Loop: Header=BB46_15 Depth=1
	s_or_b64 exec, exec, s[12:13]
	s_waitcnt lgkmcnt(0)
	s_barrier
	s_and_saveexec_b64 s[12:13], s[6:7]
	s_cbranch_execz .LBB46_31
; %bb.30:                               ;   in Loop: Header=BB46_15 Depth=1
	ds_read2_b32 v[2:3], v1 offset1:16
	ds_read2_b32 v[4:5], v1 offset0:32 offset1:48
	s_waitcnt lgkmcnt(0)
	v_add_u32_e32 v3, v4, v3
	v_add3_u32 v2, v3, v5, v2
	ds_write_b32 v1, v2
.LBB46_31:                              ;   in Loop: Header=BB46_15 Depth=1
	s_or_b64 exec, exec, s[12:13]
	s_waitcnt lgkmcnt(0)
	s_barrier
	s_and_saveexec_b64 s[12:13], s[8:9]
	s_cbranch_execz .LBB46_33
; %bb.32:                               ;   in Loop: Header=BB46_15 Depth=1
	ds_read2_b32 v[2:3], v1 offset1:4
	ds_read2_b32 v[4:5], v1 offset0:8 offset1:12
	s_waitcnt lgkmcnt(0)
	v_add_u32_e32 v3, v4, v3
	v_add3_u32 v2, v3, v5, v2
	ds_write_b32 v1, v2
.LBB46_33:                              ;   in Loop: Header=BB46_15 Depth=1
	s_or_b64 exec, exec, s[12:13]
	s_waitcnt lgkmcnt(0)
	s_barrier
	s_and_saveexec_b64 s[12:13], s[10:11]
	s_cbranch_execz .LBB46_35
; %bb.34:                               ;   in Loop: Header=BB46_15 Depth=1
	ds_read2_b32 v[2:3], v9 offset0:1 offset1:2
	ds_read_b32 v4, v9 offset:12
	ds_read_b32 v5, v1
	s_waitcnt lgkmcnt(2)
	v_add_u32_e32 v2, v3, v2
	s_waitcnt lgkmcnt(1)
	v_add_u32_e32 v2, v2, v4
	s_waitcnt lgkmcnt(0)
	v_add_u32_e32 v2, v2, v5
	ds_write_b32 v1, v2
.LBB46_35:                              ;   in Loop: Header=BB46_15 Depth=1
	s_or_b64 exec, exec, s[12:13]
	s_waitcnt lgkmcnt(0)
	s_barrier
	s_and_saveexec_b64 s[12:13], s[10:11]
	s_cbranch_execz .LBB46_14
; %bb.36:                               ;   in Loop: Header=BB46_15 Depth=1
	s_mov_b64 s[34:35], exec
	v_mbcnt_lo_u32_b32 v2, s34, 0
	v_mbcnt_hi_u32_b32 v2, s35, v2
	v_cmp_eq_u32_e32 vcc, 0, v2
	s_and_b64 s[36:37], exec, vcc
	s_mov_b64 exec, s[36:37]
	s_cbranch_execz .LBB46_14
; %bb.37:                               ;   in Loop: Header=BB46_15 Depth=1
	ds_read_b32 v2, v9
	s_add_u32 s30, s14, s30
	s_addc_u32 s31, s15, s31
	s_bcnt1_i32_b64 s34, s[34:35]
	s_waitcnt lgkmcnt(0)
	v_mul_lo_u32 v2, v2, s48
	v_mul_lo_u32 v2, v2, s34
	global_atomic_add v9, v2, s[30:31]
	s_branch .LBB46_14
.LBB46_38:
	s_ashr_i32 s1, s25, 31
	s_mov_b32 s0, s25
	s_lshl_b64 s[0:1], s[0:1], 2
	s_add_u32 s0, s16, s0
	s_addc_u32 s1, s17, s1
	s_load_dword s0, s[0:1], 0x0
	s_waitcnt lgkmcnt(0)
	v_add_u32_e32 v2, s33, v6
	s_sub_i32 s12, s0, s26
	v_cmp_gt_i32_e32 vcc, s12, v2
	s_and_saveexec_b64 s[6:7], vcc
	s_cbranch_execz .LBB46_47
; %bb.39:
	s_add_i32 s13, s25, -1
	s_cmp_gt_i32 s13, s24
	s_cselect_b64 s[0:1], -1, 0
	s_add_i32 s2, s25, -2
	s_cmp_lg_u32 s2, s24
	s_cselect_b64 s[2:3], -1, 0
	s_and_b64 s[0:1], s[0:1], s[2:3]
	v_cndmask_b32_e64 v3, 0, 1, s[0:1]
	s_mov_b64 s[8:9], 0
	v_cmp_ne_u32_e64 s[0:1], 1, v3
	v_mov_b32_e32 v7, s17
	v_mov_b32_e32 v8, s19
	s_branch .LBB46_41
.LBB46_40:                              ;   in Loop: Header=BB46_41 Depth=1
	s_or_b64 exec, exec, s[2:3]
	v_add_u32_e32 v2, 0x100, v2
	v_cmp_le_i32_e32 vcc, s12, v2
	s_or_b64 s[8:9], vcc, s[8:9]
	s_andn2_b64 exec, exec, s[8:9]
	s_cbranch_execz .LBB46_47
.LBB46_41:                              ; =>This Loop Header: Depth=1
                                        ;     Child Loop BB46_43 Depth 2
	s_and_b64 vcc, exec, s[0:1]
	v_mov_b32_e32 v9, s24
	v_mov_b32_e32 v4, s13
	s_cbranch_vccnz .LBB46_45
; %bb.42:                               ;   in Loop: Header=BB46_41 Depth=1
	s_mov_b64 s[10:11], 0
	v_mov_b32_e32 v9, s24
	v_mov_b32_e32 v4, s13
.LBB46_43:                              ;   Parent Loop BB46_41 Depth=1
                                        ; =>  This Inner Loop Header: Depth=2
	v_add_u32_e32 v3, v4, v9
	v_lshrrev_b32_e32 v10, 31, v3
	v_add_u32_e32 v3, v3, v10
	v_ashrrev_i32_e32 v10, 1, v3
	v_ashrrev_i32_e32 v11, 31, v10
	v_lshlrev_b64 v[12:13], 2, v[10:11]
	v_mov_b32_e32 v5, s17
	v_add_co_u32_e32 v12, vcc, s16, v12
	v_addc_co_u32_e32 v13, vcc, v5, v13, vcc
	global_load_dword v3, v[12:13], off
	s_waitcnt vmcnt(0)
	v_subrev_u32_e32 v3, s26, v3
	v_cmp_gt_i32_e32 vcc, v3, v2
	v_cndmask_b32_e32 v4, v4, v10, vcc
	v_cndmask_b32_e32 v9, v10, v9, vcc
	v_add_u32_e32 v3, -1, v4
	v_cmp_ge_i32_e32 vcc, v9, v4
	v_cmp_eq_u32_e64 s[2:3], v9, v3
	s_or_b64 s[2:3], vcc, s[2:3]
	s_and_b64 s[2:3], exec, s[2:3]
	s_or_b64 s[10:11], s[2:3], s[10:11]
	s_andn2_b64 exec, exec, s[10:11]
	s_cbranch_execnz .LBB46_43
; %bb.44:                               ;   in Loop: Header=BB46_41 Depth=1
	s_or_b64 exec, exec, s[10:11]
.LBB46_45:                              ;   in Loop: Header=BB46_41 Depth=1
	v_ashrrev_i32_e32 v5, 31, v4
	v_lshlrev_b64 v[10:11], 2, v[4:5]
	v_add_co_u32_e32 v10, vcc, s16, v10
	v_addc_co_u32_e32 v11, vcc, v7, v11, vcc
	v_ashrrev_i32_e32 v3, 31, v2
	global_load_dword v5, v[10:11], off
	v_lshlrev_b64 v[10:11], 2, v[2:3]
	v_add_co_u32_e32 v10, vcc, s18, v10
	v_addc_co_u32_e32 v11, vcc, v8, v11, vcc
	global_load_dword v10, v[10:11], off
	s_waitcnt vmcnt(1)
	v_subrev_u32_e32 v5, s26, v5
	v_cmp_gt_i32_e32 vcc, v5, v2
	v_cndmask_b32_e32 v5, v4, v9, vcc
	s_waitcnt vmcnt(0)
	v_subrev_u32_e32 v4, s26, v10
	v_cmp_ne_u32_e32 vcc, v4, v5
	s_and_saveexec_b64 s[2:3], vcc
	s_cbranch_execz .LBB46_40
; %bb.46:                               ;   in Loop: Header=BB46_41 Depth=1
	v_mov_b32_e32 v9, s21
	v_add_co_u32_e32 v10, vcc, s20, v2
	v_addc_co_u32_e32 v11, vcc, v9, v3, vcc
	global_load_sbyte v3, v[10:11], off
	v_ashrrev_i32_e32 v9, 31, v5
	v_mov_b32_e32 v11, s23
	v_add_co_u32_e32 v10, vcc, s22, v5
	v_addc_co_u32_e32 v11, vcc, v11, v9, vcc
	global_load_sbyte v9, v[10:11], off
	v_ashrrev_i32_e32 v5, 31, v4
	v_lshlrev_b64 v[4:5], 2, v[4:5]
	v_mov_b32_e32 v10, s15
	v_add_co_u32_e32 v4, vcc, s14, v4
	v_addc_co_u32_e32 v5, vcc, v10, v5, vcc
	s_waitcnt vmcnt(1)
	v_mul_lo_u32 v3, s48, v3
	s_waitcnt vmcnt(0)
	v_mul_lo_u32 v3, v3, v9
	global_atomic_add v[4:5], v3, off
	s_branch .LBB46_40
.LBB46_47:
	s_or_b64 exec, exec, s[6:7]
	s_mov_b64 s[0:1], 0
.LBB46_48:
	s_and_b64 vcc, exec, s[0:1]
	s_cbranch_vccz .LBB46_197
; %bb.49:
	v_cvt_f32_u32_e32 v2, s27
	s_ashr_i32 s1, s24, 31
	s_mov_b32 s0, s24
	s_sub_i32 s2, 0, s27
	v_rcp_iflag_f32_e32 v2, v2
	s_lshl_b64 s[0:1], s[0:1], 2
	s_add_u32 s12, s16, s0
	s_addc_u32 s13, s17, s1
	v_mul_f32_e32 v2, 0x4f7ffffe, v2
	v_cvt_u32_f32_e32 v2, v2
	s_load_dword s33, s[12:13], 0x0
	s_load_dwordx2 s[28:29], s[4:5], 0x4
	s_load_dword s49, s[4:5], 0x64
	v_readfirstlane_b32 s50, v2
	s_waitcnt lgkmcnt(0)
	v_add_u32_e32 v2, s33, v6
	s_mul_i32 s2, s2, s50
	v_add_u32_e32 v8, 0x300, v2
	s_mul_hi_u32 s51, s50, s2
	v_cmp_le_i32_e32 vcc, s28, v8
	s_and_saveexec_b64 s[0:1], vcc
	s_xor_b64 s[30:31], exec, s[0:1]
	s_cbranch_execz .LBB46_66
; %bb.50:
	s_ashr_i32 s1, s25, 31
	s_mov_b32 s0, s25
	s_lshl_b64 s[0:1], s[0:1], 2
	s_add_u32 s0, s16, s0
	s_addc_u32 s1, s17, s1
	s_load_dword s2, s[0:1], 0x0
	s_waitcnt lgkmcnt(0)
	s_sub_i32 s28, s2, s33
	v_cmp_gt_i32_e64 s[0:1], s28, v0
	s_and_saveexec_b64 s[34:35], s[0:1]
	s_cbranch_execz .LBB46_65
; %bb.51:
	v_xad_u32 v3, v0, -1, s2
	v_subrev_u32_e32 v4, s33, v3
	s_movk_i32 s0, 0xf00
	v_cmp_gt_u32_e64 s[36:37], s0, v4
	s_movk_i32 s0, 0xeff
	v_cmp_lt_u32_e64 s[0:1], s0, v4
	v_mov_b32_e32 v3, 0
	s_and_saveexec_b64 s[38:39], s[0:1]
	s_cbranch_execz .LBB46_62
; %bb.52:
	v_and_b32_e32 v3, 0xffffff00, v4
	v_add_u32_e32 v3, v2, v3
	v_cmp_ge_i32_e64 s[0:1], v3, v2
	s_mov_b64 s[2:3], -1
	v_mov_b32_e32 v3, 0
	s_and_saveexec_b64 s[40:41], s[0:1]
	s_cbranch_execz .LBB46_61
; %bb.53:
	v_lshrrev_b32_e32 v3, 8, v4
	v_add_u32_e32 v4, -1, v3
	v_lshrrev_b32_e32 v5, 1, v4
	s_movk_i32 s43, 0x100
	s_mov_b32 s42, 0
	v_add_u32_e32 v6, 1, v5
	v_cmp_lt_u32_e64 s[0:1], 5, v4
	v_pk_mov_b32 v[4:5], s[42:43], s[42:43] op_sel:[0,1]
	s_and_saveexec_b64 s[44:45], s[0:1]
	s_cbranch_execz .LBB46_57
; %bb.54:
	v_and_b32_e32 v7, -4, v6
	s_mov_b64 s[46:47], 0
	v_mov_b32_e32 v9, s21
.LBB46_55:                              ; =>This Inner Loop Header: Depth=1
	v_add_u32_e32 v5, s42, v2
	v_add_u32_e32 v4, s43, v2
	s_add_i32 s52, s43, 0x200
	s_add_i32 s53, s42, 0x200
	v_ashrrev_i32_e32 v12, 31, v4
	v_ashrrev_i32_e32 v11, 31, v5
	v_add_co_u32_e64 v4, s[0:1], s20, v4
	v_add_co_u32_e64 v10, s[2:3], s20, v5
	s_add_i32 s54, s43, 0x400
	s_add_i32 s55, s42, 0x400
	;; [unrolled: 1-line block ×4, first 2 shown]
	v_add_u32_e32 v13, s53, v2
	v_add_u32_e32 v14, s52, v2
	v_addc_co_u32_e64 v11, s[2:3], v9, v11, s[2:3]
	v_addc_co_u32_e64 v5, s[0:1], v9, v12, s[0:1]
	v_add_u32_e32 v15, s55, v2
	v_add_u32_e32 v17, s54, v2
	;; [unrolled: 1-line block ×4, first 2 shown]
	v_ashrrev_i32_e32 v23, 31, v14
	v_ashrrev_i32_e32 v24, 31, v13
	v_add_co_u32_e64 v12, s[0:1], s20, v13
	v_add_co_u32_e64 v14, s[2:3], s20, v14
	global_load_sbyte v10, v[10:11], off
	s_nop 0
	global_load_sbyte v11, v[4:5], off
	v_ashrrev_i32_e32 v25, 31, v17
	v_ashrrev_i32_e32 v26, 31, v15
	v_add_co_u32_e64 v16, s[4:5], s20, v15
	v_add_co_u32_e64 v18, s[6:7], s20, v17
	v_ashrrev_i32_e32 v27, 31, v21
	v_ashrrev_i32_e32 v28, 31, v19
	v_add_co_u32_e64 v20, s[8:9], s20, v19
	v_add_co_u32_e64 v22, s[10:11], s20, v21
	v_addc_co_u32_e64 v13, s[0:1], v9, v24, s[0:1]
	v_addc_co_u32_e64 v15, s[0:1], v9, v23, s[2:3]
	v_addc_co_u32_e64 v17, s[0:1], v9, v26, s[4:5]
	v_addc_co_u32_e64 v19, s[0:1], v9, v25, s[6:7]
	v_addc_co_u32_e64 v21, s[0:1], v9, v28, s[8:9]
	v_addc_co_u32_e64 v23, s[0:1], v9, v27, s[10:11]
	global_load_sbyte v14, v[14:15], off
	s_nop 0
	global_load_sbyte v15, v[12:13], off
	global_load_sbyte v24, v[18:19], off
	;; [unrolled: 1-line block ×5, first 2 shown]
	v_add_u32_e32 v7, -4, v7
	v_add_lshl_u32 v12, s42, v0, 2
	v_add_lshl_u32 v13, s43, v0, 2
	s_addk_i32 s43, 0x800
	s_addk_i32 s42, 0x800
	v_cmp_eq_u32_e64 s[0:1], 0, v7
	v_add_lshl_u32 v16, s53, v0, 2
	v_pk_mov_b32 v[4:5], s[42:43], s[42:43] op_sel:[0,1]
	s_or_b64 s[46:47], s[0:1], s[46:47]
	v_add_lshl_u32 v17, s52, v0, 2
	v_add_lshl_u32 v18, s55, v0, 2
	;; [unrolled: 1-line block ×5, first 2 shown]
	s_waitcnt vmcnt(7)
	v_mul_lo_u32 v10, s48, v10
	s_waitcnt vmcnt(6)
	v_mul_lo_u32 v11, s48, v11
	ds_write_b32 v12, v10
	ds_write_b32 v13, v11
	s_waitcnt vmcnt(5)
	v_mul_lo_u32 v10, s48, v14
	s_waitcnt vmcnt(4)
	v_mul_lo_u32 v11, s48, v15
	;; [unrolled: 2-line block ×6, first 2 shown]
	ds_write_b32 v16, v11
	ds_write_b32 v17, v10
	;; [unrolled: 1-line block ×6, first 2 shown]
	s_andn2_b64 exec, exec, s[46:47]
	s_cbranch_execnz .LBB46_55
; %bb.56:
	s_or_b64 exec, exec, s[46:47]
.LBB46_57:
	s_or_b64 exec, exec, s[44:45]
	v_and_b32_e32 v6, 3, v6
	v_cmp_ne_u32_e64 s[0:1], 0, v6
	s_and_saveexec_b64 s[4:5], s[0:1]
	s_cbranch_execz .LBB46_60
; %bb.58:
	s_mov_b64 s[6:7], 0
	v_mov_b32_e32 v7, s21
.LBB46_59:                              ; =>This Inner Loop Header: Depth=1
	v_add_u32_e32 v10, v5, v2
	v_add_u32_e32 v9, v4, v2
	v_ashrrev_i32_e32 v11, 31, v10
	v_add_co_u32_e64 v10, s[0:1], s20, v10
	v_ashrrev_i32_e32 v13, 31, v9
	v_add_co_u32_e64 v12, s[2:3], s20, v9
	v_addc_co_u32_e64 v11, s[0:1], v7, v11, s[0:1]
	v_addc_co_u32_e64 v13, s[2:3], v7, v13, s[2:3]
	global_load_sbyte v9, v[10:11], off
	global_load_sbyte v14, v[12:13], off
	v_add_u32_e32 v6, -1, v6
	v_cmp_eq_u32_e64 s[0:1], 0, v6
	v_add_lshl_u32 v10, v4, v0, 2
	v_add_lshl_u32 v11, v5, v0, 2
	v_add_u32_e32 v5, 0x200, v5
	v_add_u32_e32 v4, 0x200, v4
	s_or_b64 s[6:7], s[0:1], s[6:7]
	s_waitcnt vmcnt(1)
	v_mul_lo_u32 v9, s48, v9
	s_waitcnt vmcnt(0)
	v_mul_lo_u32 v12, s48, v14
	ds_write_b32 v10, v12
	ds_write_b32 v11, v9
	s_andn2_b64 exec, exec, s[6:7]
	s_cbranch_execnz .LBB46_59
.LBB46_60:
	s_or_b64 exec, exec, s[4:5]
	v_add_u32_e32 v4, 1, v3
	v_and_b32_e32 v5, 0x1fffffe, v4
	v_cmp_ne_u32_e64 s[0:1], v4, v5
	v_lshlrev_b32_e32 v3, 8, v5
	s_orn2_b64 s[2:3], s[0:1], exec
.LBB46_61:
	s_or_b64 exec, exec, s[40:41]
	s_andn2_b64 s[0:1], s[36:37], exec
	s_and_b64 s[2:3], s[2:3], exec
	s_or_b64 s[36:37], s[0:1], s[2:3]
.LBB46_62:
	s_or_b64 exec, exec, s[38:39]
	s_and_b64 exec, exec, s[36:37]
	s_cbranch_execz .LBB46_65
; %bb.63:
	v_lshlrev_b32_e32 v4, 2, v3
	v_lshl_add_u32 v4, v0, 2, v4
	v_add_u32_e32 v3, v0, v3
	s_sub_i32 s4, s33, s26
	s_mov_b64 s[2:3], 0
	v_mov_b32_e32 v5, s21
.LBB46_64:                              ; =>This Inner Loop Header: Depth=1
	v_add_u32_e32 v6, s4, v3
	v_ashrrev_i32_e32 v7, 31, v6
	v_add_co_u32_e64 v6, s[0:1], s20, v6
	v_addc_co_u32_e64 v7, s[0:1], v5, v7, s[0:1]
	global_load_sbyte v6, v[6:7], off
	v_add_u32_e32 v3, 0x100, v3
	v_cmp_le_i32_e64 s[0:1], s28, v3
	s_or_b64 s[2:3], s[0:1], s[2:3]
	s_waitcnt vmcnt(0)
	v_mul_lo_u32 v6, s48, v6
	ds_write_b32 v4, v6
	v_add_u32_e32 v4, 0x400, v4
	s_andn2_b64 exec, exec, s[2:3]
	s_cbranch_execnz .LBB46_64
.LBB46_65:
	s_or_b64 exec, exec, s[34:35]
.LBB46_66:
	s_or_saveexec_b64 s[2:3], s[30:31]
	s_and_b32 s28, s49, 0xffff
	s_add_i32 s50, s50, s51
	v_ashrrev_i32_e32 v3, 31, v2
	s_xor_b64 exec, exec, s[2:3]
	s_cbranch_execz .LBB46_68
; %bb.67:
	v_mov_b32_e32 v5, s21
	v_add_co_u32_e64 v4, s[0:1], s20, v2
	v_addc_co_u32_e64 v5, s[0:1], v5, v3, s[0:1]
	global_load_sbyte v6, v[4:5], off
	global_load_sbyte v7, v[4:5], off offset:256
	global_load_sbyte v9, v[4:5], off offset:512
	;; [unrolled: 1-line block ×3, first 2 shown]
	s_waitcnt vmcnt(3)
	v_mul_lo_u32 v4, s48, v6
	s_waitcnt vmcnt(2)
	v_mul_lo_u32 v5, s48, v7
	;; [unrolled: 2-line block ×4, first 2 shown]
	ds_write2st64_b32 v1, v4, v5 offset1:4
	ds_write2st64_b32 v1, v6, v7 offset0:8 offset1:12
.LBB46_68:
	s_or_b64 exec, exec, s[2:3]
	s_mul_hi_u32 s20, s28, s50
	v_cmp_gt_i32_e64 s[0:1], s29, v0
	s_and_saveexec_b64 s[2:3], s[0:1]
	s_cbranch_execz .LBB46_71
; %bb.69:
	v_mov_b32_e32 v4, 0x1000
	v_lshl_add_u32 v4, v0, 2, v4
	s_mov_b64 s[4:5], 0
	v_mov_b32_e32 v5, 0
	v_mov_b32_e32 v6, v0
.LBB46_70:                              ; =>This Inner Loop Header: Depth=1
	v_add_u32_e32 v6, 0x100, v6
	v_cmp_le_i32_e64 s[0:1], s29, v6
	ds_write_b32 v4, v5
	s_or_b64 s[4:5], s[0:1], s[4:5]
	v_add_u32_e32 v4, 0x400, v4
	s_andn2_b64 exec, exec, s[4:5]
	s_cbranch_execnz .LBB46_70
.LBB46_71:
	s_or_b64 exec, exec, s[2:3]
	s_sub_i32 s0, s25, s29
	s_cmp_ge_i32 s25, s29
	s_cselect_b32 s21, s0, 0
	s_waitcnt lgkmcnt(0)
	s_barrier
	s_and_saveexec_b64 s[0:1], vcc
	s_xor_b64 s[4:5], exec, s[0:1]
	s_cbranch_execz .LBB46_88
; %bb.72:
	s_ashr_i32 s1, s25, 31
	s_mov_b32 s0, s25
	s_lshl_b64 s[0:1], s[0:1], 2
	s_add_u32 s0, s16, s0
	s_addc_u32 s1, s17, s1
	s_load_dword s0, s[0:1], 0x0
	s_waitcnt lgkmcnt(0)
	s_sub_i32 s30, s0, s33
	v_cmp_gt_i32_e32 vcc, s30, v0
	s_and_saveexec_b64 s[6:7], vcc
	s_cbranch_execz .LBB46_87
; %bb.73:
	s_add_i32 s31, s25, -1
	s_cmp_gt_i32 s31, s24
	s_cselect_b64 s[2:3], -1, 0
	s_add_i32 s1, s25, -2
	s_cmp_lg_u32 s1, s24
	s_cselect_b64 s[10:11], -1, 0
	s_sub_i32 s34, s0, s26
	s_and_b64 s[0:1], s[2:3], s[10:11]
	v_cndmask_b32_e64 v3, 0, 1, s[0:1]
	s_mov_b32 s35, 0
	s_mov_b64 s[8:9], 0
	v_cmp_ne_u32_e64 s[0:1], 1, v3
	v_mov_b32_e32 v3, s17
	v_mov_b32_e32 v10, s19
	;; [unrolled: 1-line block ×4, first 2 shown]
	s_branch .LBB46_76
.LBB46_74:                              ;   in Loop: Header=BB46_76 Depth=1
	s_or_b64 exec, exec, s[2:3]
.LBB46_75:                              ;   in Loop: Header=BB46_76 Depth=1
	s_or_b64 exec, exec, s[10:11]
	v_ashrrev_i32_e32 v7, 31, v6
	v_add_co_u32_e32 v6, vcc, s22, v6
	v_addc_co_u32_e32 v7, vcc, v11, v7, vcc
	global_load_sbyte v6, v[6:7], off
	s_addk_i32 s35, 0x100
	v_add_u32_e32 v7, s35, v0
	v_cmp_le_i32_e32 vcc, s30, v7
	s_or_b64 s[8:9], vcc, s[8:9]
	s_waitcnt vmcnt(0) lgkmcnt(0)
	v_mul_lo_u32 v5, v5, v6
	ds_write_b32 v4, v5
	s_andn2_b64 exec, exec, s[8:9]
	s_cbranch_execz .LBB46_87
.LBB46_76:                              ; =>This Loop Header: Depth=1
                                        ;     Child Loop BB46_78 Depth 2
	v_add_u32_e32 v4, s35, v2
	s_and_b64 vcc, exec, s[0:1]
	v_mov_b32_e32 v7, s24
	v_mov_b32_e32 v8, s31
	s_cbranch_vccnz .LBB46_80
; %bb.77:                               ;   in Loop: Header=BB46_76 Depth=1
	s_mov_b64 s[10:11], 0
	v_mov_b32_e32 v7, s24
	v_mov_b32_e32 v8, s31
.LBB46_78:                              ;   Parent Loop BB46_76 Depth=1
                                        ; =>  This Inner Loop Header: Depth=2
	v_add_u32_e32 v5, v8, v7
	v_lshrrev_b32_e32 v9, 31, v5
	v_add_u32_e32 v5, v5, v9
	v_ashrrev_i32_e32 v14, 1, v5
	v_ashrrev_i32_e32 v15, 31, v14
	v_lshlrev_b64 v[16:17], 2, v[14:15]
	v_mov_b32_e32 v6, s17
	v_add_co_u32_e32 v16, vcc, s16, v16
	v_addc_co_u32_e32 v17, vcc, v6, v17, vcc
	global_load_dword v5, v[16:17], off
	s_waitcnt vmcnt(0)
	v_subrev_u32_e32 v5, s26, v5
	v_cmp_gt_i32_e32 vcc, v5, v4
	v_cndmask_b32_e32 v8, v8, v14, vcc
	v_cndmask_b32_e32 v7, v14, v7, vcc
	v_add_u32_e32 v5, -1, v8
	v_cmp_ge_i32_e32 vcc, v7, v8
	v_cmp_eq_u32_e64 s[2:3], v7, v5
	s_or_b64 s[2:3], vcc, s[2:3]
	s_and_b64 s[2:3], exec, s[2:3]
	s_or_b64 s[10:11], s[2:3], s[10:11]
	s_andn2_b64 exec, exec, s[10:11]
	s_cbranch_execnz .LBB46_78
; %bb.79:                               ;   in Loop: Header=BB46_76 Depth=1
	s_or_b64 exec, exec, s[10:11]
.LBB46_80:                              ;   in Loop: Header=BB46_76 Depth=1
	v_ashrrev_i32_e32 v9, 31, v8
	v_lshlrev_b64 v[14:15], 2, v[8:9]
	v_add_co_u32_e32 v14, vcc, s16, v14
	v_addc_co_u32_e32 v15, vcc, v3, v15, vcc
	v_ashrrev_i32_e32 v5, 31, v4
	global_load_dword v6, v[14:15], off
	v_lshlrev_b64 v[14:15], 2, v[4:5]
	v_add_co_u32_e32 v14, vcc, s18, v14
	v_addc_co_u32_e32 v15, vcc, v10, v15, vcc
	global_load_dword v5, v[14:15], off
	v_cmp_le_i32_e32 vcc, s34, v4
	s_waitcnt vmcnt(1)
	v_subrev_u32_e32 v9, s26, v6
	v_cmp_gt_i32_e64 s[2:3], v9, v4
	v_cndmask_b32_e64 v7, v8, v7, s[2:3]
	v_lshl_add_u32 v4, s35, 2, v1
	s_waitcnt vmcnt(0)
	v_subrev_u32_e32 v6, s26, v5
	v_cmp_eq_u32_e64 s[2:3], v6, v7
	s_or_b64 s[2:3], s[2:3], vcc
                                        ; implicit-def: $vgpr5
	s_and_saveexec_b64 s[10:11], s[2:3]
	s_xor_b64 s[2:3], exec, s[10:11]
	s_cbranch_execz .LBB46_82
; %bb.81:                               ;   in Loop: Header=BB46_76 Depth=1
	ds_read_b32 v5, v4
                                        ; implicit-def: $vgpr7
.LBB46_82:                              ;   in Loop: Header=BB46_76 Depth=1
	s_andn2_saveexec_b64 s[10:11], s[2:3]
	s_cbranch_execz .LBB46_75
; %bb.83:                               ;   in Loop: Header=BB46_76 Depth=1
	s_waitcnt lgkmcnt(0)
	v_ashrrev_i32_e32 v5, 31, v7
	v_mov_b32_e32 v9, s23
	v_add_co_u32_e32 v8, vcc, s22, v7
	v_addc_co_u32_e32 v9, vcc, v9, v5, vcc
	global_load_sbyte v7, v[8:9], off
	ds_read_b32 v5, v4
	v_cmp_gt_i32_e32 vcc, s21, v6
	v_cmp_le_i32_e64 s[2:3], s25, v6
	s_or_b64 s[2:3], vcc, s[2:3]
	s_waitcnt vmcnt(0) lgkmcnt(0)
	v_mul_lo_u32 v8, v5, v7
	s_and_saveexec_b64 s[36:37], s[2:3]
	s_xor_b64 s[2:3], exec, s[36:37]
	s_cbranch_execz .LBB46_85
; %bb.84:                               ;   in Loop: Header=BB46_76 Depth=1
	v_ashrrev_i32_e32 v7, 31, v6
	v_lshlrev_b64 v[14:15], 2, v[6:7]
	v_mov_b32_e32 v7, s15
	v_add_co_u32_e32 v14, vcc, s14, v14
	v_addc_co_u32_e32 v15, vcc, v7, v15, vcc
	global_atomic_add v[14:15], v8, off
                                        ; implicit-def: $vgpr8
.LBB46_85:                              ;   in Loop: Header=BB46_76 Depth=1
	s_andn2_saveexec_b64 s[2:3], s[2:3]
	s_cbranch_execz .LBB46_74
; %bb.86:                               ;   in Loop: Header=BB46_76 Depth=1
	v_subrev_u32_e32 v7, s21, v6
	v_lshl_add_u32 v7, v7, 2, v12
	ds_add_u32 v7, v8
	s_branch .LBB46_74
.LBB46_87:
	s_or_b64 exec, exec, s[6:7]
                                        ; implicit-def: $vgpr8
                                        ; implicit-def: $vgpr2
.LBB46_88:
	s_andn2_saveexec_b64 s[4:5], s[4:5]
	s_cbranch_execz .LBB46_146
; %bb.89:
	s_add_i32 s30, s25, -1
	s_cmp_le_i32 s30, s24
	s_cselect_b64 s[0:1], -1, 0
	s_add_i32 s2, s25, -2
	s_cmp_eq_u32 s2, s24
	s_cselect_b64 s[2:3], -1, 0
	s_or_b64 s[2:3], s[0:1], s[2:3]
	s_and_b64 vcc, exec, s[2:3]
	v_mov_b32_e32 v9, s24
	v_mov_b32_e32 v6, s30
	s_cbranch_vccnz .LBB46_93
; %bb.90:
	s_mov_b64 s[6:7], 0
	v_mov_b32_e32 v9, s24
	v_mov_b32_e32 v6, s30
	;; [unrolled: 1-line block ×3, first 2 shown]
.LBB46_91:                              ; =>This Inner Loop Header: Depth=1
	v_add_u32_e32 v5, v6, v9
	v_lshrrev_b32_e32 v7, 31, v5
	v_add_u32_e32 v5, v5, v7
	v_ashrrev_i32_e32 v10, 1, v5
	v_ashrrev_i32_e32 v11, 31, v10
	v_lshlrev_b64 v[12:13], 2, v[10:11]
	v_add_co_u32_e32 v12, vcc, s16, v12
	v_addc_co_u32_e32 v13, vcc, v4, v13, vcc
	global_load_dword v5, v[12:13], off
	s_waitcnt vmcnt(0)
	v_subrev_u32_e32 v5, s26, v5
	v_cmp_gt_i32_e32 vcc, v5, v2
	v_cndmask_b32_e32 v6, v6, v10, vcc
	v_cndmask_b32_e32 v9, v10, v9, vcc
	v_add_u32_e32 v5, -1, v6
	v_cmp_ge_i32_e32 vcc, v9, v6
	v_cmp_eq_u32_e64 s[0:1], v9, v5
	s_or_b64 s[0:1], vcc, s[0:1]
	s_and_b64 s[0:1], exec, s[0:1]
	s_or_b64 s[6:7], s[0:1], s[6:7]
	s_andn2_b64 exec, exec, s[6:7]
	s_cbranch_execnz .LBB46_91
; %bb.92:
	s_or_b64 exec, exec, s[6:7]
.LBB46_93:
	v_ashrrev_i32_e32 v7, 31, v6
	v_lshlrev_b64 v[4:5], 2, v[6:7]
	v_mov_b32_e32 v7, s17
	v_add_co_u32_e32 v4, vcc, s16, v4
	v_addc_co_u32_e32 v5, vcc, v7, v5, vcc
	global_load_dword v7, v[4:5], off
	v_lshlrev_b64 v[4:5], 2, v[2:3]
	v_mov_b32_e32 v3, s19
	v_add_co_u32_e32 v4, vcc, s18, v4
	v_addc_co_u32_e32 v5, vcc, v3, v5, vcc
	global_load_dword v3, v[4:5], off
	s_ashr_i32 s1, s25, 31
	s_mov_b32 s0, s25
	s_xor_b64 s[2:3], s[2:3], -1
	s_lshl_b64 s[0:1], s[0:1], 2
	s_add_u32 s6, s16, s0
	s_addc_u32 s7, s17, s1
	s_waitcnt vmcnt(1)
	v_subrev_u32_e32 v7, s26, v7
	v_cmp_gt_i32_e32 vcc, v7, v2
	v_cndmask_b32_e32 v7, v6, v9, vcc
	s_waitcnt vmcnt(0)
	v_subrev_u32_e32 v6, s26, v3
	v_cmp_ne_u32_e32 vcc, v6, v7
                                        ; implicit-def: $vgpr3
	s_and_saveexec_b64 s[0:1], vcc
	s_xor_b64 s[8:9], exec, s[0:1]
	s_cbranch_execz .LBB46_101
; %bb.94:
	s_load_dword s0, s[6:7], 0x0
	ds_read_b32 v3, v1
	s_waitcnt lgkmcnt(0)
	s_sub_i32 s0, s0, s26
	v_cmp_gt_i32_e32 vcc, s0, v2
	s_and_saveexec_b64 s[10:11], vcc
	s_cbranch_execz .LBB46_100
; %bb.95:
	v_ashrrev_i32_e32 v9, 31, v7
	v_mov_b32_e32 v11, s23
	v_add_co_u32_e32 v10, vcc, s22, v7
	v_addc_co_u32_e32 v11, vcc, v11, v9, vcc
	global_load_sbyte v7, v[10:11], off
	v_cmp_gt_i32_e32 vcc, s21, v6
	v_cmp_le_i32_e64 s[0:1], s25, v6
	s_or_b64 s[0:1], vcc, s[0:1]
	s_waitcnt vmcnt(0)
	v_mul_lo_u32 v9, v3, v7
	s_and_saveexec_b64 s[18:19], s[0:1]
	s_xor_b64 s[0:1], exec, s[18:19]
	s_cbranch_execz .LBB46_97
; %bb.96:
	v_ashrrev_i32_e32 v7, 31, v6
	v_lshlrev_b64 v[10:11], 2, v[6:7]
	v_mov_b32_e32 v7, s15
	v_add_co_u32_e32 v10, vcc, s14, v10
	v_addc_co_u32_e32 v11, vcc, v7, v11, vcc
	global_atomic_add v[10:11], v9, off
                                        ; implicit-def: $vgpr9
.LBB46_97:
	s_andn2_saveexec_b64 s[0:1], s[0:1]
	s_cbranch_execz .LBB46_99
; %bb.98:
	v_subrev_u32_e32 v7, s21, v6
	v_mov_b32_e32 v10, 0x1000
	v_lshl_add_u32 v7, v7, 2, v10
	ds_add_u32 v7, v9
.LBB46_99:
	s_or_b64 exec, exec, s[0:1]
.LBB46_100:
	s_or_b64 exec, exec, s[10:11]
.LBB46_101:
	s_andn2_saveexec_b64 s[0:1], s[8:9]
	s_cbranch_execz .LBB46_103
; %bb.102:
	ds_read_b32 v3, v1
.LBB46_103:
	s_or_b64 exec, exec, s[0:1]
	v_ashrrev_i32_e32 v7, 31, v6
	v_mov_b32_e32 v9, s23
	v_add_co_u32_e32 v6, vcc, s22, v6
	v_addc_co_u32_e32 v7, vcc, v9, v7, vcc
	global_load_sbyte v6, v[6:7], off
	v_cndmask_b32_e64 v7, 0, 1, s[2:3]
	v_add_u32_e32 v9, 0x100, v2
	v_mov_b32_e32 v10, s24
	v_cmp_ne_u32_e64 s[0:1], 1, v7
	s_andn2_b64 vcc, exec, s[2:3]
	s_waitcnt vmcnt(0) lgkmcnt(0)
	v_mul_lo_u32 v3, v3, v6
	v_mov_b32_e32 v6, s30
	ds_write_b32 v1, v3
	s_cbranch_vccnz .LBB46_107
; %bb.104:
	s_mov_b64 s[8:9], 0
	v_mov_b32_e32 v10, s24
	v_mov_b32_e32 v6, s30
	;; [unrolled: 1-line block ×3, first 2 shown]
.LBB46_105:                             ; =>This Inner Loop Header: Depth=1
	v_add_u32_e32 v7, v6, v10
	v_lshrrev_b32_e32 v11, 31, v7
	v_add_u32_e32 v7, v7, v11
	v_ashrrev_i32_e32 v12, 1, v7
	v_ashrrev_i32_e32 v13, 31, v12
	v_lshlrev_b64 v[14:15], 2, v[12:13]
	v_add_co_u32_e32 v14, vcc, s16, v14
	v_addc_co_u32_e32 v15, vcc, v3, v15, vcc
	global_load_dword v7, v[14:15], off
	s_waitcnt vmcnt(0)
	v_subrev_u32_e32 v7, s26, v7
	v_cmp_gt_i32_e32 vcc, v7, v9
	v_cndmask_b32_e32 v6, v6, v12, vcc
	v_cndmask_b32_e32 v10, v12, v10, vcc
	v_add_u32_e32 v7, -1, v6
	v_cmp_ge_i32_e32 vcc, v10, v6
	v_cmp_eq_u32_e64 s[2:3], v10, v7
	s_or_b64 s[2:3], vcc, s[2:3]
	s_and_b64 s[2:3], exec, s[2:3]
	s_or_b64 s[8:9], s[2:3], s[8:9]
	s_andn2_b64 exec, exec, s[8:9]
	s_cbranch_execnz .LBB46_105
; %bb.106:
	s_or_b64 exec, exec, s[8:9]
.LBB46_107:
	v_ashrrev_i32_e32 v7, 31, v6
	v_lshlrev_b64 v[12:13], 2, v[6:7]
	v_mov_b32_e32 v3, s17
	v_add_co_u32_e32 v12, vcc, s16, v12
	v_addc_co_u32_e32 v13, vcc, v3, v13, vcc
	global_load_dword v3, v[12:13], off
	global_load_dword v11, v[4:5], off offset:1024
	s_waitcnt vmcnt(1)
	v_subrev_u32_e32 v3, s26, v3
	v_cmp_gt_i32_e32 vcc, v3, v9
	v_cndmask_b32_e32 v7, v6, v10, vcc
	s_waitcnt vmcnt(0)
	v_subrev_u32_e32 v6, s26, v11
	v_cmp_ne_u32_e32 vcc, v6, v7
                                        ; implicit-def: $vgpr3
	s_and_saveexec_b64 s[2:3], vcc
	s_xor_b64 s[8:9], exec, s[2:3]
	s_cbranch_execz .LBB46_115
; %bb.108:
	s_load_dword s2, s[6:7], 0x0
	ds_read_b32 v3, v1 offset:1024
	s_waitcnt lgkmcnt(0)
	s_sub_i32 s2, s2, s26
	v_cmp_gt_i32_e32 vcc, s2, v9
	s_and_saveexec_b64 s[10:11], vcc
	s_cbranch_execz .LBB46_114
; %bb.109:
	v_ashrrev_i32_e32 v9, 31, v7
	v_mov_b32_e32 v11, s23
	v_add_co_u32_e32 v10, vcc, s22, v7
	v_addc_co_u32_e32 v11, vcc, v11, v9, vcc
	global_load_sbyte v7, v[10:11], off
	v_cmp_gt_i32_e32 vcc, s21, v6
	v_cmp_le_i32_e64 s[2:3], s25, v6
	s_or_b64 s[2:3], vcc, s[2:3]
	s_waitcnt vmcnt(0)
	v_mul_lo_u32 v9, v3, v7
	s_and_saveexec_b64 s[18:19], s[2:3]
	s_xor_b64 s[2:3], exec, s[18:19]
	s_cbranch_execz .LBB46_111
; %bb.110:
	v_ashrrev_i32_e32 v7, 31, v6
	v_lshlrev_b64 v[10:11], 2, v[6:7]
	v_mov_b32_e32 v7, s15
	v_add_co_u32_e32 v10, vcc, s14, v10
	v_addc_co_u32_e32 v11, vcc, v7, v11, vcc
	global_atomic_add v[10:11], v9, off
                                        ; implicit-def: $vgpr9
.LBB46_111:
	s_andn2_saveexec_b64 s[2:3], s[2:3]
	s_cbranch_execz .LBB46_113
; %bb.112:
	v_subrev_u32_e32 v7, s21, v6
	v_mov_b32_e32 v10, 0x1000
	v_lshl_add_u32 v7, v7, 2, v10
	ds_add_u32 v7, v9
.LBB46_113:
	s_or_b64 exec, exec, s[2:3]
.LBB46_114:
	s_or_b64 exec, exec, s[10:11]
.LBB46_115:
	s_andn2_saveexec_b64 s[2:3], s[8:9]
	s_cbranch_execz .LBB46_117
; %bb.116:
	ds_read_b32 v3, v1 offset:1024
.LBB46_117:
	s_or_b64 exec, exec, s[2:3]
	v_ashrrev_i32_e32 v7, 31, v6
	v_mov_b32_e32 v9, s23
	v_add_co_u32_e32 v6, vcc, s22, v6
	v_addc_co_u32_e32 v7, vcc, v9, v7, vcc
	global_load_sbyte v9, v[6:7], off
	v_add_u32_e32 v7, 0x200, v2
	s_and_b64 vcc, exec, s[0:1]
	v_mov_b32_e32 v6, s24
	s_waitcnt vmcnt(0) lgkmcnt(0)
	v_mul_lo_u32 v2, v3, v9
	ds_write_b32 v1, v2 offset:1024
	v_mov_b32_e32 v2, s30
	s_cbranch_vccnz .LBB46_121
; %bb.118:
	s_mov_b64 s[8:9], 0
	v_mov_b32_e32 v6, s24
	v_mov_b32_e32 v2, s30
	v_mov_b32_e32 v3, s17
.LBB46_119:                             ; =>This Inner Loop Header: Depth=1
	v_add_u32_e32 v9, v2, v6
	v_lshrrev_b32_e32 v10, 31, v9
	v_add_u32_e32 v9, v9, v10
	v_ashrrev_i32_e32 v10, 1, v9
	v_ashrrev_i32_e32 v11, 31, v10
	v_lshlrev_b64 v[12:13], 2, v[10:11]
	v_add_co_u32_e32 v12, vcc, s16, v12
	v_addc_co_u32_e32 v13, vcc, v3, v13, vcc
	global_load_dword v9, v[12:13], off
	s_waitcnt vmcnt(0)
	v_subrev_u32_e32 v9, s26, v9
	v_cmp_gt_i32_e32 vcc, v9, v7
	v_cndmask_b32_e32 v2, v2, v10, vcc
	v_cndmask_b32_e32 v6, v10, v6, vcc
	v_add_u32_e32 v9, -1, v2
	v_cmp_ge_i32_e32 vcc, v6, v2
	v_cmp_eq_u32_e64 s[2:3], v6, v9
	s_or_b64 s[2:3], vcc, s[2:3]
	s_and_b64 s[2:3], exec, s[2:3]
	s_or_b64 s[8:9], s[2:3], s[8:9]
	s_andn2_b64 exec, exec, s[8:9]
	s_cbranch_execnz .LBB46_119
; %bb.120:
	s_or_b64 exec, exec, s[8:9]
.LBB46_121:
	v_ashrrev_i32_e32 v3, 31, v2
	v_lshlrev_b64 v[10:11], 2, v[2:3]
	v_mov_b32_e32 v3, s17
	v_add_co_u32_e32 v10, vcc, s16, v10
	v_addc_co_u32_e32 v11, vcc, v3, v11, vcc
	global_load_dword v3, v[10:11], off
	global_load_dword v9, v[4:5], off offset:2048
	s_waitcnt vmcnt(1)
	v_subrev_u32_e32 v3, s26, v3
	v_cmp_gt_i32_e32 vcc, v3, v7
	v_cndmask_b32_e32 v3, v2, v6, vcc
	s_waitcnt vmcnt(0)
	v_subrev_u32_e32 v2, s26, v9
	v_cmp_ne_u32_e32 vcc, v2, v3
                                        ; implicit-def: $vgpr6
	s_and_saveexec_b64 s[2:3], vcc
	s_xor_b64 s[8:9], exec, s[2:3]
	s_cbranch_execz .LBB46_129
; %bb.122:
	s_load_dword s2, s[6:7], 0x0
	ds_read_b32 v6, v1 offset:2048
	s_waitcnt lgkmcnt(0)
	s_sub_i32 s2, s2, s26
	v_cmp_gt_i32_e32 vcc, s2, v7
	s_and_saveexec_b64 s[10:11], vcc
	s_cbranch_execz .LBB46_128
; %bb.123:
	v_ashrrev_i32_e32 v7, 31, v3
	v_mov_b32_e32 v9, s23
	v_add_co_u32_e32 v10, vcc, s22, v3
	v_addc_co_u32_e32 v11, vcc, v9, v7, vcc
	global_load_sbyte v3, v[10:11], off
	v_cmp_gt_i32_e32 vcc, s21, v2
	v_cmp_le_i32_e64 s[2:3], s25, v2
	s_or_b64 s[2:3], vcc, s[2:3]
	s_waitcnt vmcnt(0)
	v_mul_lo_u32 v7, v6, v3
	s_and_saveexec_b64 s[18:19], s[2:3]
	s_xor_b64 s[2:3], exec, s[18:19]
	s_cbranch_execz .LBB46_125
; %bb.124:
	v_ashrrev_i32_e32 v3, 31, v2
	v_lshlrev_b64 v[10:11], 2, v[2:3]
	v_mov_b32_e32 v3, s15
	v_add_co_u32_e32 v10, vcc, s14, v10
	v_addc_co_u32_e32 v11, vcc, v3, v11, vcc
	global_atomic_add v[10:11], v7, off
                                        ; implicit-def: $vgpr7
.LBB46_125:
	s_andn2_saveexec_b64 s[2:3], s[2:3]
	s_cbranch_execz .LBB46_127
; %bb.126:
	v_subrev_u32_e32 v3, s21, v2
	v_mov_b32_e32 v9, 0x1000
	v_lshl_add_u32 v3, v3, 2, v9
	ds_add_u32 v3, v7
.LBB46_127:
	s_or_b64 exec, exec, s[2:3]
.LBB46_128:
	s_or_b64 exec, exec, s[10:11]
.LBB46_129:
	s_andn2_saveexec_b64 s[2:3], s[8:9]
	s_cbranch_execz .LBB46_131
; %bb.130:
	ds_read_b32 v6, v1 offset:2048
.LBB46_131:
	s_or_b64 exec, exec, s[2:3]
	v_ashrrev_i32_e32 v3, 31, v2
	v_mov_b32_e32 v7, s23
	v_add_co_u32_e32 v2, vcc, s22, v2
	v_addc_co_u32_e32 v3, vcc, v7, v3, vcc
	global_load_sbyte v2, v[2:3], off
	s_and_b64 vcc, exec, s[0:1]
	v_mov_b32_e32 v7, s24
	s_waitcnt vmcnt(0) lgkmcnt(0)
	v_mul_lo_u32 v2, v6, v2
	ds_write_b32 v1, v2 offset:2048
	v_mov_b32_e32 v2, s30
	s_cbranch_vccnz .LBB46_135
; %bb.132:
	s_mov_b64 s[2:3], 0
	v_mov_b32_e32 v7, s24
	v_mov_b32_e32 v2, s30
	;; [unrolled: 1-line block ×3, first 2 shown]
.LBB46_133:                             ; =>This Inner Loop Header: Depth=1
	v_add_u32_e32 v6, v2, v7
	v_lshrrev_b32_e32 v9, 31, v6
	v_add_u32_e32 v6, v6, v9
	v_ashrrev_i32_e32 v10, 1, v6
	v_ashrrev_i32_e32 v11, 31, v10
	v_lshlrev_b64 v[12:13], 2, v[10:11]
	v_add_co_u32_e32 v12, vcc, s16, v12
	v_addc_co_u32_e32 v13, vcc, v3, v13, vcc
	global_load_dword v6, v[12:13], off
	s_waitcnt vmcnt(0)
	v_subrev_u32_e32 v6, s26, v6
	v_cmp_gt_i32_e32 vcc, v6, v8
	v_cndmask_b32_e32 v2, v2, v10, vcc
	v_cndmask_b32_e32 v7, v10, v7, vcc
	v_add_u32_e32 v6, -1, v2
	v_cmp_ge_i32_e32 vcc, v7, v2
	v_cmp_eq_u32_e64 s[0:1], v7, v6
	s_or_b64 s[0:1], vcc, s[0:1]
	s_and_b64 s[0:1], exec, s[0:1]
	s_or_b64 s[2:3], s[0:1], s[2:3]
	s_andn2_b64 exec, exec, s[2:3]
	s_cbranch_execnz .LBB46_133
; %bb.134:
	s_or_b64 exec, exec, s[2:3]
.LBB46_135:
	v_ashrrev_i32_e32 v3, 31, v2
	v_lshlrev_b64 v[10:11], 2, v[2:3]
	v_mov_b32_e32 v3, s17
	v_add_co_u32_e32 v10, vcc, s16, v10
	v_addc_co_u32_e32 v11, vcc, v3, v11, vcc
	global_load_dword v3, v[10:11], off
	global_load_dword v6, v[4:5], off offset:3072
                                        ; implicit-def: $vgpr4
	s_waitcnt vmcnt(1)
	v_subrev_u32_e32 v3, s26, v3
	v_cmp_gt_i32_e32 vcc, v3, v8
	v_cndmask_b32_e32 v3, v2, v7, vcc
	s_waitcnt vmcnt(0)
	v_subrev_u32_e32 v2, s26, v6
	v_cmp_ne_u32_e32 vcc, v2, v3
	s_and_saveexec_b64 s[0:1], vcc
	s_xor_b64 s[2:3], exec, s[0:1]
	s_cbranch_execz .LBB46_143
; %bb.136:
	s_load_dword s0, s[6:7], 0x0
	ds_read_b32 v4, v1 offset:3072
	s_waitcnt lgkmcnt(0)
	s_sub_i32 s0, s0, s26
	v_cmp_gt_i32_e32 vcc, s0, v8
	s_and_saveexec_b64 s[6:7], vcc
	s_cbranch_execz .LBB46_142
; %bb.137:
	v_ashrrev_i32_e32 v5, 31, v3
	v_mov_b32_e32 v7, s23
	v_add_co_u32_e32 v6, vcc, s22, v3
	v_addc_co_u32_e32 v7, vcc, v7, v5, vcc
	global_load_sbyte v3, v[6:7], off
	v_cmp_gt_i32_e32 vcc, s21, v2
	v_cmp_le_i32_e64 s[0:1], s25, v2
	s_or_b64 s[0:1], vcc, s[0:1]
	s_waitcnt vmcnt(0)
	v_mul_lo_u32 v5, v4, v3
	s_and_saveexec_b64 s[8:9], s[0:1]
	s_xor_b64 s[0:1], exec, s[8:9]
	s_cbranch_execz .LBB46_139
; %bb.138:
	v_ashrrev_i32_e32 v3, 31, v2
	v_lshlrev_b64 v[6:7], 2, v[2:3]
	v_mov_b32_e32 v3, s15
	v_add_co_u32_e32 v6, vcc, s14, v6
	v_addc_co_u32_e32 v7, vcc, v3, v7, vcc
	global_atomic_add v[6:7], v5, off
                                        ; implicit-def: $vgpr5
.LBB46_139:
	s_andn2_saveexec_b64 s[0:1], s[0:1]
	s_cbranch_execz .LBB46_141
; %bb.140:
	v_subrev_u32_e32 v3, s21, v2
	v_mov_b32_e32 v6, 0x1000
	v_lshl_add_u32 v3, v3, 2, v6
	ds_add_u32 v3, v5
.LBB46_141:
	s_or_b64 exec, exec, s[0:1]
.LBB46_142:
	s_or_b64 exec, exec, s[6:7]
.LBB46_143:
	s_andn2_saveexec_b64 s[0:1], s[2:3]
	s_cbranch_execz .LBB46_145
; %bb.144:
	ds_read_b32 v4, v1 offset:3072
.LBB46_145:
	s_or_b64 exec, exec, s[0:1]
	v_ashrrev_i32_e32 v3, 31, v2
	v_mov_b32_e32 v5, s23
	v_add_co_u32_e32 v2, vcc, s22, v2
	v_addc_co_u32_e32 v3, vcc, v5, v3, vcc
	global_load_sbyte v2, v[2:3], off
	s_waitcnt vmcnt(0) lgkmcnt(0)
	v_mul_lo_u32 v2, v4, v2
	ds_write_b32 v1, v2 offset:3072
.LBB46_146:
	s_or_b64 exec, exec, s[4:5]
	s_min_i32 s4, s25, s29
	s_sub_i32 s22, s4, s27
	v_cmp_gt_i32_e32 vcc, s22, v0
	s_waitcnt lgkmcnt(0)
	s_barrier
	s_and_saveexec_b64 s[0:1], vcc
	s_cbranch_execz .LBB46_149
; %bb.147:
	v_mov_b32_e32 v2, 0x1000
	v_lshl_add_u32 v2, v0, 2, v2
	s_mov_b64 s[2:3], 0
	v_mov_b32_e32 v3, s15
	v_mov_b32_e32 v4, v0
.LBB46_148:                             ; =>This Inner Loop Header: Depth=1
	v_add_u32_e32 v6, s21, v4
	ds_read_b32 v5, v2
	v_ashrrev_i32_e32 v7, 31, v6
	v_lshlrev_b64 v[6:7], 2, v[6:7]
	v_add_co_u32_e32 v6, vcc, s14, v6
	v_addc_co_u32_e32 v7, vcc, v3, v7, vcc
	s_waitcnt lgkmcnt(0)
	global_atomic_add v[6:7], v5, off
	v_add_u32_e32 v4, 0x100, v4
	v_cmp_le_i32_e32 vcc, s22, v4
	s_or_b64 s[2:3], vcc, s[2:3]
	v_add_u32_e32 v2, 0x400, v2
	s_andn2_b64 exec, exec, s[2:3]
	s_cbranch_execnz .LBB46_148
.LBB46_149:
	s_or_b64 exec, exec, s[0:1]
	s_mul_i32 s0, s20, s27
	s_sub_i32 s0, s28, s0
	s_add_i32 s1, s20, 1
	s_sub_i32 s2, s0, s27
	s_cmp_ge_u32 s0, s27
	s_cselect_b32 s1, s1, s20
	s_cselect_b32 s0, s2, s0
	s_add_i32 s2, s1, 1
	s_cmp_ge_u32 s0, s27
	s_cselect_b32 s0, s2, s1
	s_add_i32 s0, s0, -1
	s_ashr_i32 s1, s0, 1
	s_or_b32 s0, s1, s0
	s_ashr_i32 s1, s0, 2
	s_or_b32 s0, s1, s0
	;; [unrolled: 2-line block ×5, first 2 shown]
	s_add_i32 s0, s0, 1
	s_ashr_i32 s20, s0, 1
	v_add_u32_e32 v2, s24, v0
	s_cmp_gt_i32 s20, 1
	s_mov_b64 s[0:1], -1
	s_barrier
	s_cbranch_scc1 .LBB46_170
; %bb.150:
	v_cmp_gt_i32_e32 vcc, s25, v2
	s_and_saveexec_b64 s[0:1], vcc
	s_cbranch_execz .LBB46_169
; %bb.151:
	s_sub_i32 s2, s4, s25
	s_lshl_b32 s2, s2, 2
	s_add_i32 s21, s2, 0x1000
	s_lshl_b32 s2, s33, 2
	s_sub_i32 s23, 0, s2
	s_sub_i32 s24, 0, s33
	s_mov_b64 s[2:3], 0
	v_mov_b32_e32 v3, s17
	v_mov_b32_e32 v4, v2
	s_branch .LBB46_154
.LBB46_152:                             ;   in Loop: Header=BB46_154 Depth=1
	s_or_b64 exec, exec, s[6:7]
.LBB46_153:                             ;   in Loop: Header=BB46_154 Depth=1
	s_or_b64 exec, exec, s[4:5]
	v_lshl_add_u32 v5, v4, 2, s21
	ds_read_b32 v5, v5
	v_mov_b32_e32 v8, s15
	v_add_co_u32_e32 v6, vcc, s14, v6
	v_addc_co_u32_e32 v7, vcc, v8, v7, vcc
	s_waitcnt lgkmcnt(0)
	v_add_u32_e32 v5, v5, v10
	global_atomic_add v[6:7], v5, off
	v_add_u32_e32 v4, s28, v4
	v_cmp_le_i32_e32 vcc, s25, v4
	s_or_b64 s[2:3], vcc, s[2:3]
	s_andn2_b64 exec, exec, s[2:3]
	s_cbranch_execz .LBB46_169
.LBB46_154:                             ; =>This Loop Header: Depth=1
                                        ;     Child Loop BB46_158 Depth 2
                                        ;     Child Loop BB46_162 Depth 2
	;; [unrolled: 1-line block ×3, first 2 shown]
	v_ashrrev_i32_e32 v5, 31, v4
	v_lshlrev_b64 v[6:7], 2, v[4:5]
	v_add_co_u32_e32 v8, vcc, s16, v6
	v_addc_co_u32_e32 v9, vcc, v3, v7, vcc
	global_load_dwordx2 v[8:9], v[8:9], off
	v_mov_b32_e32 v10, 0
	s_waitcnt vmcnt(0)
	v_cmp_lt_i32_e32 vcc, v8, v9
	s_and_saveexec_b64 s[4:5], vcc
	s_cbranch_execz .LBB46_153
; %bb.155:                              ;   in Loop: Header=BB46_154 Depth=1
	v_subrev_u32_e32 v5, s33, v9
	v_subrev_u32_e32 v9, s33, v8
	v_add_u32_e32 v10, 1, v9
	v_max_i32_e32 v10, v10, v5
	v_add_u32_e32 v10, s33, v10
	v_sub_u32_e32 v12, v10, v8
	v_cmp_lt_u32_e32 vcc, 1, v12
	s_mov_b64 s[8:9], -1
	v_mov_b32_e32 v10, 0
	s_and_saveexec_b64 s[6:7], vcc
	s_cbranch_execz .LBB46_165
; %bb.156:                              ;   in Loop: Header=BB46_154 Depth=1
	v_add_u32_e32 v10, -2, v12
	s_mov_b32 s10, 0
	v_lshrrev_b32_e32 v11, 1, v10
	s_mov_b32 s11, s10
	v_add_u32_e32 v13, 1, v11
	v_cmp_lt_u32_e32 vcc, 13, v10
	v_pk_mov_b32 v[10:11], s[10:11], s[10:11] op_sel:[0,1]
	v_mov_b32_e32 v16, 0
	s_and_saveexec_b64 s[8:9], vcc
	s_cbranch_execz .LBB46_160
; %bb.157:                              ;   in Loop: Header=BB46_154 Depth=1
	v_and_b32_e32 v14, -8, v13
	v_lshl_add_u32 v15, v8, 2, s23
	s_mov_b64 s[18:19], 0
	v_mov_b32_e32 v10, 0
	v_mov_b32_e32 v11, 0
.LBB46_158:                             ;   Parent Loop BB46_154 Depth=1
                                        ; =>  This Inner Loop Header: Depth=2
	ds_read2_b32 v[18:19], v15 offset1:1
	ds_read2_b32 v[20:21], v15 offset0:2 offset1:3
	ds_read2_b32 v[22:23], v15 offset0:4 offset1:5
	;; [unrolled: 1-line block ×7, first 2 shown]
	s_waitcnt lgkmcnt(6)
	v_add3_u32 v10, v18, v10, v20
	v_add3_u32 v11, v19, v11, v21
	v_add_u32_e32 v14, -8, v14
	s_waitcnt lgkmcnt(4)
	v_add3_u32 v11, v23, v11, v25
	v_add3_u32 v10, v22, v10, v24
	s_add_i32 s10, s10, 16
	v_cmp_eq_u32_e32 vcc, 0, v14
	s_waitcnt lgkmcnt(2)
	v_add3_u32 v10, v26, v10, v28
	v_add3_u32 v11, v27, v11, v29
	v_add_u32_e32 v15, 64, v15
	v_mov_b32_e32 v16, s10
	s_or_b64 s[18:19], vcc, s[18:19]
	s_waitcnt lgkmcnt(0)
	v_add3_u32 v11, v31, v11, v33
	v_add3_u32 v10, v30, v10, v32
	s_andn2_b64 exec, exec, s[18:19]
	s_cbranch_execnz .LBB46_158
; %bb.159:                              ;   in Loop: Header=BB46_154 Depth=1
	s_or_b64 exec, exec, s[18:19]
.LBB46_160:                             ;   in Loop: Header=BB46_154 Depth=1
	s_or_b64 exec, exec, s[8:9]
	v_and_b32_e32 v13, 7, v13
	v_cmp_ne_u32_e32 vcc, 0, v13
	s_and_saveexec_b64 s[8:9], vcc
	s_cbranch_execz .LBB46_164
; %bb.161:                              ;   in Loop: Header=BB46_154 Depth=1
	v_add_u32_e32 v8, s24, v8
	v_add_lshl_u32 v8, v8, v16, 2
	v_lshlrev_b32_e32 v13, 3, v13
	s_mov_b64 s[10:11], 0
.LBB46_162:                             ;   Parent Loop BB46_154 Depth=1
                                        ; =>  This Inner Loop Header: Depth=2
	ds_read2_b32 v[14:15], v8 offset1:1
	v_add_u32_e32 v13, -8, v13
	v_cmp_eq_u32_e32 vcc, 0, v13
	v_add_u32_e32 v8, 8, v8
	s_or_b64 s[10:11], vcc, s[10:11]
	s_waitcnt lgkmcnt(0)
	v_add_u32_e32 v11, v15, v11
	v_add_u32_e32 v10, v14, v10
	s_andn2_b64 exec, exec, s[10:11]
	s_cbranch_execnz .LBB46_162
; %bb.163:                              ;   in Loop: Header=BB46_154 Depth=1
	s_or_b64 exec, exec, s[10:11]
.LBB46_164:                             ;   in Loop: Header=BB46_154 Depth=1
	s_or_b64 exec, exec, s[8:9]
	v_and_b32_e32 v8, -2, v12
	v_cmp_ne_u32_e32 vcc, v12, v8
	v_add_u32_e32 v9, v9, v8
	v_add_u32_e32 v10, v10, v11
	s_orn2_b64 s[8:9], vcc, exec
.LBB46_165:                             ;   in Loop: Header=BB46_154 Depth=1
	s_or_b64 exec, exec, s[6:7]
	s_and_saveexec_b64 s[6:7], s[8:9]
	s_cbranch_execz .LBB46_152
; %bb.166:                              ;   in Loop: Header=BB46_154 Depth=1
	v_lshlrev_b32_e32 v8, 2, v9
	s_mov_b64 s[8:9], 0
.LBB46_167:                             ;   Parent Loop BB46_154 Depth=1
                                        ; =>  This Inner Loop Header: Depth=2
	ds_read_b32 v11, v8
	v_add_u32_e32 v9, 1, v9
	v_cmp_ge_i32_e32 vcc, v9, v5
	v_add_u32_e32 v8, 4, v8
	s_or_b64 s[8:9], vcc, s[8:9]
	s_waitcnt lgkmcnt(0)
	v_add_u32_e32 v10, v11, v10
	s_andn2_b64 exec, exec, s[8:9]
	s_cbranch_execnz .LBB46_167
; %bb.168:                              ;   in Loop: Header=BB46_154 Depth=1
	s_or_b64 exec, exec, s[8:9]
	s_branch .LBB46_152
.LBB46_169:
	s_or_b64 exec, exec, s[0:1]
	s_mov_b64 s[0:1], 0
.LBB46_170:
	s_andn2_b64 vcc, exec, s[0:1]
	s_cbranch_vccnz .LBB46_197
; %bb.171:
	v_cvt_f32_u32_e32 v3, s20
	s_sub_i32 s0, 0, s20
	v_mov_b32_e32 v8, 0
	v_rcp_iflag_f32_e32 v3, v3
	v_mul_f32_e32 v3, 0x4f7ffffe, v3
	v_cvt_u32_f32_e32 v3, v3
	v_mul_lo_u32 v4, s0, v3
	v_mul_hi_u32 v4, v3, v4
	v_add_u32_e32 v3, v3, v4
	v_mul_hi_u32 v3, v0, v3
	v_mul_lo_u32 v4, v3, s20
	v_sub_u32_e32 v4, v0, v4
	v_add_u32_e32 v5, 1, v3
	v_cmp_le_u32_e32 vcc, s20, v4
	v_cndmask_b32_e32 v3, v3, v5, vcc
	v_subrev_u32_e32 v5, s20, v4
	v_cndmask_b32_e32 v4, v4, v5, vcc
	v_add_u32_e32 v5, 1, v3
	v_cmp_le_u32_e32 vcc, s20, v4
	v_cndmask_b32_e32 v3, v3, v5, vcc
	v_lshlrev_b32_e32 v4, 2, v3
	global_load_dwordx2 v[6:7], v4, s[12:13]
	v_cmp_gt_i32_e32 vcc, s27, v3
	s_and_saveexec_b64 s[0:1], vcc
	s_cbranch_execz .LBB46_185
; %bb.172:
	s_abs_i32 s4, s20
	v_cvt_f32_u32_e32 v5, s4
	s_waitcnt vmcnt(0)
	v_subrev_u32_e32 v4, s33, v6
	v_subrev_u32_e32 v3, s33, v7
	v_sub_u32_e32 v7, v3, v4
	v_rcp_iflag_f32_e32 v5, v5
	s_sub_i32 s2, 0, s4
	v_sub_u32_e32 v8, 0, v7
	v_ashrrev_i32_e32 v10, 31, v7
	v_mul_f32_e32 v5, 0x4f7ffffe, v5
	v_cvt_u32_f32_e32 v5, v5
	v_max_i32_e32 v7, v7, v8
	s_ashr_i32 s5, s20, 31
	v_mul_lo_u32 v8, s2, v5
	v_mul_hi_u32 v8, v5, v8
	v_add_u32_e32 v5, v5, v8
	v_mad_u64_u32 v[8:9], s[2:3], v7, v5, 0
	v_mul_lo_u32 v8, v9, s4
	v_sub_u32_e32 v7, v7, v8
	v_add_u32_e32 v8, 1, v9
	v_cmp_le_u32_e32 vcc, s4, v7
	v_cndmask_b32_e32 v8, v9, v8, vcc
	v_subrev_u32_e32 v9, s4, v7
	v_cndmask_b32_e32 v7, v7, v9, vcc
	v_add_u32_e32 v9, 1, v8
	v_cmp_le_u32_e32 vcc, s4, v7
	v_xor_b32_e32 v5, s5, v10
	v_cndmask_b32_e32 v7, v8, v9, vcc
	v_xor_b32_e32 v7, v7, v5
	v_sub_u32_e32 v5, v7, v5
	s_add_i32 s2, s20, -1
	v_and_b32_e32 v7, s2, v0
	v_cmp_lt_i32_e32 vcc, 0, v5
	v_mov_b32_e32 v8, 0
	s_and_saveexec_b64 s[2:3], vcc
	s_cbranch_execz .LBB46_182
; %bb.173:
	v_cmp_lt_u32_e32 vcc, 7, v5
	s_mov_b32 s8, 0
	v_mov_b32_e32 v9, 0
	v_mov_b32_e32 v8, 0
	s_and_saveexec_b64 s[4:5], vcc
	s_cbranch_execz .LBB46_177
; %bb.174:
	v_add_u32_e32 v8, v6, v7
	v_subrev_u32_e32 v8, s33, v8
	v_and_b32_e32 v9, 0x7ffffff8, v5
	v_lshlrev_b32_e32 v10, 2, v8
	s_lshl_b32 s9, s20, 5
	s_lshl_b32 s10, s20, 2
	s_mov_b64 s[6:7], 0
	v_mov_b32_e32 v8, 0
.LBB46_175:                             ; =>This Inner Loop Header: Depth=1
	v_add_u32_e32 v12, s10, v10
	v_add_u32_e32 v13, s10, v12
	v_add_u32_e32 v14, s10, v13
	v_add_u32_e32 v15, s10, v14
	ds_read_b32 v11, v10
	ds_read_b32 v12, v12
	;; [unrolled: 1-line block ×4, first 2 shown]
	v_add_u32_e32 v16, s10, v15
	ds_read_b32 v15, v15
	v_add_u32_e32 v17, s10, v16
	ds_read_b32 v16, v16
	ds_read_b32 v18, v17
	v_add_u32_e32 v17, s10, v17
	ds_read_b32 v17, v17
	s_waitcnt lgkmcnt(6)
	v_add3_u32 v8, v11, v8, v12
	s_add_i32 s8, s8, 8
	s_waitcnt lgkmcnt(4)
	v_add3_u32 v8, v13, v8, v14
	v_cmp_eq_u32_e32 vcc, s8, v9
	s_waitcnt lgkmcnt(2)
	v_add3_u32 v8, v15, v8, v16
	v_add_u32_e32 v10, s9, v10
	s_or_b64 s[6:7], vcc, s[6:7]
	s_waitcnt lgkmcnt(0)
	v_add3_u32 v8, v18, v8, v17
	s_andn2_b64 exec, exec, s[6:7]
	s_cbranch_execnz .LBB46_175
; %bb.176:
	s_or_b64 exec, exec, s[6:7]
.LBB46_177:
	s_or_b64 exec, exec, s[4:5]
	v_and_b32_e32 v10, 7, v5
	v_cmp_ne_u32_e32 vcc, 0, v10
	s_and_saveexec_b64 s[4:5], vcc
	s_cbranch_execz .LBB46_181
; %bb.178:
	v_mul_lo_u32 v9, v9, s20
	v_add3_u32 v6, v6, v7, v9
	v_subrev_u32_e32 v6, s33, v6
	v_lshlrev_b32_e32 v6, 2, v6
	s_lshl_b32 s8, s20, 2
	s_mov_b64 s[6:7], 0
.LBB46_179:                             ; =>This Inner Loop Header: Depth=1
	ds_read_b32 v9, v6
	v_add_u32_e32 v10, -1, v10
	v_cmp_eq_u32_e32 vcc, 0, v10
	v_add_u32_e32 v6, s8, v6
	s_or_b64 s[6:7], vcc, s[6:7]
	s_waitcnt lgkmcnt(0)
	v_add_u32_e32 v8, v9, v8
	s_andn2_b64 exec, exec, s[6:7]
	s_cbranch_execnz .LBB46_179
; %bb.180:
	s_or_b64 exec, exec, s[6:7]
.LBB46_181:
	s_or_b64 exec, exec, s[4:5]
.LBB46_182:
	s_or_b64 exec, exec, s[2:3]
	v_mad_u64_u32 v[4:5], s[2:3], v5, s20, v[4:5]
	v_sub_u32_e32 v3, v3, v4
	v_cmp_lt_i32_e32 vcc, v7, v3
	s_and_saveexec_b64 s[2:3], vcc
	s_cbranch_execz .LBB46_184
; %bb.183:
	v_add_lshl_u32 v3, v4, v7, 2
	ds_read_b32 v3, v3
	s_waitcnt lgkmcnt(0)
	v_add_u32_e32 v8, v3, v8
.LBB46_184:
	s_or_b64 exec, exec, s[2:3]
.LBB46_185:
	s_or_b64 exec, exec, s[0:1]
	v_cmp_gt_i32_e32 vcc, s27, v0
	s_barrier
	ds_write_b32 v1, v8
	s_waitcnt lgkmcnt(0)
	s_barrier
	s_and_saveexec_b64 s[0:1], vcc
	s_cbranch_execz .LBB46_197
; %bb.186:
	s_add_i32 s3, s20, -2
	s_lshr_b32 s2, s3, 1
	s_add_i32 s2, s2, 1
	v_mul_lo_u32 v1, s20, v0
	s_mov_b32 s0, 0
	s_cmp_lt_u32 s3, 14
	s_cbranch_scc1 .LBB46_189
; %bb.187:
	s_and_b32 s1, s2, -8
	v_lshlrev_b32_e32 v3, 2, v1
	v_mov_b32_e32 v4, 0
	v_mov_b32_e32 v5, 0
.LBB46_188:                             ; =>This Inner Loop Header: Depth=1
	s_waitcnt vmcnt(0)
	ds_read2_b32 v[6:7], v3 offset1:1
	ds_read2_b32 v[8:9], v3 offset0:2 offset1:3
	ds_read2_b32 v[10:11], v3 offset0:4 offset1:5
	;; [unrolled: 1-line block ×7, first 2 shown]
	s_waitcnt lgkmcnt(6)
	v_add3_u32 v4, v6, v4, v8
	v_add3_u32 v5, v7, v5, v9
	s_waitcnt lgkmcnt(4)
	v_add3_u32 v5, v11, v5, v13
	v_add3_u32 v4, v10, v4, v12
	s_add_i32 s0, s0, 16
	s_add_i32 s1, s1, -8
	s_waitcnt lgkmcnt(2)
	v_add3_u32 v4, v14, v4, v16
	v_add3_u32 v5, v15, v5, v17
	v_add_u32_e32 v3, 64, v3
	s_cmp_lg_u32 s1, 0
	s_waitcnt lgkmcnt(0)
	v_add3_u32 v5, v19, v5, v21
	v_add3_u32 v4, v18, v4, v20
	s_cbranch_scc1 .LBB46_188
	s_branch .LBB46_190
.LBB46_189:
	s_mov_b32 s1, s0
	v_pk_mov_b32 v[4:5], s[0:1], s[0:1] op_sel:[0,1]
.LBB46_190:
	s_and_b32 s1, s2, 7
	s_cmp_eq_u32 s1, 0
	s_cbranch_scc1 .LBB46_193
; %bb.191:
	v_add_lshl_u32 v3, s0, v1, 2
.LBB46_192:                             ; =>This Inner Loop Header: Depth=1
	s_waitcnt vmcnt(0)
	ds_read2_b32 v[6:7], v3 offset1:1
	s_add_i32 s1, s1, -1
	v_add_u32_e32 v3, 8, v3
	s_cmp_lg_u32 s1, 0
	s_waitcnt lgkmcnt(0)
	v_add_u32_e32 v5, v7, v5
	v_add_u32_e32 v4, v6, v4
	s_cbranch_scc1 .LBB46_192
.LBB46_193:
	s_and_b32 s0, s20, 0x7ffffffe
	s_cmp_eq_u32 s20, s0
	v_add_u32_e32 v4, v4, v5
	s_cbranch_scc1 .LBB46_196
; %bb.194:
	s_lshl_b32 s1, s20, 2
	s_and_b32 s1, s1, -8
	s_sub_i32 s0, s20, s0
	v_lshl_add_u32 v1, v1, 2, s1
.LBB46_195:                             ; =>This Inner Loop Header: Depth=1
	ds_read_b32 v3, v1
	s_add_i32 s0, s0, -1
	v_add_u32_e32 v1, 4, v1
	s_cmp_eq_u32 s0, 0
	s_waitcnt lgkmcnt(0)
	v_add_u32_e32 v4, v3, v4
	s_cbranch_scc0 .LBB46_195
.LBB46_196:
	s_lshl_b32 s0, s22, 2
	s_addk_i32 s0, 0x1000
	v_lshl_add_u32 v0, v0, 2, s0
	ds_read_b32 v5, v0
	v_ashrrev_i32_e32 v3, 31, v2
	v_lshlrev_b64 v[0:1], 2, v[2:3]
	s_waitcnt vmcnt(0)
	v_mov_b32_e32 v6, s15
	v_add_co_u32_e32 v0, vcc, s14, v0
	s_waitcnt lgkmcnt(0)
	v_add_u32_e32 v2, v5, v4
	v_addc_co_u32_e32 v1, vcc, v6, v1, vcc
	global_atomic_add v[0:1], v2, off
.LBB46_197:
	s_endpgm
	.section	.rodata,"a",@progbits
	.p2align	6, 0x0
	.amdhsa_kernel _ZN9rocsparseL27csrmvn_symm_adaptive_kernelIiiaaiiEEvbT_S1_PKS1_NS_24const_host_device_scalarIT4_EES3_PKT0_PKT1_PKT2_S6_PT3_21rocsparse_index_base_b
		.amdhsa_group_segment_fixed_size 4096
		.amdhsa_private_segment_fixed_size 0
		.amdhsa_kernarg_size 344
		.amdhsa_user_sgpr_count 6
		.amdhsa_user_sgpr_private_segment_buffer 1
		.amdhsa_user_sgpr_dispatch_ptr 0
		.amdhsa_user_sgpr_queue_ptr 0
		.amdhsa_user_sgpr_kernarg_segment_ptr 1
		.amdhsa_user_sgpr_dispatch_id 0
		.amdhsa_user_sgpr_flat_scratch_init 0
		.amdhsa_user_sgpr_kernarg_preload_length 0
		.amdhsa_user_sgpr_kernarg_preload_offset 0
		.amdhsa_user_sgpr_private_segment_size 0
		.amdhsa_uses_dynamic_stack 0
		.amdhsa_system_sgpr_private_segment_wavefront_offset 0
		.amdhsa_system_sgpr_workgroup_id_x 1
		.amdhsa_system_sgpr_workgroup_id_y 0
		.amdhsa_system_sgpr_workgroup_id_z 0
		.amdhsa_system_sgpr_workgroup_info 0
		.amdhsa_system_vgpr_workitem_id 0
		.amdhsa_next_free_vgpr 34
		.amdhsa_next_free_sgpr 58
		.amdhsa_accum_offset 36
		.amdhsa_reserve_vcc 1
		.amdhsa_reserve_flat_scratch 0
		.amdhsa_float_round_mode_32 0
		.amdhsa_float_round_mode_16_64 0
		.amdhsa_float_denorm_mode_32 3
		.amdhsa_float_denorm_mode_16_64 3
		.amdhsa_dx10_clamp 1
		.amdhsa_ieee_mode 1
		.amdhsa_fp16_overflow 0
		.amdhsa_tg_split 0
		.amdhsa_exception_fp_ieee_invalid_op 0
		.amdhsa_exception_fp_denorm_src 0
		.amdhsa_exception_fp_ieee_div_zero 0
		.amdhsa_exception_fp_ieee_overflow 0
		.amdhsa_exception_fp_ieee_underflow 0
		.amdhsa_exception_fp_ieee_inexact 0
		.amdhsa_exception_int_div_zero 0
	.end_amdhsa_kernel
	.section	.text._ZN9rocsparseL27csrmvn_symm_adaptive_kernelIiiaaiiEEvbT_S1_PKS1_NS_24const_host_device_scalarIT4_EES3_PKT0_PKT1_PKT2_S6_PT3_21rocsparse_index_base_b,"axG",@progbits,_ZN9rocsparseL27csrmvn_symm_adaptive_kernelIiiaaiiEEvbT_S1_PKS1_NS_24const_host_device_scalarIT4_EES3_PKT0_PKT1_PKT2_S6_PT3_21rocsparse_index_base_b,comdat
.Lfunc_end46:
	.size	_ZN9rocsparseL27csrmvn_symm_adaptive_kernelIiiaaiiEEvbT_S1_PKS1_NS_24const_host_device_scalarIT4_EES3_PKT0_PKT1_PKT2_S6_PT3_21rocsparse_index_base_b, .Lfunc_end46-_ZN9rocsparseL27csrmvn_symm_adaptive_kernelIiiaaiiEEvbT_S1_PKS1_NS_24const_host_device_scalarIT4_EES3_PKT0_PKT1_PKT2_S6_PT3_21rocsparse_index_base_b
                                        ; -- End function
	.section	.AMDGPU.csdata,"",@progbits
; Kernel info:
; codeLenInByte = 8112
; NumSgprs: 62
; NumVgprs: 34
; NumAgprs: 0
; TotalNumVgprs: 34
; ScratchSize: 0
; MemoryBound: 0
; FloatMode: 240
; IeeeMode: 1
; LDSByteSize: 4096 bytes/workgroup (compile time only)
; SGPRBlocks: 7
; VGPRBlocks: 4
; NumSGPRsForWavesPerEU: 62
; NumVGPRsForWavesPerEU: 34
; AccumOffset: 36
; Occupancy: 8
; WaveLimiterHint : 1
; COMPUTE_PGM_RSRC2:SCRATCH_EN: 0
; COMPUTE_PGM_RSRC2:USER_SGPR: 6
; COMPUTE_PGM_RSRC2:TRAP_HANDLER: 0
; COMPUTE_PGM_RSRC2:TGID_X_EN: 1
; COMPUTE_PGM_RSRC2:TGID_Y_EN: 0
; COMPUTE_PGM_RSRC2:TGID_Z_EN: 0
; COMPUTE_PGM_RSRC2:TIDIG_COMP_CNT: 0
; COMPUTE_PGM_RSRC3_GFX90A:ACCUM_OFFSET: 8
; COMPUTE_PGM_RSRC3_GFX90A:TG_SPLIT: 0
	.section	.text._ZL33csrmvn_symm_large_adaptive_kernelIiiaaiiEvbT_PKS0_N9rocsparse24const_host_device_scalarIT4_EES2_PKT0_PKT1_PKT2_S6_PT3_21rocsparse_index_base_b,"axG",@progbits,_ZL33csrmvn_symm_large_adaptive_kernelIiiaaiiEvbT_PKS0_N9rocsparse24const_host_device_scalarIT4_EES2_PKT0_PKT1_PKT2_S6_PT3_21rocsparse_index_base_b,comdat
	.globl	_ZL33csrmvn_symm_large_adaptive_kernelIiiaaiiEvbT_PKS0_N9rocsparse24const_host_device_scalarIT4_EES2_PKT0_PKT1_PKT2_S6_PT3_21rocsparse_index_base_b ; -- Begin function _ZL33csrmvn_symm_large_adaptive_kernelIiiaaiiEvbT_PKS0_N9rocsparse24const_host_device_scalarIT4_EES2_PKT0_PKT1_PKT2_S6_PT3_21rocsparse_index_base_b
	.p2align	8
	.type	_ZL33csrmvn_symm_large_adaptive_kernelIiiaaiiEvbT_PKS0_N9rocsparse24const_host_device_scalarIT4_EES2_PKT0_PKT1_PKT2_S6_PT3_21rocsparse_index_base_b,@function
_ZL33csrmvn_symm_large_adaptive_kernelIiiaaiiEvbT_PKS0_N9rocsparse24const_host_device_scalarIT4_EES2_PKT0_PKT1_PKT2_S6_PT3_21rocsparse_index_base_b: ; @_ZL33csrmvn_symm_large_adaptive_kernelIiiaaiiEvbT_PKS0_N9rocsparse24const_host_device_scalarIT4_EES2_PKT0_PKT1_PKT2_S6_PT3_21rocsparse_index_base_b
; %bb.0:
	s_load_dwordx2 s[20:21], s[4:5], 0x48
	s_load_dwordx2 s[8:9], s[4:5], 0x10
	s_mov_b64 s[10:11], -1
	s_waitcnt lgkmcnt(0)
	s_bitcmp1_b32 s21, 0
	s_cselect_b64 s[0:1], -1, 0
	s_xor_b64 s[2:3], s[0:1], -1
	s_and_b64 vcc, exec, s[2:3]
                                        ; implicit-def: $sgpr21
	s_cbranch_vccnz .LBB47_4
; %bb.1:
	s_load_dwordx2 s[0:1], s[4:5], 0x38
	s_andn2_b64 vcc, exec, s[10:11]
	s_cbranch_vccz .LBB47_5
.LBB47_2:
	s_and_b64 vcc, exec, s[2:3]
	s_cbranch_vccz .LBB47_6
.LBB47_3:
	s_waitcnt lgkmcnt(0)
	s_load_dword s1, s[0:1], 0x0
	s_cbranch_execz .LBB47_7
	s_branch .LBB47_8
.LBB47_4:
	s_load_dword s21, s[8:9], 0x0
	s_load_dwordx2 s[0:1], s[4:5], 0x38
	s_cbranch_execnz .LBB47_2
.LBB47_5:
	s_waitcnt lgkmcnt(0)
	s_mov_b32 s21, s8
	s_and_b64 vcc, exec, s[2:3]
	s_cbranch_vccnz .LBB47_3
.LBB47_6:
                                        ; implicit-def: $sgpr1
.LBB47_7:
	s_waitcnt lgkmcnt(0)
	s_mov_b32 s1, s0
.LBB47_8:
	s_waitcnt lgkmcnt(0)
	s_cmp_lg_u32 s21, 0
	s_cselect_b64 s[2:3], -1, 0
	s_cmp_lg_u32 s1, 1
	s_cselect_b64 s[0:1], -1, 0
	s_or_b64 s[0:1], s[2:3], s[0:1]
	s_andn2_b64 vcc, exec, s[0:1]
	s_cbranch_vccnz .LBB47_46
; %bb.9:
	s_load_dwordx2 s[0:1], s[4:5], 0x8
	s_ashr_i32 s7, s6, 31
	s_lshl_b64 s[2:3], s[6:7], 2
	v_lshlrev_b32_e32 v4, 2, v0
	v_mov_b32_e32 v1, 0
	s_waitcnt lgkmcnt(0)
	s_add_u32 s0, s0, s2
	s_addc_u32 s1, s1, s3
	ds_write2st64_b32 v4, v1, v1 offset1:4
	ds_write2st64_b32 v4, v1, v1 offset0:8 offset1:12
	s_waitcnt lgkmcnt(0)
	s_barrier
	s_load_dwordx2 s[22:23], s[0:1], 0x0
	s_load_dwordx8 s[12:19], s[4:5], 0x18
	s_load_dwordx2 s[24:25], s[4:5], 0x40
	s_waitcnt lgkmcnt(0)
	s_cmp_lt_i32 s22, s23
	s_cbranch_scc1 .LBB47_11
; %bb.10:
	s_ashr_i32 s1, s22, 31
	s_mov_b32 s0, s22
	s_lshl_b64 s[0:1], s[0:1], 2
	s_add_u32 s0, s12, s0
	s_addc_u32 s1, s13, s1
	s_load_dword s33, s[0:1], 0x0
	v_subrev_u32_e32 v5, s20, v0
	s_cbranch_execz .LBB47_12
	s_branch .LBB47_37
.LBB47_11:
                                        ; implicit-def: $sgpr33
	v_subrev_u32_e32 v5, s20, v0
.LBB47_12:
	s_ashr_i32 s11, s22, 31
	s_mov_b32 s10, s22
	s_lshl_b64 s[10:11], s[10:11], 2
	s_add_u32 s10, s12, s10
	s_addc_u32 s11, s13, s11
	s_waitcnt lgkmcnt(0)
	s_load_dword s33, s[10:11], 0x0
	s_movk_i32 s0, 0x100
	s_add_u32 s39, s12, 4
	v_cmp_gt_u32_e64 s[0:1], s0, v0
	v_cmp_gt_u32_e64 s[2:3], 64, v0
	v_cmp_gt_u32_e64 s[4:5], 16, v0
	v_cmp_gt_u32_e64 s[6:7], 4, v0
	v_cmp_eq_u32_e64 s[8:9], 0, v0
	v_xad_u32 v6, v0, -1, s20
	v_add_u32_e32 v7, 0x100, v5
	s_mov_b32 s38, s20
	s_addc_u32 s40, s13, 0
	s_movk_i32 s41, 0xff
	v_mov_b32_e32 v8, 0
	v_mov_b32_e32 v9, s17
	;; [unrolled: 1-line block ×3, first 2 shown]
	s_waitcnt lgkmcnt(0)
	s_mov_b32 s10, s33
	s_mov_b32 s26, s22
	s_branch .LBB47_14
.LBB47_13:                              ;   in Loop: Header=BB47_14 Depth=1
	s_or_b64 exec, exec, s[10:11]
	s_add_i32 s26, s26, 1
	s_cmp_ge_i32 s26, s23
	s_mov_b32 s10, s27
	s_cbranch_scc1 .LBB47_37
.LBB47_14:                              ; =>This Loop Header: Depth=1
                                        ;     Child Loop BB47_17 Depth 2
                                        ;     Child Loop BB47_21 Depth 2
	s_ashr_i32 s27, s26, 31
	s_lshl_b64 s[28:29], s[26:27], 2
	s_add_u32 s30, s39, s28
	s_addc_u32 s31, s40, s29
	s_load_dword s27, s[30:31], 0x0
	v_add_u32_e32 v0, s10, v5
	v_mov_b32_e32 v12, 0
	s_waitcnt lgkmcnt(0)
	s_sub_i32 s42, s27, s20
	v_cmp_gt_i32_e32 vcc, s42, v0
	s_and_saveexec_b64 s[30:31], vcc
	s_cbranch_execz .LBB47_24
; %bb.15:                               ;   in Loop: Header=BB47_14 Depth=1
	v_add_u32_e32 v1, s10, v7
	v_max_i32_e32 v1, s42, v1
	v_add_u32_e32 v1, v6, v1
	v_subrev_u32_e32 v1, s10, v1
	v_cmp_lt_u32_e32 vcc, s41, v1
	s_mov_b64 s[10:11], -1
	v_mov_b32_e32 v12, 0
	s_and_saveexec_b64 s[34:35], vcc
	s_cbranch_execz .LBB47_19
; %bb.16:                               ;   in Loop: Header=BB47_14 Depth=1
	v_lshrrev_b32_e32 v1, 8, v1
	v_add_u32_e32 v11, 1, v1
	v_and_b32_e32 v13, 0x1fffffe, v11
	v_add_u32_e32 v1, 0x100, v0
	s_mov_b64 s[36:37], 0
	v_mov_b32_e32 v12, 0
	v_mov_b32_e32 v14, v13
	v_pk_mov_b32 v[2:3], v[0:1], v[0:1] op_sel:[0,1]
	v_mov_b32_e32 v1, 0
.LBB47_17:                              ;   Parent Loop BB47_14 Depth=1
                                        ; =>  This Inner Loop Header: Depth=2
	v_ashrrev_i32_e32 v19, 31, v2
	v_mov_b32_e32 v18, v2
	v_lshlrev_b64 v[20:21], 2, v[18:19]
	v_ashrrev_i32_e32 v17, 31, v3
	v_mov_b32_e32 v16, v3
	v_mov_b32_e32 v15, s15
	v_add_co_u32_e32 v20, vcc, s14, v20
	v_lshlrev_b64 v[22:23], 2, v[16:17]
	v_addc_co_u32_e32 v21, vcc, v15, v21, vcc
	v_add_co_u32_e32 v22, vcc, s14, v22
	v_addc_co_u32_e32 v23, vcc, v15, v23, vcc
	global_load_dword v15, v[20:21], off
	global_load_dword v24, v[22:23], off
	v_mov_b32_e32 v20, s17
	v_add_co_u32_e32 v18, vcc, s16, v18
	v_addc_co_u32_e32 v19, vcc, v20, v19, vcc
	v_add_co_u32_e32 v16, vcc, s16, v16
	v_addc_co_u32_e32 v17, vcc, v20, v17, vcc
	global_load_sbyte v20, v[18:19], off
	global_load_sbyte v22, v[16:17], off
	v_mov_b32_e32 v21, s19
	v_add_u32_e32 v14, -2, v14
	v_add_u32_e32 v3, 0x200, v3
	v_add_u32_e32 v2, 0x200, v2
	s_waitcnt vmcnt(3)
	v_subrev_u32_e32 v15, s20, v15
	s_waitcnt vmcnt(2)
	v_subrev_u32_e32 v16, s38, v24
	v_ashrrev_i32_e32 v17, 31, v16
	v_add_co_u32_e32 v16, vcc, s18, v16
	v_ashrrev_i32_e32 v19, 31, v15
	v_add_co_u32_e64 v18, s[10:11], s18, v15
	v_addc_co_u32_e32 v17, vcc, v21, v17, vcc
	v_addc_co_u32_e64 v19, s[10:11], v21, v19, s[10:11]
	global_load_sbyte v15, v[16:17], off
	global_load_sbyte v21, v[18:19], off
	v_cmp_eq_u32_e32 vcc, 0, v14
	s_or_b64 s[36:37], vcc, s[36:37]
	s_waitcnt vmcnt(1)
	v_mad_i32_i24 v1, v15, v22, v1
	s_waitcnt vmcnt(0)
	v_mad_i32_i24 v12, v21, v20, v12
	s_andn2_b64 exec, exec, s[36:37]
	s_cbranch_execnz .LBB47_17
; %bb.18:                               ;   in Loop: Header=BB47_14 Depth=1
	s_or_b64 exec, exec, s[36:37]
	v_cmp_ne_u32_e32 vcc, v11, v13
	v_lshl_add_u32 v0, v13, 8, v0
	v_add_u32_e32 v12, v12, v1
	s_orn2_b64 s[10:11], vcc, exec
.LBB47_19:                              ;   in Loop: Header=BB47_14 Depth=1
	s_or_b64 exec, exec, s[34:35]
	s_and_saveexec_b64 s[34:35], s[10:11]
	s_cbranch_execz .LBB47_23
; %bb.20:                               ;   in Loop: Header=BB47_14 Depth=1
	v_ashrrev_i32_e32 v1, 31, v0
	v_lshlrev_b64 v[2:3], 2, v[0:1]
	v_mov_b32_e32 v11, s15
	v_add_co_u32_e32 v2, vcc, s14, v2
	v_addc_co_u32_e32 v3, vcc, v11, v3, vcc
	s_mov_b64 s[36:37], 0
.LBB47_21:                              ;   Parent Loop BB47_14 Depth=1
                                        ; =>  This Inner Loop Header: Depth=2
	global_load_dword v11, v[2:3], off
	v_add_co_u32_e32 v14, vcc, s16, v0
	v_addc_co_u32_e32 v15, vcc, v9, v1, vcc
	global_load_sbyte v13, v[14:15], off
	s_waitcnt vmcnt(1)
	v_subrev_u32_e32 v11, s20, v11
	v_ashrrev_i32_e32 v15, 31, v11
	v_add_co_u32_e32 v14, vcc, s18, v11
	v_addc_co_u32_e32 v15, vcc, v10, v15, vcc
	global_load_sbyte v11, v[14:15], off
	v_add_co_u32_e32 v0, vcc, 0x100, v0
	v_addc_co_u32_e32 v1, vcc, 0, v1, vcc
	v_add_co_u32_e32 v2, vcc, 0x400, v2
	v_cmp_le_i32_e64 s[10:11], s42, v0
	v_addc_co_u32_e32 v3, vcc, 0, v3, vcc
	s_or_b64 s[36:37], s[10:11], s[36:37]
	s_waitcnt vmcnt(0)
	v_mad_i32_i24 v12, v11, v13, v12
	s_andn2_b64 exec, exec, s[36:37]
	s_cbranch_execnz .LBB47_21
; %bb.22:                               ;   in Loop: Header=BB47_14 Depth=1
	s_or_b64 exec, exec, s[36:37]
.LBB47_23:                              ;   in Loop: Header=BB47_14 Depth=1
	s_or_b64 exec, exec, s[34:35]
.LBB47_24:                              ;   in Loop: Header=BB47_14 Depth=1
	s_or_b64 exec, exec, s[30:31]
	ds_write_b32 v4, v12
	s_waitcnt lgkmcnt(0)
	s_barrier
	s_and_saveexec_b64 s[10:11], s[0:1]
	s_cbranch_execz .LBB47_26
; %bb.25:                               ;   in Loop: Header=BB47_14 Depth=1
	ds_read2st64_b32 v[0:1], v4 offset1:4
	ds_read2st64_b32 v[2:3], v4 offset0:8 offset1:12
	s_waitcnt lgkmcnt(0)
	v_add_u32_e32 v1, v2, v1
	v_add3_u32 v0, v1, v3, v0
	ds_write_b32 v4, v0
.LBB47_26:                              ;   in Loop: Header=BB47_14 Depth=1
	s_or_b64 exec, exec, s[10:11]
	s_waitcnt lgkmcnt(0)
	s_barrier
	s_and_saveexec_b64 s[10:11], s[2:3]
	s_cbranch_execz .LBB47_28
; %bb.27:                               ;   in Loop: Header=BB47_14 Depth=1
	ds_read2st64_b32 v[0:1], v4 offset1:1
	ds_read2st64_b32 v[2:3], v4 offset0:2 offset1:3
	s_waitcnt lgkmcnt(0)
	v_add_u32_e32 v1, v2, v1
	v_add3_u32 v0, v1, v3, v0
	ds_write_b32 v4, v0
.LBB47_28:                              ;   in Loop: Header=BB47_14 Depth=1
	s_or_b64 exec, exec, s[10:11]
	s_waitcnt lgkmcnt(0)
	s_barrier
	s_and_saveexec_b64 s[10:11], s[4:5]
	s_cbranch_execz .LBB47_30
; %bb.29:                               ;   in Loop: Header=BB47_14 Depth=1
	ds_read2_b32 v[0:1], v4 offset1:16
	ds_read2_b32 v[2:3], v4 offset0:32 offset1:48
	s_waitcnt lgkmcnt(0)
	v_add_u32_e32 v1, v2, v1
	v_add3_u32 v0, v1, v3, v0
	ds_write_b32 v4, v0
.LBB47_30:                              ;   in Loop: Header=BB47_14 Depth=1
	s_or_b64 exec, exec, s[10:11]
	s_waitcnt lgkmcnt(0)
	s_barrier
	s_and_saveexec_b64 s[10:11], s[6:7]
	s_cbranch_execz .LBB47_32
; %bb.31:                               ;   in Loop: Header=BB47_14 Depth=1
	ds_read2_b32 v[0:1], v4 offset1:4
	ds_read2_b32 v[2:3], v4 offset0:8 offset1:12
	s_waitcnt lgkmcnt(0)
	v_add_u32_e32 v1, v2, v1
	v_add3_u32 v0, v1, v3, v0
	ds_write_b32 v4, v0
.LBB47_32:                              ;   in Loop: Header=BB47_14 Depth=1
	s_or_b64 exec, exec, s[10:11]
	s_waitcnt lgkmcnt(0)
	s_barrier
	s_and_saveexec_b64 s[10:11], s[8:9]
	s_cbranch_execz .LBB47_34
; %bb.33:                               ;   in Loop: Header=BB47_14 Depth=1
	ds_read2_b32 v[0:1], v8 offset0:1 offset1:2
	ds_read_b32 v2, v8 offset:12
	ds_read_b32 v3, v4
	s_waitcnt lgkmcnt(2)
	v_add_u32_e32 v0, v1, v0
	s_waitcnt lgkmcnt(1)
	v_add_u32_e32 v0, v0, v2
	;; [unrolled: 2-line block ×3, first 2 shown]
	ds_write_b32 v4, v0
.LBB47_34:                              ;   in Loop: Header=BB47_14 Depth=1
	s_or_b64 exec, exec, s[10:11]
	s_waitcnt lgkmcnt(0)
	s_barrier
	s_and_saveexec_b64 s[10:11], s[8:9]
	s_cbranch_execz .LBB47_13
; %bb.35:                               ;   in Loop: Header=BB47_14 Depth=1
	s_mov_b64 s[30:31], exec
	v_mbcnt_lo_u32_b32 v0, s30, 0
	v_mbcnt_hi_u32_b32 v0, s31, v0
	v_cmp_eq_u32_e32 vcc, 0, v0
	s_and_b64 s[34:35], exec, vcc
	s_mov_b64 exec, s[34:35]
	s_cbranch_execz .LBB47_13
; %bb.36:                               ;   in Loop: Header=BB47_14 Depth=1
	ds_read_b32 v0, v8
	s_add_u32 s28, s24, s28
	s_addc_u32 s29, s25, s29
	s_bcnt1_i32_b64 s30, s[30:31]
	s_waitcnt lgkmcnt(0)
	v_mul_lo_u32 v0, v0, s21
	v_mul_lo_u32 v0, v0, s30
	global_atomic_add v8, v0, s[28:29]
	s_branch .LBB47_13
.LBB47_37:
	s_ashr_i32 s1, s23, 31
	s_mov_b32 s0, s23
	s_lshl_b64 s[0:1], s[0:1], 2
	s_add_u32 s0, s12, s0
	s_addc_u32 s1, s13, s1
	s_load_dword s0, s[0:1], 0x0
	s_waitcnt lgkmcnt(0)
	v_add_u32_e32 v0, s33, v5
	s_sub_i32 s8, s0, s20
	v_cmp_gt_i32_e32 vcc, s8, v0
	s_and_saveexec_b64 s[0:1], vcc
	s_cbranch_execz .LBB47_46
; %bb.38:
	s_add_i32 s9, s23, -1
	s_cmp_gt_i32 s9, s22
	s_cselect_b64 s[0:1], -1, 0
	s_add_i32 s2, s23, -2
	s_cmp_lg_u32 s2, s22
	s_cselect_b64 s[2:3], -1, 0
	s_and_b64 s[0:1], s[0:1], s[2:3]
	v_cndmask_b32_e64 v1, 0, 1, s[0:1]
	s_mov_b64 s[4:5], 0
	v_cmp_ne_u32_e64 s[0:1], 1, v1
	v_mov_b32_e32 v4, s13
	v_mov_b32_e32 v5, s15
	s_branch .LBB47_40
.LBB47_39:                              ;   in Loop: Header=BB47_40 Depth=1
	s_or_b64 exec, exec, s[2:3]
	v_add_u32_e32 v0, 0x100, v0
	v_cmp_le_i32_e32 vcc, s8, v0
	s_or_b64 s[4:5], vcc, s[4:5]
	s_andn2_b64 exec, exec, s[4:5]
	s_cbranch_execz .LBB47_46
.LBB47_40:                              ; =>This Loop Header: Depth=1
                                        ;     Child Loop BB47_42 Depth 2
	s_and_b64 vcc, exec, s[0:1]
	v_mov_b32_e32 v6, s22
	v_mov_b32_e32 v2, s9
	s_cbranch_vccnz .LBB47_44
; %bb.41:                               ;   in Loop: Header=BB47_40 Depth=1
	s_mov_b64 s[6:7], 0
	v_mov_b32_e32 v6, s22
	v_mov_b32_e32 v2, s9
.LBB47_42:                              ;   Parent Loop BB47_40 Depth=1
                                        ; =>  This Inner Loop Header: Depth=2
	v_add_u32_e32 v1, v2, v6
	v_lshrrev_b32_e32 v7, 31, v1
	v_add_u32_e32 v1, v1, v7
	v_ashrrev_i32_e32 v8, 1, v1
	v_ashrrev_i32_e32 v9, 31, v8
	v_lshlrev_b64 v[10:11], 2, v[8:9]
	v_mov_b32_e32 v3, s13
	v_add_co_u32_e32 v10, vcc, s12, v10
	v_addc_co_u32_e32 v11, vcc, v3, v11, vcc
	global_load_dword v1, v[10:11], off
	s_waitcnt vmcnt(0)
	v_subrev_u32_e32 v1, s20, v1
	v_cmp_gt_i32_e32 vcc, v1, v0
	v_cndmask_b32_e32 v2, v2, v8, vcc
	v_cndmask_b32_e32 v6, v8, v6, vcc
	v_add_u32_e32 v1, -1, v2
	v_cmp_ge_i32_e32 vcc, v6, v2
	v_cmp_eq_u32_e64 s[2:3], v6, v1
	s_or_b64 s[2:3], vcc, s[2:3]
	s_and_b64 s[2:3], exec, s[2:3]
	s_or_b64 s[6:7], s[2:3], s[6:7]
	s_andn2_b64 exec, exec, s[6:7]
	s_cbranch_execnz .LBB47_42
; %bb.43:                               ;   in Loop: Header=BB47_40 Depth=1
	s_or_b64 exec, exec, s[6:7]
.LBB47_44:                              ;   in Loop: Header=BB47_40 Depth=1
	v_ashrrev_i32_e32 v3, 31, v2
	v_lshlrev_b64 v[8:9], 2, v[2:3]
	v_add_co_u32_e32 v8, vcc, s12, v8
	v_addc_co_u32_e32 v9, vcc, v4, v9, vcc
	v_ashrrev_i32_e32 v1, 31, v0
	global_load_dword v3, v[8:9], off
	v_lshlrev_b64 v[8:9], 2, v[0:1]
	v_add_co_u32_e32 v8, vcc, s14, v8
	v_addc_co_u32_e32 v9, vcc, v5, v9, vcc
	global_load_dword v7, v[8:9], off
	s_waitcnt vmcnt(1)
	v_subrev_u32_e32 v3, s20, v3
	v_cmp_gt_i32_e32 vcc, v3, v0
	v_cndmask_b32_e32 v3, v2, v6, vcc
	s_waitcnt vmcnt(0)
	v_subrev_u32_e32 v2, s20, v7
	v_cmp_ne_u32_e32 vcc, v2, v3
	s_and_saveexec_b64 s[2:3], vcc
	s_cbranch_execz .LBB47_39
; %bb.45:                               ;   in Loop: Header=BB47_40 Depth=1
	v_mov_b32_e32 v7, s17
	v_add_co_u32_e32 v6, vcc, s16, v0
	v_addc_co_u32_e32 v7, vcc, v7, v1, vcc
	global_load_sbyte v1, v[6:7], off
	v_ashrrev_i32_e32 v7, 31, v3
	v_mov_b32_e32 v8, s19
	v_add_co_u32_e32 v6, vcc, s18, v3
	v_addc_co_u32_e32 v7, vcc, v8, v7, vcc
	global_load_sbyte v6, v[6:7], off
	v_ashrrev_i32_e32 v3, 31, v2
	v_lshlrev_b64 v[2:3], 2, v[2:3]
	v_mov_b32_e32 v7, s25
	v_add_co_u32_e32 v2, vcc, s24, v2
	v_addc_co_u32_e32 v3, vcc, v7, v3, vcc
	s_waitcnt vmcnt(1)
	v_mul_lo_u32 v1, s21, v1
	s_waitcnt vmcnt(0)
	v_mul_lo_u32 v1, v1, v6
	global_atomic_add v[2:3], v1, off
	s_branch .LBB47_39
.LBB47_46:
	s_endpgm
	.section	.rodata,"a",@progbits
	.p2align	6, 0x0
	.amdhsa_kernel _ZL33csrmvn_symm_large_adaptive_kernelIiiaaiiEvbT_PKS0_N9rocsparse24const_host_device_scalarIT4_EES2_PKT0_PKT1_PKT2_S6_PT3_21rocsparse_index_base_b
		.amdhsa_group_segment_fixed_size 4096
		.amdhsa_private_segment_fixed_size 0
		.amdhsa_kernarg_size 80
		.amdhsa_user_sgpr_count 6
		.amdhsa_user_sgpr_private_segment_buffer 1
		.amdhsa_user_sgpr_dispatch_ptr 0
		.amdhsa_user_sgpr_queue_ptr 0
		.amdhsa_user_sgpr_kernarg_segment_ptr 1
		.amdhsa_user_sgpr_dispatch_id 0
		.amdhsa_user_sgpr_flat_scratch_init 0
		.amdhsa_user_sgpr_kernarg_preload_length 0
		.amdhsa_user_sgpr_kernarg_preload_offset 0
		.amdhsa_user_sgpr_private_segment_size 0
		.amdhsa_uses_dynamic_stack 0
		.amdhsa_system_sgpr_private_segment_wavefront_offset 0
		.amdhsa_system_sgpr_workgroup_id_x 1
		.amdhsa_system_sgpr_workgroup_id_y 0
		.amdhsa_system_sgpr_workgroup_id_z 0
		.amdhsa_system_sgpr_workgroup_info 0
		.amdhsa_system_vgpr_workitem_id 0
		.amdhsa_next_free_vgpr 25
		.amdhsa_next_free_sgpr 43
		.amdhsa_accum_offset 28
		.amdhsa_reserve_vcc 1
		.amdhsa_reserve_flat_scratch 0
		.amdhsa_float_round_mode_32 0
		.amdhsa_float_round_mode_16_64 0
		.amdhsa_float_denorm_mode_32 3
		.amdhsa_float_denorm_mode_16_64 3
		.amdhsa_dx10_clamp 1
		.amdhsa_ieee_mode 1
		.amdhsa_fp16_overflow 0
		.amdhsa_tg_split 0
		.amdhsa_exception_fp_ieee_invalid_op 0
		.amdhsa_exception_fp_denorm_src 0
		.amdhsa_exception_fp_ieee_div_zero 0
		.amdhsa_exception_fp_ieee_overflow 0
		.amdhsa_exception_fp_ieee_underflow 0
		.amdhsa_exception_fp_ieee_inexact 0
		.amdhsa_exception_int_div_zero 0
	.end_amdhsa_kernel
	.section	.text._ZL33csrmvn_symm_large_adaptive_kernelIiiaaiiEvbT_PKS0_N9rocsparse24const_host_device_scalarIT4_EES2_PKT0_PKT1_PKT2_S6_PT3_21rocsparse_index_base_b,"axG",@progbits,_ZL33csrmvn_symm_large_adaptive_kernelIiiaaiiEvbT_PKS0_N9rocsparse24const_host_device_scalarIT4_EES2_PKT0_PKT1_PKT2_S6_PT3_21rocsparse_index_base_b,comdat
.Lfunc_end47:
	.size	_ZL33csrmvn_symm_large_adaptive_kernelIiiaaiiEvbT_PKS0_N9rocsparse24const_host_device_scalarIT4_EES2_PKT0_PKT1_PKT2_S6_PT3_21rocsparse_index_base_b, .Lfunc_end47-_ZL33csrmvn_symm_large_adaptive_kernelIiiaaiiEvbT_PKS0_N9rocsparse24const_host_device_scalarIT4_EES2_PKT0_PKT1_PKT2_S6_PT3_21rocsparse_index_base_b
                                        ; -- End function
	.section	.AMDGPU.csdata,"",@progbits
; Kernel info:
; codeLenInByte = 1916
; NumSgprs: 47
; NumVgprs: 25
; NumAgprs: 0
; TotalNumVgprs: 25
; ScratchSize: 0
; MemoryBound: 0
; FloatMode: 240
; IeeeMode: 1
; LDSByteSize: 4096 bytes/workgroup (compile time only)
; SGPRBlocks: 5
; VGPRBlocks: 3
; NumSGPRsForWavesPerEU: 47
; NumVGPRsForWavesPerEU: 25
; AccumOffset: 28
; Occupancy: 8
; WaveLimiterHint : 1
; COMPUTE_PGM_RSRC2:SCRATCH_EN: 0
; COMPUTE_PGM_RSRC2:USER_SGPR: 6
; COMPUTE_PGM_RSRC2:TRAP_HANDLER: 0
; COMPUTE_PGM_RSRC2:TGID_X_EN: 1
; COMPUTE_PGM_RSRC2:TGID_Y_EN: 0
; COMPUTE_PGM_RSRC2:TGID_Z_EN: 0
; COMPUTE_PGM_RSRC2:TIDIG_COMP_CNT: 0
; COMPUTE_PGM_RSRC3_GFX90A:ACCUM_OFFSET: 6
; COMPUTE_PGM_RSRC3_GFX90A:TG_SPLIT: 0
	.section	.text._ZN9rocsparseL22csrmvn_adaptive_kernelIliaaiiEEvbT_PKS1_PjPKT0_NS_24const_host_device_scalarIT4_EES3_S7_PKT1_PKT2_SA_PT3_21rocsparse_index_base_b,"axG",@progbits,_ZN9rocsparseL22csrmvn_adaptive_kernelIliaaiiEEvbT_PKS1_PjPKT0_NS_24const_host_device_scalarIT4_EES3_S7_PKT1_PKT2_SA_PT3_21rocsparse_index_base_b,comdat
	.globl	_ZN9rocsparseL22csrmvn_adaptive_kernelIliaaiiEEvbT_PKS1_PjPKT0_NS_24const_host_device_scalarIT4_EES3_S7_PKT1_PKT2_SA_PT3_21rocsparse_index_base_b ; -- Begin function _ZN9rocsparseL22csrmvn_adaptive_kernelIliaaiiEEvbT_PKS1_PjPKT0_NS_24const_host_device_scalarIT4_EES3_S7_PKT1_PKT2_SA_PT3_21rocsparse_index_base_b
	.p2align	8
	.type	_ZN9rocsparseL22csrmvn_adaptive_kernelIliaaiiEEvbT_PKS1_PjPKT0_NS_24const_host_device_scalarIT4_EES3_S7_PKT1_PKT2_SA_PT3_21rocsparse_index_base_b,@function
_ZN9rocsparseL22csrmvn_adaptive_kernelIliaaiiEEvbT_PKS1_PjPKT0_NS_24const_host_device_scalarIT4_EES3_S7_PKT1_PKT2_SA_PT3_21rocsparse_index_base_b: ; @_ZN9rocsparseL22csrmvn_adaptive_kernelIliaaiiEEvbT_PKS1_PjPKT0_NS_24const_host_device_scalarIT4_EES3_S7_PKT1_PKT2_SA_PT3_21rocsparse_index_base_b
; %bb.0:
	s_load_dwordx2 s[42:43], s[4:5], 0x60
	s_load_dwordx2 s[8:9], s[4:5], 0x28
	s_mov_b64 s[10:11], -1
                                        ; implicit-def: $sgpr62
	s_waitcnt lgkmcnt(0)
	s_bitcmp1_b32 s43, 0
	s_cselect_b64 s[0:1], -1, 0
	s_xor_b64 s[2:3], s[0:1], -1
	s_and_b64 vcc, exec, s[2:3]
	s_cbranch_vccnz .LBB48_4
; %bb.1:
	s_load_dwordx2 s[0:1], s[4:5], 0x50
	s_andn2_b64 vcc, exec, s[10:11]
	s_cbranch_vccz .LBB48_5
.LBB48_2:
	s_and_b64 vcc, exec, s[2:3]
	s_cbranch_vccz .LBB48_6
.LBB48_3:
	s_waitcnt lgkmcnt(0)
	s_load_dword s33, s[0:1], 0x0
	s_cbranch_execz .LBB48_7
	s_branch .LBB48_8
.LBB48_4:
	s_load_dword s62, s[8:9], 0x0
	s_load_dwordx2 s[0:1], s[4:5], 0x50
	s_cbranch_execnz .LBB48_2
.LBB48_5:
	s_waitcnt lgkmcnt(0)
	s_mov_b32 s62, s8
	s_and_b64 vcc, exec, s[2:3]
	s_cbranch_vccnz .LBB48_3
.LBB48_6:
                                        ; implicit-def: $sgpr33
.LBB48_7:
	s_waitcnt lgkmcnt(0)
	s_mov_b32 s33, s0
.LBB48_8:
	s_waitcnt lgkmcnt(0)
	s_cmp_lg_u32 s62, 0
	s_cselect_b64 s[0:1], -1, 0
	s_cmp_lg_u32 s33, 1
	s_cselect_b64 s[2:3], -1, 0
	s_or_b64 s[0:1], s[0:1], s[2:3]
	s_andn2_b64 vcc, exec, s[0:1]
	s_cbranch_vccnz .LBB48_148
; %bb.9:
	s_load_dwordx2 s[0:1], s[4:5], 0x10
	s_load_dwordx2 s[8:9], s[4:5], 0x20
	s_ashr_i32 s7, s6, 31
	s_lshl_b64 s[2:3], s[6:7], 3
	s_waitcnt lgkmcnt(0)
	s_add_u32 s0, s0, s2
	s_addc_u32 s1, s1, s3
	s_load_dwordx4 s[36:39], s[0:1], 0x0
	s_load_dwordx2 s[22:23], s[4:5], 0x58
	s_load_dwordx8 s[24:31], s[4:5], 0x30
	s_lshl_b64 s[44:45], s[6:7], 2
	s_waitcnt lgkmcnt(0)
	s_sub_i32 s2, s38, s36
	s_add_u32 s0, s8, s44
	s_addc_u32 s1, s9, s45
	s_lshl_b64 s[8:9], s[36:37], 3
	s_add_u32 s34, s24, s8
	s_addc_u32 s35, s25, s9
	s_load_dword s43, s[0:1], 0x0
	s_load_dwordx2 s[40:41], s[34:35], 0x0
	s_cmp_lt_i32 s2, 2
	s_mov_b64 s[0:1], -1
	s_cbranch_scc0 .LBB48_87
; %bb.10:
	s_cmp_lg_u32 s2, 1
	s_cselect_b64 s[0:1], -1, 0
	s_waitcnt lgkmcnt(0)
	s_cmp_lg_u32 s43, 0
	s_cselect_b64 s[2:3], -1, 0
	s_or_b64 s[2:3], s[0:1], s[2:3]
	s_mov_b64 s[0:1], -1
	s_and_b64 vcc, exec, s[2:3]
	s_cbranch_vccnz .LBB48_45
; %bb.11:
	v_pk_mov_b32 v[2:3], s[36:37], s[36:37] op_sel:[0,1]
	v_cmp_le_i64_e32 vcc, s[38:39], v[2:3]
	s_cbranch_vccnz .LBB48_44
; %bb.12:
	v_subrev_co_u32_e32 v1, vcc, s42, v0
	v_not_b32_e32 v2, v0
	v_subb_co_u32_e64 v18, s[0:1], 0, 0, vcc
	s_cmp_lg_u32 s33, 0
	v_add_co_u32_e32 v20, vcc, s42, v2
	s_movk_i32 s7, 0x100
	s_cselect_b64 s[46:47], -1, 0
	v_addc_co_u32_e64 v21, s[20:21], -1, 0, vcc
	v_add_co_u32_e32 v22, vcc, s7, v1
	s_add_u32 s64, s24, 8
	v_addc_co_u32_e32 v23, vcc, 0, v18, vcc
	s_addc_u32 s65, s25, 0
	s_movk_i32 s0, 0x80
	v_mov_b32_e32 v2, s29
	v_add_co_u32_e32 v24, vcc, s28, v22
	s_add_u32 s66, s26, 0x400
	v_lshlrev_b32_e32 v19, 2, v0
	v_cmp_gt_u32_e64 s[0:1], s0, v0
	v_cmp_gt_u32_e64 s[2:3], 64, v0
	;; [unrolled: 1-line block ×7, first 2 shown]
	v_cmp_eq_u32_e64 s[18:19], 0, v0
	s_mov_b32 s7, s62
	s_mov_b32 s63, s42
	v_addc_co_u32_e32 v25, vcc, v2, v23, vcc
	s_addc_u32 s67, s27, 0
	s_mov_b64 s[48:49], 0xff
	v_mov_b32_e32 v26, s31
	v_mov_b32_e32 v27, 0
	s_mov_b64 s[20:21], s[40:41]
	s_mov_b64 s[50:51], s[36:37]
	s_branch .LBB48_15
.LBB48_13:                              ;   in Loop: Header=BB48_15 Depth=1
	s_lshl_b64 s[54:55], s[50:51], 2
	s_add_u32 s54, s22, s54
	s_addc_u32 s55, s23, s55
	s_waitcnt lgkmcnt(0)
	global_store_dword v27, v2, s[54:55]
.LBB48_14:                              ;   in Loop: Header=BB48_15 Depth=1
	s_or_b64 exec, exec, s[20:21]
	s_add_u32 s50, s50, 1
	s_addc_u32 s51, s51, 0
	v_pk_mov_b32 v[2:3], s[38:39], s[38:39] op_sel:[0,1]
	v_cmp_ge_i64_e32 vcc, s[50:51], v[2:3]
	s_mov_b64 s[20:21], s[52:53]
	s_cbranch_vccnz .LBB48_44
.LBB48_15:                              ; =>This Loop Header: Depth=1
                                        ;     Child Loop BB48_18 Depth 2
                                        ;     Child Loop BB48_22 Depth 2
	s_lshl_b64 s[52:53], s[50:51], 3
	s_add_u32 s52, s64, s52
	s_addc_u32 s53, s65, s53
	s_load_dwordx2 s[52:53], s[52:53], 0x0
	v_mov_b32_e32 v3, s21
	v_add_co_u32_e32 v2, vcc, s20, v1
	v_addc_co_u32_e32 v3, vcc, v3, v18, vcc
	s_waitcnt lgkmcnt(0)
	s_sub_u32 s56, s52, s42
	s_subb_u32 s57, s53, 0
	v_cmp_gt_i64_e32 vcc, s[56:57], v[2:3]
	v_mov_b32_e32 v4, 0
	s_and_saveexec_b64 s[54:55], vcc
	s_cbranch_execz .LBB48_25
; %bb.16:                               ;   in Loop: Header=BB48_15 Depth=1
	v_mov_b32_e32 v7, s21
	v_add_co_u32_e32 v4, vcc, s20, v22
	v_addc_co_u32_e32 v5, vcc, v23, v7, vcc
	v_mov_b32_e32 v6, s57
	v_cmp_lt_i64_e32 vcc, s[56:57], v[4:5]
	v_cndmask_b32_e32 v5, v6, v5, vcc
	v_mov_b32_e32 v6, s56
	v_cndmask_b32_e32 v4, v6, v4, vcc
	v_add_co_u32_e32 v4, vcc, v20, v4
	v_addc_co_u32_e32 v5, vcc, v21, v5, vcc
	v_subrev_co_u32_e32 v6, vcc, s20, v4
	v_subb_co_u32_e32 v7, vcc, v5, v7, vcc
	v_cmp_lt_u64_e32 vcc, s[48:49], v[6:7]
	s_mov_b64 s[60:61], -1
	v_mov_b32_e32 v4, 0
	s_and_saveexec_b64 s[58:59], vcc
	s_cbranch_execz .LBB48_20
; %bb.17:                               ;   in Loop: Header=BB48_15 Depth=1
	v_lshrrev_b64 v[4:5], 8, v[6:7]
	v_add_co_u32_e32 v6, vcc, 1, v4
	v_addc_co_u32_e32 v7, vcc, 0, v5, vcc
	v_mov_b32_e32 v5, s21
	v_add_co_u32_e32 v4, vcc, s20, v24
	v_addc_co_u32_e32 v5, vcc, v25, v5, vcc
	v_lshlrev_b64 v[10:11], 2, v[2:3]
	v_and_b32_e32 v8, -2, v6
	v_mov_b32_e32 v9, v7
	v_mov_b32_e32 v13, s67
	v_add_co_u32_e32 v12, vcc, s66, v10
	v_addc_co_u32_e32 v13, vcc, v13, v11, vcc
	s_mov_b64 s[60:61], 0
	v_mov_b32_e32 v10, 0
	v_pk_mov_b32 v[16:17], v[8:9], v[8:9] op_sel:[0,1]
	v_mov_b32_e32 v14, 0
.LBB48_18:                              ;   Parent Loop BB48_15 Depth=1
                                        ; =>  This Inner Loop Header: Depth=2
	global_load_dword v11, v[12:13], off offset:-1024
	global_load_dword v15, v[12:13], off
	global_load_sbyte v32, v[4:5], off
	global_load_sbyte v33, v[4:5], off offset:-256
	s_waitcnt vmcnt(3)
	v_subrev_u32_e32 v11, s42, v11
	s_waitcnt vmcnt(2)
	v_subrev_u32_e32 v15, s63, v15
	v_ashrrev_i32_e32 v29, 31, v15
	v_add_co_u32_e32 v28, vcc, s30, v15
	v_ashrrev_i32_e32 v31, 31, v11
	v_add_co_u32_e64 v30, s[20:21], s30, v11
	v_addc_co_u32_e32 v29, vcc, v26, v29, vcc
	v_addc_co_u32_e64 v31, s[20:21], v26, v31, s[20:21]
	global_load_sbyte v11, v[28:29], off
	s_nop 0
	global_load_sbyte v28, v[30:31], off
	v_add_co_u32_e32 v16, vcc, -2, v16
	v_addc_co_u32_e32 v17, vcc, -1, v17, vcc
	v_add_co_u32_e32 v4, vcc, 0x200, v4
	v_addc_co_u32_e32 v5, vcc, 0, v5, vcc
	v_add_co_u32_e32 v12, vcc, 0x800, v12
	v_cmp_eq_u64_e64 s[20:21], 0, v[16:17]
	s_waitcnt vmcnt(2)
	v_mul_lo_u32 v29, s62, v33
	v_mul_lo_u32 v15, s7, v32
	v_addc_co_u32_e32 v13, vcc, 0, v13, vcc
	s_or_b64 s[60:61], s[20:21], s[60:61]
	s_waitcnt vmcnt(1)
	v_mad_u64_u32 v[14:15], s[20:21], v15, v11, v[14:15]
	s_waitcnt vmcnt(0)
	v_mad_u64_u32 v[10:11], s[20:21], v29, v28, v[10:11]
	s_andn2_b64 exec, exec, s[60:61]
	s_cbranch_execnz .LBB48_18
; %bb.19:                               ;   in Loop: Header=BB48_15 Depth=1
	s_or_b64 exec, exec, s[60:61]
	v_lshlrev_b64 v[12:13], 8, v[8:9]
	v_add_co_u32_e32 v2, vcc, v2, v12
	v_addc_co_u32_e32 v3, vcc, v3, v13, vcc
	v_mov_b32_e32 v5, v14
	v_cmp_ne_u64_e32 vcc, v[6:7], v[8:9]
	v_add_u32_e32 v4, v10, v5
	s_orn2_b64 s[60:61], vcc, exec
.LBB48_20:                              ;   in Loop: Header=BB48_15 Depth=1
	s_or_b64 exec, exec, s[58:59]
	s_and_saveexec_b64 s[20:21], s[60:61]
	s_cbranch_execz .LBB48_24
; %bb.21:                               ;   in Loop: Header=BB48_15 Depth=1
	v_lshlrev_b64 v[6:7], 2, v[2:3]
	v_mov_b32_e32 v5, s27
	v_add_co_u32_e32 v6, vcc, s26, v6
	v_addc_co_u32_e32 v7, vcc, v5, v7, vcc
	s_mov_b64 s[58:59], 0
.LBB48_22:                              ;   Parent Loop BB48_15 Depth=1
                                        ; =>  This Inner Loop Header: Depth=2
	global_load_dword v5, v[6:7], off
	v_mov_b32_e32 v9, s29
	v_add_co_u32_e32 v8, vcc, s28, v2
	v_addc_co_u32_e32 v9, vcc, v9, v3, vcc
	v_mov_b32_e32 v10, s31
	global_load_sbyte v11, v[8:9], off
	s_waitcnt vmcnt(1)
	v_subrev_u32_e32 v5, s42, v5
	v_ashrrev_i32_e32 v9, 31, v5
	v_add_co_u32_e32 v8, vcc, s30, v5
	v_addc_co_u32_e32 v9, vcc, v10, v9, vcc
	global_load_sbyte v5, v[8:9], off
	v_add_co_u32_e32 v2, vcc, 0x100, v2
	v_addc_co_u32_e32 v3, vcc, 0, v3, vcc
	v_add_co_u32_e32 v6, vcc, 0x400, v6
	v_addc_co_u32_e32 v7, vcc, 0, v7, vcc
	v_cmp_le_i64_e32 vcc, s[56:57], v[2:3]
	s_waitcnt vmcnt(1)
	v_mul_lo_u32 v8, s62, v11
	s_or_b64 s[58:59], vcc, s[58:59]
	s_waitcnt vmcnt(0)
	v_mad_u64_u32 v[4:5], s[60:61], v8, v5, v[4:5]
	s_andn2_b64 exec, exec, s[58:59]
	s_cbranch_execnz .LBB48_22
; %bb.23:                               ;   in Loop: Header=BB48_15 Depth=1
	s_or_b64 exec, exec, s[58:59]
.LBB48_24:                              ;   in Loop: Header=BB48_15 Depth=1
	s_or_b64 exec, exec, s[20:21]
.LBB48_25:                              ;   in Loop: Header=BB48_15 Depth=1
	s_or_b64 exec, exec, s[54:55]
	ds_write_b32 v19, v4
	s_waitcnt lgkmcnt(0)
	s_barrier
	s_and_saveexec_b64 s[20:21], s[0:1]
	s_cbranch_execz .LBB48_27
; %bb.26:                               ;   in Loop: Header=BB48_15 Depth=1
	ds_read2st64_b32 v[2:3], v19 offset1:2
	s_waitcnt lgkmcnt(0)
	v_add_u32_e32 v2, v3, v2
	ds_write_b32 v19, v2
.LBB48_27:                              ;   in Loop: Header=BB48_15 Depth=1
	s_or_b64 exec, exec, s[20:21]
	s_waitcnt lgkmcnt(0)
	s_barrier
	s_and_saveexec_b64 s[20:21], s[2:3]
	s_cbranch_execz .LBB48_29
; %bb.28:                               ;   in Loop: Header=BB48_15 Depth=1
	ds_read2st64_b32 v[2:3], v19 offset1:1
	s_waitcnt lgkmcnt(0)
	v_add_u32_e32 v2, v3, v2
	ds_write_b32 v19, v2
.LBB48_29:                              ;   in Loop: Header=BB48_15 Depth=1
	s_or_b64 exec, exec, s[20:21]
	s_waitcnt lgkmcnt(0)
	s_barrier
	s_and_saveexec_b64 s[20:21], s[8:9]
	s_cbranch_execz .LBB48_31
; %bb.30:                               ;   in Loop: Header=BB48_15 Depth=1
	ds_read2_b32 v[2:3], v19 offset1:32
	s_waitcnt lgkmcnt(0)
	v_add_u32_e32 v2, v3, v2
	ds_write_b32 v19, v2
.LBB48_31:                              ;   in Loop: Header=BB48_15 Depth=1
	s_or_b64 exec, exec, s[20:21]
	s_waitcnt lgkmcnt(0)
	s_barrier
	s_and_saveexec_b64 s[20:21], s[10:11]
	s_cbranch_execz .LBB48_33
; %bb.32:                               ;   in Loop: Header=BB48_15 Depth=1
	ds_read2_b32 v[2:3], v19 offset1:16
	s_waitcnt lgkmcnt(0)
	v_add_u32_e32 v2, v3, v2
	ds_write_b32 v19, v2
.LBB48_33:                              ;   in Loop: Header=BB48_15 Depth=1
	;; [unrolled: 11-line block ×5, first 2 shown]
	s_or_b64 exec, exec, s[20:21]
	s_waitcnt lgkmcnt(0)
	s_barrier
	s_and_saveexec_b64 s[20:21], s[18:19]
	s_cbranch_execz .LBB48_41
; %bb.40:                               ;   in Loop: Header=BB48_15 Depth=1
	ds_read_b64 v[2:3], v27
	s_waitcnt lgkmcnt(0)
	v_add_u32_e32 v2, v3, v2
	ds_write_b32 v27, v2
.LBB48_41:                              ;   in Loop: Header=BB48_15 Depth=1
	s_or_b64 exec, exec, s[20:21]
	s_waitcnt lgkmcnt(0)
	s_barrier
	s_and_saveexec_b64 s[20:21], s[18:19]
	s_cbranch_execz .LBB48_14
; %bb.42:                               ;   in Loop: Header=BB48_15 Depth=1
	ds_read_b32 v2, v27
	s_andn2_b64 vcc, exec, s[46:47]
	s_cbranch_vccnz .LBB48_13
; %bb.43:                               ;   in Loop: Header=BB48_15 Depth=1
	s_lshl_b64 s[54:55], s[50:51], 2
	s_add_u32 s54, s22, s54
	s_addc_u32 s55, s23, s55
	global_load_dword v3, v27, s[54:55]
	s_waitcnt vmcnt(0)
	v_mul_lo_u32 v3, v3, s33
	s_waitcnt lgkmcnt(0)
	v_add_u32_e32 v2, v3, v2
	s_branch .LBB48_13
.LBB48_44:
	s_mov_b64 s[0:1], 0
.LBB48_45:
	s_andn2_b64 vcc, exec, s[0:1]
	s_cbranch_vccnz .LBB48_86
; %bb.46:
	s_load_dwordx2 s[8:9], s[4:5], 0x18
	s_sub_i32 s6, s6, s43
	v_or_b32_e32 v1, s43, v0
	s_mov_b32 s14, 0
	v_cmp_eq_u32_e32 vcc, 0, v1
	s_waitcnt lgkmcnt(0)
	s_add_u32 s2, s8, s44
	s_addc_u32 s3, s9, s45
	s_load_dword s18, s[2:3], 0x0
	v_mov_b32_e32 v2, 0
	s_and_saveexec_b64 s[0:1], vcc
	s_cbranch_execz .LBB48_50
; %bb.47:
	s_lshl_b64 s[12:13], s[36:37], 2
	s_add_u32 s12, s22, s12
	s_addc_u32 s13, s23, s13
	s_load_dword s15, s[12:13], 0x0
	s_mov_b64 s[10:11], exec
	v_mbcnt_lo_u32_b32 v1, s10, 0
	s_add_i32 s7, s33, -1
	v_mbcnt_hi_u32_b32 v1, s11, v1
	s_waitcnt lgkmcnt(0)
	s_mul_i32 s15, s15, s7
	v_cmp_eq_u32_e32 vcc, 0, v1
	s_waitcnt vmcnt(0) expcnt(0) lgkmcnt(0)
	s_and_saveexec_b64 s[12:13], vcc
	s_cbranch_execz .LBB48_49
; %bb.48:
	s_ashr_i32 s7, s6, 31
	s_lshl_b64 s[16:17], s[6:7], 2
	s_add_u32 s16, s8, s16
	s_addc_u32 s17, s9, s17
	s_bcnt1_i32_b64 s7, s[10:11]
	s_and_b32 s7, s7, 1
	v_mov_b32_e32 v1, 0
	v_mov_b32_e32 v2, s7
	global_atomic_xor v1, v2, s[16:17]
.LBB48_49:
	s_or_b64 exec, exec, s[12:13]
	v_mov_b32_e32 v2, s15
.LBB48_50:
	s_or_b64 exec, exec, s[0:1]
	s_load_dwordx2 s[0:1], s[34:35], 0x8
	s_sub_u32 s10, s40, s42
	s_mul_i32 s7, s43, 0xc00
	s_subb_u32 s11, s41, 0
	s_mul_hi_i32 s15, s43, 0xc00
	s_add_u32 s12, s10, s7
	s_addc_u32 s13, s11, s15
	s_waitcnt lgkmcnt(0)
	s_sub_u32 s0, s0, s42
	v_mov_b32_e32 v1, s13
	v_add_co_u32_e32 v4, vcc, s12, v0
	s_subb_u32 s1, s1, 0
	v_addc_co_u32_e32 v5, vcc, 0, v1, vcc
	v_cmp_gt_i64_e32 vcc, s[0:1], v[4:5]
	s_and_saveexec_b64 s[10:11], vcc
	s_cbranch_execz .LBB48_60
; %bb.51:
	s_add_u32 s12, s12, 0xc00
	s_addc_u32 s13, s13, 0
	v_pk_mov_b32 v[6:7], s[0:1], s[0:1] op_sel:[0,1]
	v_cmp_lt_i64_e32 vcc, s[12:13], v[6:7]
	s_and_b64 s[16:17], vcc, exec
	s_cselect_b32 s13, s13, s1
	s_cselect_b32 s12, s12, s0
	s_add_u32 s0, s40, s7
	s_addc_u32 s1, s41, s15
	v_mov_b32_e32 v1, s1
	v_add_co_u32_e32 v3, vcc, s0, v0
	v_addc_co_u32_e32 v1, vcc, 0, v1, vcc
	v_mov_b32_e32 v6, s14
	v_subrev_co_u32_e32 v3, vcc, s42, v3
	v_subb_co_u32_e32 v1, vcc, v1, v6, vcc
	s_movk_i32 s0, 0x100
	v_add_co_u32_e32 v10, vcc, s0, v3
	v_addc_co_u32_e32 v11, vcc, 0, v1, vcc
	s_not_b64 s[0:1], s[40:41]
	v_cmp_gt_i64_e32 vcc, s[12:13], v[10:11]
	v_mov_b32_e32 v3, s12
	s_add_u32 s0, s0, s42
	v_mov_b32_e32 v1, s13
	v_cndmask_b32_e32 v3, v10, v3, vcc
	s_addc_u32 s1, s1, 0
	v_cndmask_b32_e32 v1, v11, v1, vcc
	v_mov_b32_e32 v6, s1
	v_add_co_u32_e32 v3, vcc, s0, v3
	v_addc_co_u32_e32 v1, vcc, v6, v1, vcc
	v_or_b32_e32 v6, s7, v0
	v_or_b32_e64 v7, s15, 0
	v_sub_co_u32_e32 v6, vcc, v3, v6
	v_subb_co_u32_e32 v7, vcc, v1, v7, vcc
	s_mov_b64 s[0:1], 0xff
	v_cmp_lt_u64_e32 vcc, s[0:1], v[6:7]
	s_mov_b64 s[16:17], -1
	s_and_saveexec_b64 s[14:15], vcc
	s_cbranch_execz .LBB48_55
; %bb.52:
	v_lshrrev_b64 v[6:7], 8, v[6:7]
	v_add_co_u32_e32 v6, vcc, 1, v6
	v_addc_co_u32_e32 v7, vcc, 0, v7, vcc
	v_mov_b32_e32 v1, s29
	v_add_co_u32_e32 v10, vcc, s28, v10
	v_addc_co_u32_e32 v11, vcc, v1, v11, vcc
	v_lshlrev_b64 v[12:13], 2, v[4:5]
	v_mov_b32_e32 v1, s27
	v_add_co_u32_e32 v3, vcc, s26, v12
	v_addc_co_u32_e32 v1, vcc, v13, v1, vcc
	s_movk_i32 s0, 0x400
	v_and_b32_e32 v8, -2, v6
	v_mov_b32_e32 v9, v7
	v_add_co_u32_e32 v12, vcc, s0, v3
	s_mov_b32 s7, s62
	s_mov_b32 s19, s42
	v_addc_co_u32_e32 v13, vcc, 0, v1, vcc
	s_mov_b64 s[16:17], 0
	v_mov_b32_e32 v14, 0
	v_mov_b32_e32 v1, s31
	v_pk_mov_b32 v[16:17], v[8:9], v[8:9] op_sel:[0,1]
.LBB48_53:                              ; =>This Inner Loop Header: Depth=1
	global_load_dword v3, v[12:13], off offset:-1024
	global_load_dword v15, v[12:13], off
	global_load_sbyte v22, v[10:11], off
	global_load_sbyte v23, v[10:11], off offset:-256
	s_waitcnt vmcnt(3)
	v_subrev_u32_e32 v3, s42, v3
	s_waitcnt vmcnt(2)
	v_subrev_u32_e32 v15, s19, v15
	v_ashrrev_i32_e32 v19, 31, v15
	v_add_co_u32_e32 v18, vcc, s30, v15
	v_ashrrev_i32_e32 v21, 31, v3
	v_add_co_u32_e64 v20, s[0:1], s30, v3
	v_addc_co_u32_e32 v19, vcc, v1, v19, vcc
	v_addc_co_u32_e64 v21, s[0:1], v1, v21, s[0:1]
	global_load_sbyte v3, v[18:19], off
	global_load_sbyte v24, v[20:21], off
	v_add_co_u32_e32 v16, vcc, -2, v16
	v_addc_co_u32_e32 v17, vcc, -1, v17, vcc
	v_add_co_u32_e32 v10, vcc, 0x200, v10
	v_addc_co_u32_e32 v11, vcc, 0, v11, vcc
	v_add_co_u32_e32 v12, vcc, 0x800, v12
	v_cmp_eq_u64_e64 s[0:1], 0, v[16:17]
	s_waitcnt vmcnt(2)
	v_mul_lo_u32 v18, s62, v23
	v_mul_lo_u32 v15, s7, v22
	v_addc_co_u32_e32 v13, vcc, 0, v13, vcc
	s_or_b64 s[16:17], s[0:1], s[16:17]
	s_waitcnt vmcnt(1)
	v_mad_u64_u32 v[14:15], s[0:1], v15, v3, v[14:15]
	s_waitcnt vmcnt(0)
	v_mad_u64_u32 v[2:3], s[0:1], v18, v24, v[2:3]
	s_andn2_b64 exec, exec, s[16:17]
	s_cbranch_execnz .LBB48_53
; %bb.54:
	s_or_b64 exec, exec, s[16:17]
	v_lshlrev_b64 v[10:11], 8, v[8:9]
	v_add_co_u32_e32 v4, vcc, v4, v10
	v_addc_co_u32_e32 v5, vcc, v5, v11, vcc
	v_mov_b32_e32 v1, v14
	v_cmp_ne_u64_e32 vcc, v[6:7], v[8:9]
	v_add_u32_e32 v2, v2, v1
	s_orn2_b64 s[16:17], vcc, exec
.LBB48_55:
	s_or_b64 exec, exec, s[14:15]
	s_and_saveexec_b64 s[0:1], s[16:17]
	s_cbranch_execz .LBB48_59
; %bb.56:
	v_lshlrev_b64 v[6:7], 2, v[4:5]
	v_mov_b32_e32 v1, s27
	v_add_co_u32_e32 v6, vcc, s26, v6
	v_addc_co_u32_e32 v7, vcc, v1, v7, vcc
	s_mov_b64 s[14:15], 0
	v_mov_b32_e32 v1, s29
	v_mov_b32_e32 v8, s31
.LBB48_57:                              ; =>This Inner Loop Header: Depth=1
	global_load_dword v3, v[6:7], off
	v_add_co_u32_e32 v10, vcc, s28, v4
	v_addc_co_u32_e32 v11, vcc, v1, v5, vcc
	global_load_sbyte v9, v[10:11], off
	s_waitcnt vmcnt(1)
	v_subrev_u32_e32 v3, s42, v3
	v_ashrrev_i32_e32 v11, 31, v3
	v_add_co_u32_e32 v10, vcc, s30, v3
	v_addc_co_u32_e32 v11, vcc, v8, v11, vcc
	global_load_sbyte v3, v[10:11], off
	v_add_co_u32_e32 v4, vcc, 0x100, v4
	v_addc_co_u32_e32 v5, vcc, 0, v5, vcc
	v_add_co_u32_e32 v6, vcc, 0x400, v6
	v_addc_co_u32_e32 v7, vcc, 0, v7, vcc
	v_cmp_le_i64_e32 vcc, s[12:13], v[4:5]
	s_waitcnt vmcnt(1)
	v_mul_lo_u32 v9, s62, v9
	s_or_b64 s[14:15], vcc, s[14:15]
	s_waitcnt vmcnt(0)
	v_mad_u64_u32 v[2:3], s[16:17], v9, v3, v[2:3]
	s_andn2_b64 exec, exec, s[14:15]
	s_cbranch_execnz .LBB48_57
; %bb.58:
	s_or_b64 exec, exec, s[14:15]
.LBB48_59:
	s_or_b64 exec, exec, s[0:1]
.LBB48_60:
	s_or_b64 exec, exec, s[10:11]
	s_movk_i32 s0, 0x80
	v_lshlrev_b32_e32 v1, 2, v0
	v_cmp_gt_u32_e32 vcc, s0, v0
	ds_write_b32 v1, v2
	s_waitcnt lgkmcnt(0)
	s_barrier
	s_and_saveexec_b64 s[0:1], vcc
	s_cbranch_execz .LBB48_62
; %bb.61:
	ds_read2st64_b32 v[2:3], v1 offset1:2
	s_waitcnt lgkmcnt(0)
	v_add_u32_e32 v2, v3, v2
	ds_write_b32 v1, v2
.LBB48_62:
	s_or_b64 exec, exec, s[0:1]
	v_cmp_gt_u32_e32 vcc, 64, v0
	s_waitcnt lgkmcnt(0)
	s_barrier
	s_and_saveexec_b64 s[0:1], vcc
	s_cbranch_execz .LBB48_64
; %bb.63:
	ds_read2st64_b32 v[2:3], v1 offset1:1
	s_waitcnt lgkmcnt(0)
	v_add_u32_e32 v2, v3, v2
	ds_write_b32 v1, v2
.LBB48_64:
	s_or_b64 exec, exec, s[0:1]
	v_cmp_gt_u32_e32 vcc, 32, v0
	s_waitcnt lgkmcnt(0)
	s_barrier
	s_and_saveexec_b64 s[0:1], vcc
	s_cbranch_execz .LBB48_66
; %bb.65:
	ds_read2_b32 v[2:3], v1 offset1:32
	s_waitcnt lgkmcnt(0)
	v_add_u32_e32 v2, v3, v2
	ds_write_b32 v1, v2
.LBB48_66:
	s_or_b64 exec, exec, s[0:1]
	v_cmp_gt_u32_e32 vcc, 16, v0
	s_waitcnt lgkmcnt(0)
	s_barrier
	s_and_saveexec_b64 s[0:1], vcc
	s_cbranch_execz .LBB48_68
; %bb.67:
	ds_read2_b32 v[2:3], v1 offset1:16
	s_waitcnt lgkmcnt(0)
	v_add_u32_e32 v2, v3, v2
	ds_write_b32 v1, v2
.LBB48_68:
	;; [unrolled: 12-line block ×5, first 2 shown]
	s_or_b64 exec, exec, s[0:1]
	v_cmp_eq_u32_e32 vcc, 0, v0
	s_waitcnt lgkmcnt(0)
	s_barrier
	s_and_saveexec_b64 s[0:1], vcc
	s_cbranch_execz .LBB48_76
; %bb.75:
	v_mov_b32_e32 v1, 0
	ds_read_b64 v[2:3], v1
	s_waitcnt lgkmcnt(0)
	v_add_u32_e32 v2, v3, v2
	ds_write_b32 v1, v2
.LBB48_76:
	s_or_b64 exec, exec, s[0:1]
	s_waitcnt lgkmcnt(0)
	s_barrier
	s_and_saveexec_b64 s[0:1], vcc
	s_cbranch_execz .LBB48_85
; %bb.77:
	s_cmp_eq_u32 s43, 0
	s_cbranch_scc1 .LBB48_83
; %bb.78:
	s_ashr_i32 s7, s6, 31
	s_lshl_b64 s[6:7], s[6:7], 2
	s_add_u32 s6, s8, s6
	s_addc_u32 s7, s9, s7
	v_mov_b32_e32 v1, 0
	s_branch .LBB48_80
.LBB48_79:                              ;   in Loop: Header=BB48_80 Depth=1
	s_or_b64 exec, exec, s[8:9]
	s_waitcnt vmcnt(0)
	v_readfirstlane_b32 s8, v2
	s_cmp_eq_u32 s8, s18
	s_cbranch_scc0 .LBB48_82
.LBB48_80:                              ; =>This Inner Loop Header: Depth=1
	v_mbcnt_lo_u32_b32 v2, exec_lo, 0
	v_mbcnt_hi_u32_b32 v2, exec_hi, v2
	v_cmp_eq_u32_e32 vcc, 0, v2
                                        ; implicit-def: $vgpr2
	s_and_saveexec_b64 s[8:9], vcc
	s_cbranch_execz .LBB48_79
; %bb.81:                               ;   in Loop: Header=BB48_80 Depth=1
	global_load_dword v2, v1, s[6:7] glc
	s_branch .LBB48_79
.LBB48_82:
	v_mov_b32_e32 v1, 0
	global_load_dword v2, v1, s[2:3]
	s_waitcnt vmcnt(0)
	v_xor_b32_e32 v2, 1, v2
	global_store_dword v1, v2, s[2:3]
.LBB48_83:
	s_mov_b64 s[2:3], exec
	v_mbcnt_lo_u32_b32 v1, s2, 0
	v_mbcnt_hi_u32_b32 v1, s3, v1
	v_cmp_eq_u32_e32 vcc, 0, v1
	s_and_b64 s[6:7], exec, vcc
	s_mov_b64 exec, s[6:7]
	s_cbranch_execz .LBB48_85
; %bb.84:
	v_mov_b32_e32 v1, 0
	ds_read_b32 v2, v1
	s_lshl_b64 s[6:7], s[36:37], 2
	s_add_u32 s6, s22, s6
	s_addc_u32 s7, s23, s7
	s_bcnt1_i32_b64 s2, s[2:3]
	s_waitcnt lgkmcnt(0)
	v_mul_lo_u32 v2, v2, s2
	global_atomic_add v1, v2, s[6:7]
.LBB48_85:
	s_or_b64 exec, exec, s[0:1]
.LBB48_86:
	s_mov_b64 s[0:1], 0
.LBB48_87:
	s_andn2_b64 vcc, exec, s[0:1]
	s_cbranch_vccnz .LBB48_148
; %bb.88:
	s_load_dwordx2 s[0:1], s[4:5], 0x8
	v_subrev_co_u32_e32 v1, vcc, s42, v0
	v_subb_co_u32_e64 v2, s[2:3], 0, 0, vcc
	s_waitcnt lgkmcnt(0)
	v_mov_b32_e32 v3, s41
	v_add_co_u32_e32 v4, vcc, s40, v1
	v_addc_co_u32_e32 v5, vcc, v3, v2, vcc
	v_add_co_u32_e32 v2, vcc, 0x300, v4
	v_addc_co_u32_e32 v3, vcc, 0, v5, vcc
	s_mov_b32 s16, 0
	v_cmp_le_i64_e32 vcc, s[0:1], v[2:3]
	s_and_saveexec_b64 s[0:1], vcc
	s_xor_b64 s[2:3], exec, s[0:1]
	s_cbranch_execz .LBB48_98
; %bb.89:
	s_lshl_b64 s[0:1], s[38:39], 3
	s_add_u32 s0, s24, s0
	s_addc_u32 s1, s25, s1
	s_load_dwordx2 s[0:1], s[0:1], 0x0
	s_waitcnt lgkmcnt(0)
	s_sub_u32 s4, s0, s42
	s_subb_u32 s5, s1, 0
	v_cmp_gt_i64_e32 vcc, s[4:5], v[4:5]
	s_and_saveexec_b64 s[6:7], vcc
	s_cbranch_execz .LBB48_97
; %bb.90:
	v_mov_b32_e32 v1, s41
	v_add_co_u32_e32 v2, vcc, s40, v0
	v_addc_co_u32_e32 v1, vcc, 0, v1, vcc
	v_mov_b32_e32 v3, s16
	v_subrev_co_u32_e32 v2, vcc, s42, v2
	v_subb_co_u32_e32 v1, vcc, v1, v3, vcc
	v_add_co_u32_e32 v2, vcc, 0x100, v2
	v_addc_co_u32_e32 v3, vcc, 0, v1, vcc
	v_mov_b32_e32 v1, s5
	v_cmp_lt_i64_e32 vcc, s[4:5], v[2:3]
	s_not_b64 s[0:1], s[40:41]
	v_cndmask_b32_e32 v1, v1, v3, vcc
	v_mov_b32_e32 v3, s4
	s_add_u32 s0, s0, s42
	v_cndmask_b32_e32 v2, v3, v2, vcc
	s_addc_u32 s1, s1, 0
	v_mov_b32_e32 v3, s1
	v_add_co_u32_e32 v2, vcc, s0, v2
	v_addc_co_u32_e32 v1, vcc, v3, v1, vcc
	v_sub_co_u32_e32 v2, vcc, v2, v0
	v_subbrev_co_u32_e32 v3, vcc, 0, v1, vcc
	s_mov_b64 s[0:1], 0xff
	s_mov_b64 s[8:9], 0x100
	v_cmp_lt_u64_e32 vcc, s[0:1], v[2:3]
	s_mov_b64 s[0:1], -1
	v_pk_mov_b32 v[10:11], 0, 0
	s_and_saveexec_b64 s[10:11], vcc
	s_cbranch_execz .LBB48_94
; %bb.91:
	v_lshrrev_b64 v[2:3], 8, v[2:3]
	v_add_co_u32_e32 v6, vcc, 1, v2
	v_addc_co_u32_e32 v7, vcc, 0, v3, vcc
	v_and_b32_e32 v8, -2, v6
	v_mov_b32_e32 v9, v7
	v_mov_b32_e32 v2, v4
	;; [unrolled: 1-line block ×3, first 2 shown]
	s_mov_b32 s17, s62
	s_mov_b32 s18, s42
	;; [unrolled: 1-line block ×3, first 2 shown]
	v_mov_b32_e32 v1, v0
	s_mov_b64 s[12:13], 0
	v_mov_b32_e32 v12, s29
	v_mov_b32_e32 v13, s27
	;; [unrolled: 1-line block ×3, first 2 shown]
	v_pk_mov_b32 v[10:11], v[8:9], v[8:9] op_sel:[0,1]
	s_mov_b64 s[14:15], 0
.LBB48_92:                              ; =>This Inner Loop Header: Depth=1
	v_mov_b32_e32 v17, s15
	v_add_co_u32_e32 v16, vcc, s14, v4
	v_addc_co_u32_e32 v17, vcc, v17, v5, vcc
	v_mov_b32_e32 v15, s9
	v_add_co_u32_e64 v18, s[0:1], s8, v2
	v_lshlrev_b64 v[20:21], 2, v[16:17]
	v_addc_co_u32_e64 v19, s[0:1], v15, v3, s[0:1]
	v_add_co_u32_e32 v20, vcc, s26, v20
	v_lshlrev_b64 v[22:23], 2, v[18:19]
	v_addc_co_u32_e32 v21, vcc, v13, v21, vcc
	v_add_co_u32_e32 v22, vcc, s26, v22
	v_addc_co_u32_e32 v23, vcc, v13, v23, vcc
	global_load_dword v15, v[20:21], off
	global_load_dword v24, v[22:23], off
	v_add_co_u32_e32 v18, vcc, s28, v18
	v_add_co_u32_e64 v16, s[0:1], s28, v16
	v_addc_co_u32_e32 v19, vcc, v12, v19, vcc
	v_addc_co_u32_e64 v17, s[0:1], v12, v17, s[0:1]
	global_load_sbyte v20, v[18:19], off
	global_load_sbyte v21, v[16:17], off
	s_waitcnt vmcnt(3)
	v_subrev_u32_e32 v15, s18, v15
	s_waitcnt vmcnt(2)
	v_subrev_u32_e32 v16, s19, v24
	v_ashrrev_i32_e32 v17, 31, v16
	v_add_co_u32_e32 v16, vcc, s30, v16
	v_ashrrev_i32_e32 v19, 31, v15
	v_add_co_u32_e64 v18, s[0:1], s30, v15
	v_addc_co_u32_e32 v17, vcc, v14, v17, vcc
	v_addc_co_u32_e64 v19, s[0:1], v14, v19, s[0:1]
	global_load_sbyte v15, v[16:17], off
	global_load_sbyte v22, v[18:19], off
	v_add_lshl_u32 v16, v0, s14, 2
	s_add_u32 s14, s14, 0x200
	v_add_co_u32_e32 v10, vcc, -2, v10
	s_addc_u32 s15, s15, 0
	v_add_lshl_u32 v17, v1, s8, 2
	v_addc_co_u32_e32 v11, vcc, -1, v11, vcc
	s_add_u32 s8, s8, 0x200
	v_cmp_eq_u64_e32 vcc, 0, v[10:11]
	s_addc_u32 s9, s9, 0
	s_waitcnt vmcnt(2)
	v_mul_lo_u32 v18, s62, v21
	s_or_b64 s[12:13], vcc, s[12:13]
	v_mul_lo_u32 v19, s17, v20
	s_waitcnt vmcnt(1)
	v_mul_lo_u32 v15, v19, v15
	s_waitcnt vmcnt(0)
	v_mul_lo_u32 v18, v18, v22
	ds_write_b32 v16, v18
	ds_write_b32 v17, v15
	s_andn2_b64 exec, exec, s[12:13]
	s_cbranch_execnz .LBB48_92
; %bb.93:
	s_or_b64 exec, exec, s[12:13]
	v_cmp_ne_u64_e32 vcc, v[6:7], v[8:9]
	v_lshlrev_b64 v[10:11], 8, v[8:9]
	s_orn2_b64 s[0:1], vcc, exec
.LBB48_94:
	s_or_b64 exec, exec, s[10:11]
	s_and_b64 exec, exec, s[0:1]
	s_cbranch_execz .LBB48_97
; %bb.95:
	v_mov_b32_e32 v1, s41
	v_add_co_u32_e32 v2, vcc, s40, v10
	v_addc_co_u32_e32 v1, vcc, v11, v1, vcc
	v_add_co_u32_e32 v2, vcc, v2, v0
	v_addc_co_u32_e32 v1, vcc, 0, v1, vcc
	v_mov_b32_e32 v3, s16
	v_subrev_co_u32_e32 v2, vcc, s42, v2
	v_subb_co_u32_e32 v3, vcc, v1, v3, vcc
	v_lshlrev_b64 v[4:5], 2, v[2:3]
	v_mov_b32_e32 v6, s27
	v_add_co_u32_e32 v4, vcc, s26, v4
	v_add_lshl_u32 v1, v0, v10, 2
	v_addc_co_u32_e32 v5, vcc, v6, v5, vcc
	s_mov_b64 s[0:1], 0
	v_mov_b32_e32 v6, s29
	v_mov_b32_e32 v7, s31
.LBB48_96:                              ; =>This Inner Loop Header: Depth=1
	global_load_dword v10, v[4:5], off
	v_add_co_u32_e32 v8, vcc, s28, v2
	v_addc_co_u32_e32 v9, vcc, v6, v3, vcc
	global_load_sbyte v11, v[8:9], off
	s_waitcnt vmcnt(1)
	v_subrev_u32_e32 v8, s42, v10
	v_ashrrev_i32_e32 v9, 31, v8
	v_add_co_u32_e32 v8, vcc, s30, v8
	v_addc_co_u32_e32 v9, vcc, v7, v9, vcc
	global_load_sbyte v8, v[8:9], off
	v_add_co_u32_e32 v2, vcc, 0x100, v2
	v_addc_co_u32_e32 v3, vcc, 0, v3, vcc
	v_add_co_u32_e32 v4, vcc, 0x400, v4
	v_addc_co_u32_e32 v5, vcc, 0, v5, vcc
	s_waitcnt vmcnt(1)
	v_mul_lo_u32 v9, s62, v11
	v_cmp_le_i64_e32 vcc, s[4:5], v[2:3]
	s_or_b64 s[0:1], vcc, s[0:1]
	s_waitcnt vmcnt(0)
	v_mul_lo_u32 v8, v9, v8
	ds_write_b32 v1, v8
	v_add_u32_e32 v1, 0x400, v1
	s_andn2_b64 exec, exec, s[0:1]
	s_cbranch_execnz .LBB48_96
.LBB48_97:
	s_or_b64 exec, exec, s[6:7]
                                        ; implicit-def: $vgpr4
.LBB48_98:
	s_or_saveexec_b64 s[0:1], s[2:3]
	v_lshlrev_b32_e32 v1, 2, v0
	s_xor_b64 exec, exec, s[0:1]
	s_cbranch_execz .LBB48_100
; %bb.99:
	v_lshlrev_b64 v[2:3], 2, v[4:5]
	v_mov_b32_e32 v6, s27
	v_add_co_u32_e32 v2, vcc, s26, v2
	v_addc_co_u32_e32 v3, vcc, v6, v3, vcc
	global_load_dword v6, v[2:3], off
	global_load_dword v7, v[2:3], off offset:1024
	global_load_dword v8, v[2:3], off offset:2048
	;; [unrolled: 1-line block ×3, first 2 shown]
	v_mov_b32_e32 v3, s29
	v_add_co_u32_e32 v2, vcc, s28, v4
	v_addc_co_u32_e32 v3, vcc, v3, v5, vcc
	global_load_sbyte v11, v[2:3], off
	global_load_sbyte v12, v[2:3], off offset:256
	global_load_sbyte v13, v[2:3], off offset:512
	;; [unrolled: 1-line block ×3, first 2 shown]
	v_mov_b32_e32 v10, s31
	s_waitcnt vmcnt(7)
	v_subrev_u32_e32 v2, s42, v6
	v_ashrrev_i32_e32 v3, 31, v2
	v_add_co_u32_e32 v2, vcc, s30, v2
	s_waitcnt vmcnt(6)
	v_subrev_u32_e32 v4, s42, v7
	v_addc_co_u32_e32 v3, vcc, v10, v3, vcc
	v_ashrrev_i32_e32 v5, 31, v4
	v_add_co_u32_e32 v4, vcc, s30, v4
	s_waitcnt vmcnt(5)
	v_subrev_u32_e32 v6, s42, v8
	v_addc_co_u32_e32 v5, vcc, v10, v5, vcc
	;; [unrolled: 5-line block ×3, first 2 shown]
	v_ashrrev_i32_e32 v9, 31, v8
	v_add_co_u32_e32 v8, vcc, s30, v8
	v_addc_co_u32_e32 v9, vcc, v10, v9, vcc
	global_load_sbyte v10, v[2:3], off
	global_load_sbyte v15, v[4:5], off
	;; [unrolled: 1-line block ×4, first 2 shown]
	s_waitcnt vmcnt(7)
	v_mul_lo_u32 v2, s62, v11
	s_waitcnt vmcnt(6)
	v_mul_lo_u32 v3, s62, v12
	s_waitcnt vmcnt(5)
	v_mul_lo_u32 v4, s62, v13
	s_waitcnt vmcnt(4)
	v_mul_lo_u32 v5, s62, v14
	s_waitcnt vmcnt(3)
	v_mul_lo_u32 v2, v2, v10
	s_waitcnt vmcnt(2)
	v_mul_lo_u32 v3, v3, v15
	s_waitcnt vmcnt(1)
	v_mul_lo_u32 v4, v4, v16
	s_waitcnt vmcnt(0)
	v_mul_lo_u32 v5, v5, v17
	ds_write2st64_b32 v1, v2, v3 offset1:4
	ds_write2st64_b32 v1, v4, v5 offset0:8 offset1:12
.LBB48_100:
	s_or_b64 exec, exec, s[0:1]
	s_cmp_lt_i32 s43, 2
	s_mov_b64 s[0:1], -1
	s_waitcnt lgkmcnt(0)
	s_barrier
	s_cbranch_scc0 .LBB48_123
; %bb.101:
	v_mov_b32_e32 v2, s37
	v_add_co_u32_e32 v6, vcc, s36, v0
	v_addc_co_u32_e32 v7, vcc, 0, v2, vcc
	v_cmp_gt_i64_e32 vcc, s[38:39], v[6:7]
	s_and_saveexec_b64 s[0:1], vcc
	s_cbranch_execz .LBB48_122
; %bb.102:
	s_cmp_lg_u32 s33, 0
	s_cselect_b64 s[2:3], -1, 0
	s_lshl_b32 s4, s40, 2
	s_sub_i32 s16, 0, s4
	s_sub_i32 s17, 0, s40
	s_mov_b64 s[4:5], 0
	v_mov_b32_e32 v10, s25
	s_branch .LBB48_104
.LBB48_103:                             ;   in Loop: Header=BB48_104 Depth=1
	v_mov_b32_e32 v4, s23
	v_add_co_u32_e32 v2, vcc, s22, v2
	v_addc_co_u32_e32 v3, vcc, v4, v3, vcc
	v_add_co_u32_e32 v6, vcc, 0x100, v6
	v_addc_co_u32_e32 v7, vcc, 0, v7, vcc
	v_cmp_le_i64_e32 vcc, s[38:39], v[6:7]
	s_or_b64 s[4:5], vcc, s[4:5]
	global_store_dword v[2:3], v8, off
	s_andn2_b64 exec, exec, s[4:5]
	s_cbranch_execz .LBB48_122
.LBB48_104:                             ; =>This Loop Header: Depth=1
                                        ;     Child Loop BB48_108 Depth 2
                                        ;     Child Loop BB48_112 Depth 2
	;; [unrolled: 1-line block ×3, first 2 shown]
	v_lshlrev_b64 v[2:3], 3, v[6:7]
	v_add_co_u32_e32 v2, vcc, s24, v2
	v_addc_co_u32_e32 v3, vcc, v10, v3, vcc
	global_load_dwordx4 v[2:5], v[2:3], off
	v_mov_b32_e32 v8, 0
	s_waitcnt vmcnt(0)
	v_subrev_u32_e32 v3, s40, v2
	v_subrev_u32_e32 v9, s40, v4
	v_cmp_lt_i32_e32 vcc, v3, v9
	s_and_saveexec_b64 s[6:7], vcc
	s_cbranch_execz .LBB48_120
; %bb.105:                              ;   in Loop: Header=BB48_104 Depth=1
	v_sub_u32_e32 v11, v4, v2
	v_cmp_lt_u32_e32 vcc, 1, v11
	s_mov_b64 s[10:11], -1
	v_mov_b32_e32 v8, 0
	s_and_saveexec_b64 s[8:9], vcc
	s_cbranch_execz .LBB48_115
; %bb.106:                              ;   in Loop: Header=BB48_104 Depth=1
	v_add_u32_e32 v4, -2, v11
	s_mov_b32 s12, 0
	v_lshrrev_b32_e32 v5, 1, v4
	s_mov_b32 s13, s12
	v_add_u32_e32 v8, 1, v5
	v_cmp_lt_u32_e32 vcc, 13, v4
	v_pk_mov_b32 v[4:5], s[12:13], s[12:13] op_sel:[0,1]
	v_mov_b32_e32 v14, 0
	s_and_saveexec_b64 s[10:11], vcc
	s_cbranch_execz .LBB48_110
; %bb.107:                              ;   in Loop: Header=BB48_104 Depth=1
	v_and_b32_e32 v12, -8, v8
	v_lshl_add_u32 v13, v2, 2, s16
	s_mov_b64 s[14:15], 0
	v_mov_b32_e32 v4, 0
	v_mov_b32_e32 v5, 0
.LBB48_108:                             ;   Parent Loop BB48_104 Depth=1
                                        ; =>  This Inner Loop Header: Depth=2
	ds_read2_b32 v[16:17], v13 offset1:1
	ds_read2_b32 v[18:19], v13 offset0:2 offset1:3
	ds_read2_b32 v[20:21], v13 offset0:4 offset1:5
	;; [unrolled: 1-line block ×7, first 2 shown]
	s_waitcnt lgkmcnt(6)
	v_add3_u32 v4, v16, v4, v18
	v_add3_u32 v5, v17, v5, v19
	v_add_u32_e32 v12, -8, v12
	s_waitcnt lgkmcnt(4)
	v_add3_u32 v5, v21, v5, v23
	v_add3_u32 v4, v20, v4, v22
	s_add_i32 s12, s12, 16
	v_cmp_eq_u32_e32 vcc, 0, v12
	s_waitcnt lgkmcnt(2)
	v_add3_u32 v4, v24, v4, v26
	v_add3_u32 v5, v25, v5, v27
	v_add_u32_e32 v13, 64, v13
	v_mov_b32_e32 v14, s12
	s_or_b64 s[14:15], vcc, s[14:15]
	s_waitcnt lgkmcnt(0)
	v_add3_u32 v5, v29, v5, v31
	v_add3_u32 v4, v28, v4, v30
	s_andn2_b64 exec, exec, s[14:15]
	s_cbranch_execnz .LBB48_108
; %bb.109:                              ;   in Loop: Header=BB48_104 Depth=1
	s_or_b64 exec, exec, s[14:15]
.LBB48_110:                             ;   in Loop: Header=BB48_104 Depth=1
	s_or_b64 exec, exec, s[10:11]
	v_and_b32_e32 v8, 7, v8
	v_cmp_ne_u32_e32 vcc, 0, v8
	s_and_saveexec_b64 s[10:11], vcc
	s_cbranch_execz .LBB48_114
; %bb.111:                              ;   in Loop: Header=BB48_104 Depth=1
	v_add_u32_e32 v12, s17, v14
	v_add_lshl_u32 v2, v12, v2, 2
	v_lshlrev_b32_e32 v8, 3, v8
	s_mov_b64 s[12:13], 0
.LBB48_112:                             ;   Parent Loop BB48_104 Depth=1
                                        ; =>  This Inner Loop Header: Depth=2
	ds_read2_b32 v[12:13], v2 offset1:1
	v_add_u32_e32 v8, -8, v8
	v_cmp_eq_u32_e32 vcc, 0, v8
	v_add_u32_e32 v2, 8, v2
	s_or_b64 s[12:13], vcc, s[12:13]
	s_waitcnt lgkmcnt(0)
	v_add_u32_e32 v5, v13, v5
	v_add_u32_e32 v4, v12, v4
	s_andn2_b64 exec, exec, s[12:13]
	s_cbranch_execnz .LBB48_112
; %bb.113:                              ;   in Loop: Header=BB48_104 Depth=1
	s_or_b64 exec, exec, s[12:13]
.LBB48_114:                             ;   in Loop: Header=BB48_104 Depth=1
	s_or_b64 exec, exec, s[10:11]
	v_and_b32_e32 v2, -2, v11
	v_cmp_ne_u32_e32 vcc, v11, v2
	v_add_u32_e32 v3, v2, v3
	v_add_u32_e32 v8, v4, v5
	s_orn2_b64 s[10:11], vcc, exec
.LBB48_115:                             ;   in Loop: Header=BB48_104 Depth=1
	s_or_b64 exec, exec, s[8:9]
	s_and_saveexec_b64 s[8:9], s[10:11]
	s_cbranch_execz .LBB48_119
; %bb.116:                              ;   in Loop: Header=BB48_104 Depth=1
	v_lshlrev_b32_e32 v2, 2, v3
	s_mov_b64 s[10:11], 0
.LBB48_117:                             ;   Parent Loop BB48_104 Depth=1
                                        ; =>  This Inner Loop Header: Depth=2
	ds_read_b32 v4, v2
	v_add_u32_e32 v3, 1, v3
	v_cmp_ge_i32_e32 vcc, v3, v9
	v_add_u32_e32 v2, 4, v2
	s_or_b64 s[10:11], vcc, s[10:11]
	s_waitcnt lgkmcnt(0)
	v_add_u32_e32 v8, v4, v8
	s_andn2_b64 exec, exec, s[10:11]
	s_cbranch_execnz .LBB48_117
; %bb.118:                              ;   in Loop: Header=BB48_104 Depth=1
	s_or_b64 exec, exec, s[10:11]
.LBB48_119:                             ;   in Loop: Header=BB48_104 Depth=1
	s_or_b64 exec, exec, s[8:9]
.LBB48_120:                             ;   in Loop: Header=BB48_104 Depth=1
	s_or_b64 exec, exec, s[6:7]
	s_and_b64 vcc, exec, s[2:3]
	v_lshlrev_b64 v[2:3], 2, v[6:7]
	s_cbranch_vccz .LBB48_103
; %bb.121:                              ;   in Loop: Header=BB48_104 Depth=1
	v_mov_b32_e32 v5, s23
	v_add_co_u32_e32 v4, vcc, s22, v2
	v_addc_co_u32_e32 v5, vcc, v5, v3, vcc
	global_load_dword v4, v[4:5], off
	s_waitcnt vmcnt(0)
	v_mad_u64_u32 v[8:9], s[6:7], v4, s33, v[8:9]
	s_branch .LBB48_103
.LBB48_122:
	s_or_b64 exec, exec, s[0:1]
	s_mov_b64 s[0:1], 0
.LBB48_123:
	s_andn2_b64 vcc, exec, s[0:1]
	s_cbranch_vccnz .LBB48_148
; %bb.124:
	s_flbit_i32_b32 s0, s43
	s_xor_b32 s0, s0, 31
	v_lshrrev_b32_e32 v4, s0, v0
	v_mov_b32_e32 v3, s37
	v_add_co_u32_e32 v2, vcc, s36, v4
	v_addc_co_u32_e32 v3, vcc, 0, v3, vcc
	s_add_i32 s0, s43, -1
	v_mov_b32_e32 v6, 0
	v_and_b32_e32 v5, s0, v0
	v_cmp_le_i64_e32 vcc, s[38:39], v[2:3]
	v_cmp_gt_i64_e64 s[0:1], s[38:39], v[2:3]
	s_and_saveexec_b64 s[2:3], s[0:1]
	s_cbranch_execz .LBB48_130
; %bb.125:
	v_lshlrev_b32_e32 v0, 3, v4
	global_load_dword v4, v0, s[34:35] offset:8
	global_load_dword v6, v0, s[34:35]
	s_waitcnt vmcnt(1)
	v_subrev_u32_e32 v0, s40, v4
	s_waitcnt vmcnt(0)
	v_subrev_u32_e32 v4, s40, v6
	v_add_u32_e32 v4, v5, v4
	v_cmp_lt_i32_e64 s[0:1], v4, v0
	v_mov_b32_e32 v6, 0
	s_and_saveexec_b64 s[4:5], s[0:1]
	s_cbranch_execz .LBB48_129
; %bb.126:
	v_lshlrev_b32_e32 v7, 2, v4
	s_lshl_b32 s8, s43, 2
	s_mov_b64 s[6:7], 0
	v_mov_b32_e32 v6, 0
.LBB48_127:                             ; =>This Inner Loop Header: Depth=1
	ds_read_b32 v8, v7
	v_add_u32_e32 v4, s43, v4
	v_cmp_ge_i32_e64 s[0:1], v4, v0
	v_add_u32_e32 v7, s8, v7
	s_or_b64 s[6:7], s[0:1], s[6:7]
	s_waitcnt lgkmcnt(0)
	v_add_u32_e32 v6, v8, v6
	s_andn2_b64 exec, exec, s[6:7]
	s_cbranch_execnz .LBB48_127
; %bb.128:
	s_or_b64 exec, exec, s[6:7]
.LBB48_129:
	s_or_b64 exec, exec, s[4:5]
.LBB48_130:
	s_or_b64 exec, exec, s[2:3]
	s_cmpk_lt_i32 s43, 0x81
	s_barrier
	ds_write_b32 v1, v6
	s_waitcnt lgkmcnt(0)
	s_barrier
	s_cbranch_scc1 .LBB48_132
; %bb.131:
	ds_read_b32 v0, v1 offset:512
	s_waitcnt lgkmcnt(0)
	s_barrier
	v_add_u32_e32 v6, v0, v6
	ds_write_b32 v1, v6
.LBB48_132:
	s_cmpk_lt_i32 s43, 0x41
	s_waitcnt lgkmcnt(0)
	s_barrier
	s_cbranch_scc1 .LBB48_134
; %bb.133:
	ds_read_b32 v0, v1 offset:256
	s_waitcnt lgkmcnt(0)
	s_barrier
	v_add_u32_e32 v6, v0, v6
	ds_write_b32 v1, v6
.LBB48_134:
	s_cmp_lt_i32 s43, 33
	s_waitcnt lgkmcnt(0)
	s_barrier
	s_cbranch_scc1 .LBB48_136
; %bb.135:
	ds_read_b32 v0, v1 offset:128
	s_waitcnt lgkmcnt(0)
	s_barrier
	v_add_u32_e32 v6, v0, v6
	ds_write_b32 v1, v6
.LBB48_136:
	s_cmp_lt_i32 s43, 17
	;; [unrolled: 11-line block ×4, first 2 shown]
	s_waitcnt lgkmcnt(0)
	s_barrier
	s_cbranch_scc1 .LBB48_142
; %bb.141:
	ds_read_b32 v0, v1 offset:16
	s_waitcnt lgkmcnt(0)
	s_barrier
	v_add_u32_e32 v6, v0, v6
	ds_write_b32 v1, v6
.LBB48_142:
	s_cmp_eq_u32 s43, 2
	s_waitcnt lgkmcnt(0)
	s_barrier
	s_cbranch_scc1 .LBB48_144
; %bb.143:
	ds_read_b32 v0, v1 offset:8
	s_waitcnt lgkmcnt(0)
	s_barrier
	v_add_u32_e32 v6, v0, v6
	ds_write_b32 v1, v6
.LBB48_144:
	s_waitcnt lgkmcnt(0)
	s_barrier
	ds_read_b32 v0, v1 offset:4
	v_cmp_eq_u32_e64 s[0:1], 0, v5
	s_xor_b64 s[2:3], vcc, -1
	s_and_b64 s[0:1], s[0:1], s[2:3]
	s_waitcnt lgkmcnt(0)
	v_add_u32_e32 v0, v0, v6
	s_barrier
	ds_write_b32 v1, v0
	s_and_saveexec_b64 s[2:3], s[0:1]
	s_cbranch_execz .LBB48_148
; %bb.145:
	s_cmp_eq_u32 s33, 0
	v_lshlrev_b64 v[2:3], 2, v[2:3]
	s_cbranch_scc1 .LBB48_147
; %bb.146:
	v_mov_b32_e32 v1, s23
	v_add_co_u32_e32 v4, vcc, s22, v2
	v_addc_co_u32_e32 v5, vcc, v1, v3, vcc
	global_load_dword v1, v[4:5], off
	s_waitcnt vmcnt(0)
	v_mad_u64_u32 v[0:1], s[0:1], v1, s33, v[0:1]
.LBB48_147:
	v_mov_b32_e32 v1, s23
	v_add_co_u32_e32 v2, vcc, s22, v2
	v_addc_co_u32_e32 v3, vcc, v1, v3, vcc
	global_store_dword v[2:3], v0, off
.LBB48_148:
	s_endpgm
	.section	.rodata,"a",@progbits
	.p2align	6, 0x0
	.amdhsa_kernel _ZN9rocsparseL22csrmvn_adaptive_kernelIliaaiiEEvbT_PKS1_PjPKT0_NS_24const_host_device_scalarIT4_EES3_S7_PKT1_PKT2_SA_PT3_21rocsparse_index_base_b
		.amdhsa_group_segment_fixed_size 4096
		.amdhsa_private_segment_fixed_size 0
		.amdhsa_kernarg_size 104
		.amdhsa_user_sgpr_count 6
		.amdhsa_user_sgpr_private_segment_buffer 1
		.amdhsa_user_sgpr_dispatch_ptr 0
		.amdhsa_user_sgpr_queue_ptr 0
		.amdhsa_user_sgpr_kernarg_segment_ptr 1
		.amdhsa_user_sgpr_dispatch_id 0
		.amdhsa_user_sgpr_flat_scratch_init 0
		.amdhsa_user_sgpr_kernarg_preload_length 0
		.amdhsa_user_sgpr_kernarg_preload_offset 0
		.amdhsa_user_sgpr_private_segment_size 0
		.amdhsa_uses_dynamic_stack 0
		.amdhsa_system_sgpr_private_segment_wavefront_offset 0
		.amdhsa_system_sgpr_workgroup_id_x 1
		.amdhsa_system_sgpr_workgroup_id_y 0
		.amdhsa_system_sgpr_workgroup_id_z 0
		.amdhsa_system_sgpr_workgroup_info 0
		.amdhsa_system_vgpr_workitem_id 0
		.amdhsa_next_free_vgpr 34
		.amdhsa_next_free_sgpr 68
		.amdhsa_accum_offset 36
		.amdhsa_reserve_vcc 1
		.amdhsa_reserve_flat_scratch 0
		.amdhsa_float_round_mode_32 0
		.amdhsa_float_round_mode_16_64 0
		.amdhsa_float_denorm_mode_32 3
		.amdhsa_float_denorm_mode_16_64 3
		.amdhsa_dx10_clamp 1
		.amdhsa_ieee_mode 1
		.amdhsa_fp16_overflow 0
		.amdhsa_tg_split 0
		.amdhsa_exception_fp_ieee_invalid_op 0
		.amdhsa_exception_fp_denorm_src 0
		.amdhsa_exception_fp_ieee_div_zero 0
		.amdhsa_exception_fp_ieee_overflow 0
		.amdhsa_exception_fp_ieee_underflow 0
		.amdhsa_exception_fp_ieee_inexact 0
		.amdhsa_exception_int_div_zero 0
	.end_amdhsa_kernel
	.section	.text._ZN9rocsparseL22csrmvn_adaptive_kernelIliaaiiEEvbT_PKS1_PjPKT0_NS_24const_host_device_scalarIT4_EES3_S7_PKT1_PKT2_SA_PT3_21rocsparse_index_base_b,"axG",@progbits,_ZN9rocsparseL22csrmvn_adaptive_kernelIliaaiiEEvbT_PKS1_PjPKT0_NS_24const_host_device_scalarIT4_EES3_S7_PKT1_PKT2_SA_PT3_21rocsparse_index_base_b,comdat
.Lfunc_end48:
	.size	_ZN9rocsparseL22csrmvn_adaptive_kernelIliaaiiEEvbT_PKS1_PjPKT0_NS_24const_host_device_scalarIT4_EES3_S7_PKT1_PKT2_SA_PT3_21rocsparse_index_base_b, .Lfunc_end48-_ZN9rocsparseL22csrmvn_adaptive_kernelIliaaiiEEvbT_PKS1_PjPKT0_NS_24const_host_device_scalarIT4_EES3_S7_PKT1_PKT2_SA_PT3_21rocsparse_index_base_b
                                        ; -- End function
	.section	.AMDGPU.csdata,"",@progbits
; Kernel info:
; codeLenInByte = 5740
; NumSgprs: 72
; NumVgprs: 34
; NumAgprs: 0
; TotalNumVgprs: 34
; ScratchSize: 0
; MemoryBound: 0
; FloatMode: 240
; IeeeMode: 1
; LDSByteSize: 4096 bytes/workgroup (compile time only)
; SGPRBlocks: 8
; VGPRBlocks: 4
; NumSGPRsForWavesPerEU: 72
; NumVGPRsForWavesPerEU: 34
; AccumOffset: 36
; Occupancy: 8
; WaveLimiterHint : 1
; COMPUTE_PGM_RSRC2:SCRATCH_EN: 0
; COMPUTE_PGM_RSRC2:USER_SGPR: 6
; COMPUTE_PGM_RSRC2:TRAP_HANDLER: 0
; COMPUTE_PGM_RSRC2:TGID_X_EN: 1
; COMPUTE_PGM_RSRC2:TGID_Y_EN: 0
; COMPUTE_PGM_RSRC2:TGID_Z_EN: 0
; COMPUTE_PGM_RSRC2:TIDIG_COMP_CNT: 0
; COMPUTE_PGM_RSRC3_GFX90A:ACCUM_OFFSET: 8
; COMPUTE_PGM_RSRC3_GFX90A:TG_SPLIT: 0
	.section	.text._ZN9rocsparseL27csrmvn_symm_adaptive_kernelIliaaiiEEvbT_S1_PKS1_NS_24const_host_device_scalarIT4_EES3_PKT0_PKT1_PKT2_S6_PT3_21rocsparse_index_base_b,"axG",@progbits,_ZN9rocsparseL27csrmvn_symm_adaptive_kernelIliaaiiEEvbT_S1_PKS1_NS_24const_host_device_scalarIT4_EES3_PKT0_PKT1_PKT2_S6_PT3_21rocsparse_index_base_b,comdat
	.globl	_ZN9rocsparseL27csrmvn_symm_adaptive_kernelIliaaiiEEvbT_S1_PKS1_NS_24const_host_device_scalarIT4_EES3_PKT0_PKT1_PKT2_S6_PT3_21rocsparse_index_base_b ; -- Begin function _ZN9rocsparseL27csrmvn_symm_adaptive_kernelIliaaiiEEvbT_S1_PKS1_NS_24const_host_device_scalarIT4_EES3_PKT0_PKT1_PKT2_S6_PT3_21rocsparse_index_base_b
	.p2align	8
	.type	_ZN9rocsparseL27csrmvn_symm_adaptive_kernelIliaaiiEEvbT_S1_PKS1_NS_24const_host_device_scalarIT4_EES3_PKT0_PKT1_PKT2_S6_PT3_21rocsparse_index_base_b,@function
_ZN9rocsparseL27csrmvn_symm_adaptive_kernelIliaaiiEEvbT_S1_PKS1_NS_24const_host_device_scalarIT4_EES3_PKT0_PKT1_PKT2_S6_PT3_21rocsparse_index_base_b: ; @_ZN9rocsparseL27csrmvn_symm_adaptive_kernelIliaaiiEEvbT_S1_PKS1_NS_24const_host_device_scalarIT4_EES3_PKT0_PKT1_PKT2_S6_PT3_21rocsparse_index_base_b
; %bb.0:
	s_load_dwordx2 s[30:31], s[4:5], 0x58
	s_load_dwordx2 s[8:9], s[4:5], 0x20
	s_mov_b64 s[10:11], -1
                                        ; implicit-def: $sgpr33
	s_waitcnt lgkmcnt(0)
	s_bitcmp1_b32 s31, 0
	s_cselect_b64 s[0:1], -1, 0
	s_xor_b64 s[2:3], s[0:1], -1
	s_and_b64 vcc, exec, s[2:3]
	s_cbranch_vccnz .LBB49_4
; %bb.1:
	s_load_dwordx2 s[0:1], s[4:5], 0x48
	s_andn2_b64 vcc, exec, s[10:11]
	s_cbranch_vccz .LBB49_5
.LBB49_2:
	s_and_b64 vcc, exec, s[2:3]
	s_cbranch_vccz .LBB49_6
.LBB49_3:
	s_waitcnt lgkmcnt(0)
	s_load_dword s1, s[0:1], 0x0
	s_cbranch_execz .LBB49_7
	s_branch .LBB49_8
.LBB49_4:
	s_load_dword s33, s[8:9], 0x0
	s_load_dwordx2 s[0:1], s[4:5], 0x48
	s_cbranch_execnz .LBB49_2
.LBB49_5:
	s_waitcnt lgkmcnt(0)
	s_mov_b32 s33, s8
	s_and_b64 vcc, exec, s[2:3]
	s_cbranch_vccnz .LBB49_3
.LBB49_6:
                                        ; implicit-def: $sgpr1
.LBB49_7:
	s_waitcnt lgkmcnt(0)
	s_mov_b32 s1, s0
.LBB49_8:
	s_waitcnt lgkmcnt(0)
	s_cmp_lg_u32 s33, 0
	s_cselect_b64 s[2:3], -1, 0
	s_cmp_lg_u32 s1, 1
	s_cselect_b64 s[0:1], -1, 0
	s_or_b64 s[0:1], s[2:3], s[0:1]
	s_andn2_b64 vcc, exec, s[0:1]
	s_cbranch_vccnz .LBB49_179
; %bb.9:
	s_load_dwordx2 s[0:1], s[4:5], 0x18
	s_ashr_i32 s7, s6, 31
	s_lshl_b64 s[2:3], s[6:7], 3
	v_lshlrev_b32_e32 v16, 2, v0
	v_mov_b32_e32 v1, 0
	s_waitcnt lgkmcnt(0)
	s_add_u32 s0, s0, s2
	s_addc_u32 s1, s1, s3
	ds_write2st64_b32 v16, v1, v1 offset1:4
	ds_write2st64_b32 v16, v1, v1 offset0:8 offset1:12
	s_waitcnt lgkmcnt(0)
	s_barrier
	s_load_dwordx4 s[24:27], s[0:1], 0x0
	s_load_dwordx8 s[16:23], s[4:5], 0x28
	s_load_dwordx2 s[14:15], s[4:5], 0x50
	s_mov_b64 s[0:1], -1
	s_waitcnt lgkmcnt(0)
	s_sub_u32 s28, s26, s24
	s_subb_u32 s29, s27, s25
	v_cmp_gt_i64_e64 s[2:3], s[28:29], 2
	s_and_b64 vcc, exec, s[2:3]
	s_cbranch_vccnz .LBB49_48
; %bb.10:
	v_pk_mov_b32 v[2:3], s[24:25], s[24:25] op_sel:[0,1]
	v_cmp_gt_i64_e32 vcc, s[26:27], v[2:3]
	v_subrev_co_u32_e64 v1, s[0:1], s30, v0
	s_mov_b32 s31, 0
	v_subb_co_u32_e64 v14, s[0:1], 0, 0, s[0:1]
	s_cbranch_vccnz .LBB49_12
; %bb.11:
	s_lshl_b64 s[0:1], s[24:25], 3
	s_add_u32 s0, s16, s0
	s_addc_u32 s1, s17, s1
	s_load_dwordx2 s[34:35], s[0:1], 0x0
	s_cbranch_execz .LBB49_13
	s_branch .LBB49_38
.LBB49_12:
                                        ; implicit-def: $sgpr34_sgpr35
.LBB49_13:
	s_lshl_b64 s[12:13], s[24:25], 3
	v_not_b32_e32 v3, v0
	s_add_u32 s12, s16, s12
	v_not_b32_e32 v2, 0
	v_mov_b32_e32 v4, s31
	v_add_co_u32_e32 v15, vcc, s30, v3
	s_addc_u32 s13, s17, s13
	v_addc_co_u32_e32 v17, vcc, v2, v4, vcc
	s_waitcnt lgkmcnt(0)
	s_load_dwordx2 s[34:35], s[12:13], 0x0
	v_subrev_co_u32_e32 v2, vcc, s30, v0
	s_movk_i32 s36, 0x100
	v_subb_co_u32_e32 v3, vcc, 0, v4, vcc
	v_add_co_u32_e32 v18, vcc, s36, v2
	s_add_u32 s52, s16, 8
	v_addc_co_u32_e32 v19, vcc, 0, v3, vcc
	s_addc_u32 s53, s17, 0
	s_add_u32 s54, s18, 0x400
	v_mov_b32_e32 v2, s21
	v_add_co_u32_e32 v20, vcc, s20, v18
	v_cmp_gt_u32_e64 s[0:1], s36, v0
	v_cmp_gt_u32_e64 s[2:3], 64, v0
	v_cmp_gt_u32_e64 s[6:7], 16, v0
	v_cmp_gt_u32_e64 s[8:9], 4, v0
	v_cmp_eq_u32_e64 s[10:11], 0, v0
	s_mov_b32 s50, s30
	s_mov_b32 s51, s30
	s_addc_u32 s55, s19, 0
	v_addc_co_u32_e32 v21, vcc, v2, v19, vcc
	s_mov_b64 s[36:37], 0xff
	v_mov_b32_e32 v22, s23
	v_mov_b32_e32 v23, 0
	s_waitcnt lgkmcnt(0)
	s_mov_b64 s[12:13], s[34:35]
	s_mov_b64 s[38:39], s[24:25]
	s_branch .LBB49_15
.LBB49_14:                              ;   in Loop: Header=BB49_15 Depth=1
	s_or_b64 exec, exec, s[12:13]
	s_add_u32 s38, s38, 1
	s_addc_u32 s39, s39, 0
	v_pk_mov_b32 v[2:3], s[26:27], s[26:27] op_sel:[0,1]
	v_cmp_ge_i64_e32 vcc, s[38:39], v[2:3]
	s_mov_b64 s[12:13], s[40:41]
	s_cbranch_vccnz .LBB49_38
.LBB49_15:                              ; =>This Loop Header: Depth=1
                                        ;     Child Loop BB49_18 Depth 2
                                        ;     Child Loop BB49_22 Depth 2
	s_lshl_b64 s[40:41], s[38:39], 3
	s_add_u32 s40, s52, s40
	s_addc_u32 s41, s53, s41
	s_load_dwordx2 s[40:41], s[40:41], 0x0
	v_mov_b32_e32 v3, s13
	v_add_co_u32_e32 v2, vcc, s12, v1
	v_addc_co_u32_e32 v3, vcc, v3, v14, vcc
	s_waitcnt lgkmcnt(0)
	s_sub_u32 s44, s40, s30
	s_subb_u32 s45, s41, 0
	v_cmp_gt_i64_e32 vcc, s[44:45], v[2:3]
	v_mov_b32_e32 v8, 0
	s_and_saveexec_b64 s[42:43], vcc
	s_cbranch_execz .LBB49_25
; %bb.16:                               ;   in Loop: Header=BB49_15 Depth=1
	v_mov_b32_e32 v6, s13
	v_add_co_u32_e32 v4, vcc, s12, v18
	v_addc_co_u32_e32 v5, vcc, v19, v6, vcc
	v_mov_b32_e32 v7, s45
	v_cmp_lt_i64_e32 vcc, s[44:45], v[4:5]
	v_cndmask_b32_e32 v5, v7, v5, vcc
	v_mov_b32_e32 v7, s44
	v_cndmask_b32_e32 v4, v7, v4, vcc
	v_add_co_u32_e32 v4, vcc, v15, v4
	v_addc_co_u32_e32 v5, vcc, v17, v5, vcc
	v_subrev_co_u32_e32 v4, vcc, s12, v4
	v_subb_co_u32_e32 v5, vcc, v5, v6, vcc
	v_cmp_lt_u64_e32 vcc, s[36:37], v[4:5]
	s_mov_b64 s[48:49], -1
	v_mov_b32_e32 v8, 0
	s_and_saveexec_b64 s[46:47], vcc
	s_cbranch_execz .LBB49_20
; %bb.17:                               ;   in Loop: Header=BB49_15 Depth=1
	v_lshrrev_b64 v[4:5], 8, v[4:5]
	v_add_co_u32_e32 v4, vcc, 1, v4
	v_addc_co_u32_e32 v5, vcc, 0, v5, vcc
	v_lshlrev_b64 v[8:9], 2, v[2:3]
	v_mov_b32_e32 v10, s55
	v_add_co_u32_e32 v8, vcc, s54, v8
	v_addc_co_u32_e32 v9, vcc, v10, v9, vcc
	v_and_b32_e32 v6, -2, v4
	v_mov_b32_e32 v7, v5
	v_mov_b32_e32 v11, s13
	v_add_co_u32_e32 v10, vcc, s12, v20
	v_addc_co_u32_e32 v11, vcc, v21, v11, vcc
	s_mov_b64 s[48:49], 0
	v_mov_b32_e32 v24, 0
	v_pk_mov_b32 v[12:13], v[6:7], v[6:7] op_sel:[0,1]
	v_mov_b32_e32 v25, 0
.LBB49_18:                              ;   Parent Loop BB49_15 Depth=1
                                        ; =>  This Inner Loop Header: Depth=2
	global_load_dword v26, v[8:9], off offset:-1024
	global_load_dword v27, v[8:9], off
	global_load_sbyte v30, v[10:11], off offset:-256
	global_load_sbyte v31, v[10:11], off
	s_waitcnt vmcnt(3)
	v_subrev_u32_e32 v28, s50, v26
	s_waitcnt vmcnt(2)
	v_subrev_u32_e32 v26, s51, v27
	v_ashrrev_i32_e32 v27, 31, v26
	v_add_co_u32_e32 v26, vcc, s22, v26
	v_ashrrev_i32_e32 v29, 31, v28
	v_add_co_u32_e64 v28, s[12:13], s22, v28
	v_addc_co_u32_e32 v27, vcc, v22, v27, vcc
	v_addc_co_u32_e64 v29, s[12:13], v22, v29, s[12:13]
	global_load_sbyte v26, v[26:27], off
	s_nop 0
	global_load_sbyte v27, v[28:29], off
	v_add_co_u32_e32 v12, vcc, -2, v12
	v_addc_co_u32_e32 v13, vcc, -1, v13, vcc
	v_add_co_u32_e32 v8, vcc, 0x800, v8
	v_addc_co_u32_e32 v9, vcc, 0, v9, vcc
	v_add_co_u32_e32 v10, vcc, 0x200, v10
	v_cmp_eq_u64_e64 s[12:13], 0, v[12:13]
	v_addc_co_u32_e32 v11, vcc, 0, v11, vcc
	s_or_b64 s[48:49], s[12:13], s[48:49]
	s_waitcnt vmcnt(1)
	v_mad_i32_i24 v25, v26, v31, v25
	s_waitcnt vmcnt(0)
	v_mad_i32_i24 v24, v27, v30, v24
	s_andn2_b64 exec, exec, s[48:49]
	s_cbranch_execnz .LBB49_18
; %bb.19:                               ;   in Loop: Header=BB49_15 Depth=1
	s_or_b64 exec, exec, s[48:49]
	v_lshlrev_b64 v[8:9], 8, v[6:7]
	v_add_co_u32_e32 v2, vcc, v2, v8
	v_addc_co_u32_e32 v3, vcc, v3, v9, vcc
	v_cmp_ne_u64_e32 vcc, v[4:5], v[6:7]
	v_add_u32_e32 v8, v24, v25
	s_orn2_b64 s[48:49], vcc, exec
.LBB49_20:                              ;   in Loop: Header=BB49_15 Depth=1
	s_or_b64 exec, exec, s[46:47]
	s_and_saveexec_b64 s[12:13], s[48:49]
	s_cbranch_execz .LBB49_24
; %bb.21:                               ;   in Loop: Header=BB49_15 Depth=1
	v_lshlrev_b64 v[4:5], 2, v[2:3]
	v_mov_b32_e32 v6, s19
	v_add_co_u32_e32 v4, vcc, s18, v4
	v_addc_co_u32_e32 v5, vcc, v6, v5, vcc
	s_mov_b64 s[46:47], 0
.LBB49_22:                              ;   Parent Loop BB49_15 Depth=1
                                        ; =>  This Inner Loop Header: Depth=2
	global_load_dword v9, v[4:5], off
	v_mov_b32_e32 v7, s21
	v_add_co_u32_e32 v6, vcc, s20, v2
	v_addc_co_u32_e32 v7, vcc, v7, v3, vcc
	global_load_sbyte v11, v[6:7], off
	v_mov_b32_e32 v10, s23
	s_waitcnt vmcnt(1)
	v_subrev_u32_e32 v6, s30, v9
	v_ashrrev_i32_e32 v7, 31, v6
	v_add_co_u32_e32 v6, vcc, s22, v6
	v_addc_co_u32_e32 v7, vcc, v10, v7, vcc
	global_load_sbyte v6, v[6:7], off
	v_add_co_u32_e32 v2, vcc, 0x100, v2
	v_addc_co_u32_e32 v3, vcc, 0, v3, vcc
	v_add_co_u32_e32 v4, vcc, 0x400, v4
	v_addc_co_u32_e32 v5, vcc, 0, v5, vcc
	v_cmp_le_i64_e32 vcc, s[44:45], v[2:3]
	s_or_b64 s[46:47], vcc, s[46:47]
	s_waitcnt vmcnt(0)
	v_mad_i32_i24 v8, v6, v11, v8
	s_andn2_b64 exec, exec, s[46:47]
	s_cbranch_execnz .LBB49_22
; %bb.23:                               ;   in Loop: Header=BB49_15 Depth=1
	s_or_b64 exec, exec, s[46:47]
.LBB49_24:                              ;   in Loop: Header=BB49_15 Depth=1
	s_or_b64 exec, exec, s[12:13]
.LBB49_25:                              ;   in Loop: Header=BB49_15 Depth=1
	s_or_b64 exec, exec, s[42:43]
	ds_write_b32 v16, v8
	s_waitcnt lgkmcnt(0)
	s_barrier
	s_and_saveexec_b64 s[12:13], s[0:1]
	s_cbranch_execz .LBB49_27
; %bb.26:                               ;   in Loop: Header=BB49_15 Depth=1
	ds_read2st64_b32 v[2:3], v16 offset1:4
	ds_read2st64_b32 v[4:5], v16 offset0:8 offset1:12
	s_waitcnt lgkmcnt(0)
	v_add_u32_e32 v3, v4, v3
	v_add3_u32 v2, v3, v5, v2
	ds_write_b32 v16, v2
.LBB49_27:                              ;   in Loop: Header=BB49_15 Depth=1
	s_or_b64 exec, exec, s[12:13]
	s_waitcnt lgkmcnt(0)
	s_barrier
	s_and_saveexec_b64 s[12:13], s[2:3]
	s_cbranch_execz .LBB49_29
; %bb.28:                               ;   in Loop: Header=BB49_15 Depth=1
	ds_read2st64_b32 v[2:3], v16 offset1:1
	ds_read2st64_b32 v[4:5], v16 offset0:2 offset1:3
	s_waitcnt lgkmcnt(0)
	v_add_u32_e32 v3, v4, v3
	v_add3_u32 v2, v3, v5, v2
	ds_write_b32 v16, v2
.LBB49_29:                              ;   in Loop: Header=BB49_15 Depth=1
	s_or_b64 exec, exec, s[12:13]
	s_waitcnt lgkmcnt(0)
	s_barrier
	s_and_saveexec_b64 s[12:13], s[6:7]
	s_cbranch_execz .LBB49_31
; %bb.30:                               ;   in Loop: Header=BB49_15 Depth=1
	ds_read2_b32 v[2:3], v16 offset1:16
	ds_read2_b32 v[4:5], v16 offset0:32 offset1:48
	s_waitcnt lgkmcnt(0)
	v_add_u32_e32 v3, v4, v3
	v_add3_u32 v2, v3, v5, v2
	ds_write_b32 v16, v2
.LBB49_31:                              ;   in Loop: Header=BB49_15 Depth=1
	s_or_b64 exec, exec, s[12:13]
	s_waitcnt lgkmcnt(0)
	s_barrier
	s_and_saveexec_b64 s[12:13], s[8:9]
	s_cbranch_execz .LBB49_33
; %bb.32:                               ;   in Loop: Header=BB49_15 Depth=1
	ds_read2_b32 v[2:3], v16 offset1:4
	ds_read2_b32 v[4:5], v16 offset0:8 offset1:12
	s_waitcnt lgkmcnt(0)
	v_add_u32_e32 v3, v4, v3
	v_add3_u32 v2, v3, v5, v2
	ds_write_b32 v16, v2
.LBB49_33:                              ;   in Loop: Header=BB49_15 Depth=1
	s_or_b64 exec, exec, s[12:13]
	s_waitcnt lgkmcnt(0)
	s_barrier
	s_and_saveexec_b64 s[12:13], s[10:11]
	s_cbranch_execz .LBB49_35
; %bb.34:                               ;   in Loop: Header=BB49_15 Depth=1
	ds_read2_b32 v[2:3], v23 offset0:1 offset1:2
	ds_read_b32 v4, v23 offset:12
	ds_read_b32 v5, v16
	s_waitcnt lgkmcnt(2)
	v_add_u32_e32 v2, v3, v2
	s_waitcnt lgkmcnt(1)
	v_add_u32_e32 v2, v2, v4
	;; [unrolled: 2-line block ×3, first 2 shown]
	ds_write_b32 v16, v2
.LBB49_35:                              ;   in Loop: Header=BB49_15 Depth=1
	s_or_b64 exec, exec, s[12:13]
	s_waitcnt lgkmcnt(0)
	s_barrier
	s_and_saveexec_b64 s[12:13], s[10:11]
	s_cbranch_execz .LBB49_14
; %bb.36:                               ;   in Loop: Header=BB49_15 Depth=1
	s_mov_b64 s[42:43], exec
	v_mbcnt_lo_u32_b32 v2, s42, 0
	v_mbcnt_hi_u32_b32 v2, s43, v2
	v_cmp_eq_u32_e32 vcc, 0, v2
	s_and_b64 s[44:45], exec, vcc
	s_mov_b64 exec, s[44:45]
	s_cbranch_execz .LBB49_14
; %bb.37:                               ;   in Loop: Header=BB49_15 Depth=1
	ds_read_b32 v2, v23
	s_lshl_b64 s[44:45], s[38:39], 2
	s_add_u32 s44, s14, s44
	s_addc_u32 s45, s15, s45
	s_bcnt1_i32_b64 s42, s[42:43]
	s_waitcnt lgkmcnt(0)
	v_mul_lo_u32 v2, v2, s33
	v_mul_lo_u32 v2, v2, s42
	global_atomic_add v23, v2, s[44:45]
	s_branch .LBB49_14
.LBB49_38:
	s_lshl_b64 s[0:1], s[26:27], 3
	s_add_u32 s0, s16, s0
	s_addc_u32 s1, s17, s1
	s_load_dwordx2 s[0:1], s[0:1], 0x0
	s_waitcnt lgkmcnt(0)
	v_mov_b32_e32 v3, s35
	v_add_co_u32_e32 v2, vcc, s34, v1
	v_addc_co_u32_e32 v3, vcc, v3, v14, vcc
	s_sub_u32 s6, s0, s30
	s_subb_u32 s7, s1, 0
	v_cmp_gt_i64_e32 vcc, s[6:7], v[2:3]
	s_and_saveexec_b64 s[8:9], vcc
	s_cbranch_execz .LBB49_47
; %bb.39:
	s_add_u32 s10, s26, -1
	s_addc_u32 s11, s27, -1
	s_add_u32 s0, s26, -2
	s_addc_u32 s1, s27, -1
	v_pk_mov_b32 v[4:5], s[24:25], s[24:25] op_sel:[0,1]
	s_cmp_lg_u64 s[0:1], s[24:25]
	v_cmp_gt_i64_e32 vcc, s[10:11], v[4:5]
	s_cselect_b64 s[0:1], -1, 0
	s_and_b64 s[0:1], vcc, s[0:1]
	v_cndmask_b32_e64 v1, 0, 1, s[0:1]
	s_mov_b64 s[12:13], 0
	v_cmp_ne_u32_e64 s[0:1], 1, v1
	v_mov_b32_e32 v1, s17
	v_mov_b32_e32 v10, s31
	;; [unrolled: 1-line block ×3, first 2 shown]
	s_branch .LBB49_41
.LBB49_40:                              ;   in Loop: Header=BB49_41 Depth=1
	s_or_b64 exec, exec, s[2:3]
	v_add_co_u32_e32 v2, vcc, 0x100, v2
	v_addc_co_u32_e32 v3, vcc, 0, v3, vcc
	v_cmp_le_i64_e32 vcc, s[6:7], v[2:3]
	s_or_b64 s[12:13], vcc, s[12:13]
	s_andn2_b64 exec, exec, s[12:13]
	s_cbranch_execz .LBB49_47
.LBB49_41:                              ; =>This Loop Header: Depth=1
                                        ;     Child Loop BB49_43 Depth 2
	s_and_b64 vcc, exec, s[0:1]
	v_pk_mov_b32 v[4:5], s[24:25], s[24:25] op_sel:[0,1]
	v_pk_mov_b32 v[6:7], s[10:11], s[10:11] op_sel:[0,1]
	s_cbranch_vccnz .LBB49_45
; %bb.42:                               ;   in Loop: Header=BB49_41 Depth=1
	s_mov_b64 s[34:35], 0
	v_pk_mov_b32 v[4:5], s[24:25], s[24:25] op_sel:[0,1]
	v_pk_mov_b32 v[6:7], s[10:11], s[10:11] op_sel:[0,1]
.LBB49_43:                              ;   Parent Loop BB49_41 Depth=1
                                        ; =>  This Inner Loop Header: Depth=2
	v_add_co_u32_e32 v8, vcc, v6, v4
	v_addc_co_u32_e32 v9, vcc, v7, v5, vcc
	v_lshrrev_b32_e32 v12, 31, v9
	v_add_co_u32_e32 v8, vcc, v8, v12
	v_addc_co_u32_e32 v9, vcc, 0, v9, vcc
	v_ashrrev_i64 v[8:9], 1, v[8:9]
	v_lshlrev_b64 v[12:13], 3, v[8:9]
	v_mov_b32_e32 v14, s17
	v_add_co_u32_e32 v12, vcc, s16, v12
	v_addc_co_u32_e32 v13, vcc, v14, v13, vcc
	global_load_dwordx2 v[12:13], v[12:13], off
	v_mov_b32_e32 v14, s31
	s_waitcnt vmcnt(0)
	v_subrev_co_u32_e32 v12, vcc, s30, v12
	v_subb_co_u32_e32 v13, vcc, v13, v14, vcc
	v_cmp_gt_i64_e32 vcc, v[12:13], v[2:3]
	v_cndmask_b32_e32 v6, v6, v8, vcc
	v_cndmask_b32_e32 v7, v7, v9, vcc
	;; [unrolled: 1-line block ×3, first 2 shown]
	v_add_co_u32_e64 v8, s[2:3], -1, v6
	v_cndmask_b32_e32 v5, v9, v5, vcc
	v_addc_co_u32_e64 v9, s[2:3], -1, v7, s[2:3]
	v_cmp_ge_i64_e32 vcc, v[4:5], v[6:7]
	v_cmp_eq_u64_e64 s[2:3], v[4:5], v[8:9]
	s_or_b64 s[2:3], vcc, s[2:3]
	s_and_b64 s[2:3], exec, s[2:3]
	s_or_b64 s[34:35], s[2:3], s[34:35]
	s_andn2_b64 exec, exec, s[34:35]
	s_cbranch_execnz .LBB49_43
; %bb.44:                               ;   in Loop: Header=BB49_41 Depth=1
	s_or_b64 exec, exec, s[34:35]
.LBB49_45:                              ;   in Loop: Header=BB49_41 Depth=1
	v_lshlrev_b64 v[8:9], 3, v[6:7]
	v_add_co_u32_e32 v8, vcc, s16, v8
	v_addc_co_u32_e32 v9, vcc, v1, v9, vcc
	v_lshlrev_b64 v[12:13], 2, v[2:3]
	global_load_dwordx2 v[8:9], v[8:9], off
	v_add_co_u32_e32 v12, vcc, s18, v12
	v_addc_co_u32_e32 v13, vcc, v11, v13, vcc
	global_load_dword v14, v[12:13], off
	s_waitcnt vmcnt(1)
	v_subrev_co_u32_e32 v12, vcc, s30, v8
	v_subb_co_u32_e32 v13, vcc, v9, v10, vcc
	v_cmp_gt_i64_e32 vcc, v[12:13], v[2:3]
	s_waitcnt vmcnt(0)
	v_subrev_u32_e32 v8, s30, v14
	v_cndmask_b32_e32 v5, v7, v5, vcc
	v_cndmask_b32_e32 v4, v6, v4, vcc
	v_ashrrev_i32_e32 v9, 31, v8
	v_cmp_ne_u64_e32 vcc, v[4:5], v[8:9]
	s_and_saveexec_b64 s[2:3], vcc
	s_cbranch_execz .LBB49_40
; %bb.46:                               ;   in Loop: Header=BB49_41 Depth=1
	v_mov_b32_e32 v7, s21
	v_add_co_u32_e32 v6, vcc, s20, v2
	v_addc_co_u32_e32 v7, vcc, v7, v3, vcc
	global_load_sbyte v6, v[6:7], off
	v_mov_b32_e32 v7, s23
	v_add_co_u32_e32 v4, vcc, s22, v4
	v_addc_co_u32_e32 v5, vcc, v7, v5, vcc
	global_load_sbyte v7, v[4:5], off
	v_lshlrev_b64 v[4:5], 2, v[8:9]
	v_mov_b32_e32 v8, s15
	v_add_co_u32_e32 v4, vcc, s14, v4
	v_addc_co_u32_e32 v5, vcc, v8, v5, vcc
	s_waitcnt vmcnt(1)
	v_mul_lo_u32 v6, s33, v6
	s_waitcnt vmcnt(0)
	v_mul_lo_u32 v6, v6, v7
	global_atomic_add v[4:5], v6, off
	s_branch .LBB49_40
.LBB49_47:
	s_or_b64 exec, exec, s[8:9]
	s_mov_b64 s[0:1], 0
.LBB49_48:
	s_and_b64 vcc, exec, s[0:1]
	s_cbranch_vccz .LBB49_179
; %bb.49:
	s_load_dword s0, s[4:5], 0x6c
	s_mov_b32 s31, 0
	v_pk_mov_b32 v[2:3], s[28:29], s[28:29] op_sel:[0,1]
	s_mov_b32 s13, s31
	s_mov_b64 s[34:35], 0
	s_waitcnt lgkmcnt(0)
	s_and_b32 s12, s0, 0xffff
	v_cmp_lt_u64_e32 vcc, s[12:13], v[2:3]
	s_cbranch_vccnz .LBB49_51
; %bb.50:
	v_cvt_f32_u32_e32 v1, s28
	s_sub_i32 s0, 0, s28
	v_rcp_iflag_f32_e32 v1, v1
	v_mul_f32_e32 v1, 0x4f7ffffe, v1
	v_cvt_u32_f32_e32 v1, v1
	v_readfirstlane_b32 s1, v1
	s_mul_i32 s0, s0, s1
	s_mul_hi_u32 s0, s1, s0
	s_add_i32 s1, s1, s0
	s_mul_hi_u32 s0, s12, s1
	s_mul_i32 s2, s0, s28
	s_sub_i32 s2, s12, s2
	s_add_i32 s1, s0, 1
	s_sub_i32 s3, s2, s28
	s_cmp_ge_u32 s2, s28
	s_cselect_b32 s0, s1, s0
	s_cselect_b32 s2, s3, s2
	s_add_i32 s1, s0, 1
	s_cmp_ge_u32 s2, s28
	s_cselect_b32 s34, s1, s0
.LBB49_51:
	s_lshl_b64 s[0:1], s[24:25], 3
	s_add_u32 s10, s16, s0
	s_addc_u32 s11, s17, s1
	s_load_dwordx2 s[8:9], s[10:11], 0x0
	v_subrev_co_u32_e32 v2, vcc, s30, v0
	s_load_dwordx4 s[4:7], s[4:5], 0x8
	v_subb_co_u32_e64 v3, s[0:1], 0, 0, vcc
	s_waitcnt lgkmcnt(0)
	v_mov_b32_e32 v4, s9
	v_add_co_u32_e32 v6, vcc, s8, v2
	v_addc_co_u32_e32 v7, vcc, v4, v3, vcc
	v_add_co_u32_e32 v8, vcc, 0x300, v6
	v_addc_co_u32_e32 v9, vcc, 0, v7, vcc
	v_mov_b32_e32 v1, 0
	v_cmp_le_i64_e64 s[0:1], s[4:5], v[8:9]
	s_and_saveexec_b64 s[2:3], s[0:1]
	s_xor_b64 s[4:5], exec, s[2:3]
	s_cbranch_execnz .LBB49_54
; %bb.52:
	s_andn2_saveexec_b64 s[2:3], s[4:5]
	s_cbranch_execnz .LBB49_63
.LBB49_53:
	s_or_b64 exec, exec, s[2:3]
	v_cmp_gt_i64_e32 vcc, s[6:7], v[0:1]
	s_and_saveexec_b64 s[4:5], vcc
	s_cbranch_execnz .LBB49_64
	s_branch .LBB49_71
.LBB49_54:
	s_lshl_b64 s[2:3], s[26:27], 3
	s_add_u32 s2, s16, s2
	s_addc_u32 s3, s17, s3
	s_load_dwordx2 s[2:3], s[2:3], 0x0
	s_waitcnt lgkmcnt(0)
	s_sub_u32 s36, s2, s8
	s_subb_u32 s37, s3, s9
	v_cmp_gt_i64_e32 vcc, s[36:37], v[0:1]
	s_and_saveexec_b64 s[38:39], vcc
	s_cbranch_execz .LBB49_62
; %bb.55:
	s_not_b64 s[40:41], s[8:9]
	s_add_u32 s2, s2, s40
	s_addc_u32 s3, s3, s41
	v_mov_b32_e32 v3, s3
	v_sub_co_u32_e32 v2, vcc, s2, v0
	v_subbrev_co_u32_e32 v3, vcc, 0, v3, vcc
	s_mov_b64 s[2:3], 0xff
	v_cmp_lt_u64_e32 vcc, s[2:3], v[2:3]
	s_mov_b64 s[2:3], -1
	v_pk_mov_b32 v[10:11], 0, 0
	s_and_saveexec_b64 s[40:41], vcc
	s_cbranch_execz .LBB49_59
; %bb.56:
	v_lshrrev_b64 v[2:3], 8, v[2:3]
	v_add_co_u32_e32 v2, vcc, 1, v2
	v_addc_co_u32_e32 v3, vcc, 0, v3, vcc
	v_mov_b32_e32 v12, s9
	v_add_co_u32_e32 v13, vcc, s8, v0
	v_addc_co_u32_e32 v12, vcc, 0, v12, vcc
	v_mov_b32_e32 v14, s31
	v_subrev_co_u32_e32 v13, vcc, s30, v13
	v_subb_co_u32_e32 v12, vcc, v12, v14, vcc
	v_mov_b32_e32 v14, s21
	v_add_co_u32_e32 v13, vcc, s20, v13
	v_addc_co_u32_e32 v14, vcc, v12, v14, vcc
	s_movk_i32 s2, 0x100
	v_and_b32_e32 v4, -2, v2
	v_mov_b32_e32 v5, v3
	v_add_co_u32_e32 v12, vcc, s2, v13
	s_mov_b32 s35, s33
	v_mov_b32_e32 v10, v0
	v_mov_b32_e32 v11, v0
	s_mov_b64 s[42:43], 0x100
	v_addc_co_u32_e32 v13, vcc, 0, v14, vcc
	s_mov_b64 s[44:45], 0
	v_pk_mov_b32 v[14:15], v[4:5], v[4:5] op_sel:[0,1]
	s_mov_b64 s[46:47], 0
.LBB49_57:                              ; =>This Inner Loop Header: Depth=1
	global_load_sbyte v17, v[12:13], off
	global_load_sbyte v18, v[12:13], off offset:-256
	v_add_lshl_u32 v19, v10, s46, 2
	s_add_u32 s46, s46, 0x200
	v_add_co_u32_e32 v12, vcc, 0x200, v12
	v_add_co_u32_e64 v14, s[2:3], -2, v14
	s_addc_u32 s47, s47, 0
	v_add_lshl_u32 v20, v11, s42, 2
	v_addc_co_u32_e64 v15, s[2:3], -1, v15, s[2:3]
	v_addc_co_u32_e32 v13, vcc, 0, v13, vcc
	s_add_u32 s42, s42, 0x200
	v_cmp_eq_u64_e32 vcc, 0, v[14:15]
	s_addc_u32 s43, s43, 0
	s_or_b64 s[44:45], vcc, s[44:45]
	s_waitcnt vmcnt(1)
	v_mul_lo_u32 v17, s35, v17
	s_waitcnt vmcnt(0)
	v_mul_lo_u32 v18, s33, v18
	ds_write_b32 v19, v18
	ds_write_b32 v20, v17
	s_andn2_b64 exec, exec, s[44:45]
	s_cbranch_execnz .LBB49_57
; %bb.58:
	s_or_b64 exec, exec, s[44:45]
	v_cmp_ne_u64_e32 vcc, v[2:3], v[4:5]
	v_lshlrev_b64 v[10:11], 8, v[4:5]
	s_orn2_b64 s[2:3], vcc, exec
.LBB49_59:
	s_or_b64 exec, exec, s[40:41]
	s_and_b64 exec, exec, s[2:3]
	s_cbranch_execz .LBB49_62
; %bb.60:
	s_sub_u32 s2, s8, s30
	s_subb_u32 s3, s9, 0
	s_add_u32 s35, s20, s2
	s_addc_u32 s40, s21, s3
	v_add_co_u32_e32 v2, vcc, v10, v0
	v_lshlrev_b32_e32 v4, 2, v10
	v_addc_co_u32_e32 v3, vcc, 0, v11, vcc
	v_lshl_add_u32 v4, v0, 2, v4
	s_mov_b64 s[2:3], 0
	v_mov_b32_e32 v5, s40
.LBB49_61:                              ; =>This Inner Loop Header: Depth=1
	v_add_co_u32_e32 v10, vcc, s35, v2
	v_addc_co_u32_e32 v11, vcc, v5, v3, vcc
	global_load_sbyte v10, v[10:11], off
	v_add_co_u32_e32 v2, vcc, 0x100, v2
	v_addc_co_u32_e32 v3, vcc, 0, v3, vcc
	v_cmp_le_i64_e32 vcc, s[36:37], v[2:3]
	s_or_b64 s[2:3], vcc, s[2:3]
	s_waitcnt vmcnt(0)
	v_mul_lo_u32 v10, s33, v10
	ds_write_b32 v4, v10
	v_add_u32_e32 v4, 0x400, v4
	s_andn2_b64 exec, exec, s[2:3]
	s_cbranch_execnz .LBB49_61
.LBB49_62:
	s_or_b64 exec, exec, s[38:39]
	s_andn2_saveexec_b64 s[2:3], s[4:5]
	s_cbranch_execz .LBB49_53
.LBB49_63:
	v_mov_b32_e32 v3, s21
	v_add_co_u32_e32 v2, vcc, s20, v6
	v_addc_co_u32_e32 v3, vcc, v3, v7, vcc
	global_load_sbyte v4, v[2:3], off
	global_load_sbyte v5, v[2:3], off offset:256
	global_load_sbyte v10, v[2:3], off offset:512
	;; [unrolled: 1-line block ×3, first 2 shown]
	s_waitcnt vmcnt(3)
	v_mul_lo_u32 v2, s33, v4
	s_waitcnt vmcnt(2)
	v_mul_lo_u32 v3, s33, v5
	;; [unrolled: 2-line block ×4, first 2 shown]
	ds_write2st64_b32 v16, v2, v3 offset1:4
	ds_write2st64_b32 v16, v4, v5 offset0:8 offset1:12
	s_or_b64 exec, exec, s[2:3]
	v_cmp_gt_i64_e32 vcc, s[6:7], v[0:1]
	s_and_saveexec_b64 s[4:5], vcc
	s_cbranch_execz .LBB49_71
.LBB49_64:
	v_not_b32_e32 v3, v0
	v_not_b32_e32 v2, 0
	v_mov_b32_e32 v5, s7
	v_add_co_u32_e32 v4, vcc, s6, v3
	v_addc_co_u32_e32 v5, vcc, v2, v5, vcc
	s_mov_b64 s[2:3], 0x2ff
	v_cmp_lt_u64_e32 vcc, s[2:3], v[4:5]
	s_mov_b64 s[2:3], -1
	v_pk_mov_b32 v[2:3], v[0:1], v[0:1] op_sel:[0,1]
	s_and_saveexec_b64 s[20:21], vcc
	s_cbranch_execz .LBB49_68
; %bb.65:
	v_lshrrev_b64 v[2:3], 8, v[4:5]
	v_add_co_u32_e32 v10, vcc, 1, v2
	v_addc_co_u32_e32 v11, vcc, 0, v3, vcc
	v_or_b32_e32 v2, 0x100, v0
	v_mov_b32_e32 v3, v1
	v_and_b32_e32 v12, -4, v10
	v_mov_b32_e32 v13, v11
	v_pk_mov_b32 v[4:5], v[2:3], v[2:3] op_sel:[0,1]
	s_mov_b64 s[36:37], 0
	v_mov_b32_e32 v17, 0x1000
	v_mov_b32_e32 v18, 0
	v_pk_mov_b32 v[14:15], v[12:13], v[12:13] op_sel:[0,1]
	v_pk_mov_b32 v[2:3], v[0:1], v[0:1] op_sel:[0,1]
.LBB49_66:                              ; =>This Inner Loop Header: Depth=1
	v_lshl_add_u32 v20, v4, 2, v17
	v_add_co_u32_e32 v4, vcc, 0x400, v4
	v_add_co_u32_e64 v14, s[2:3], -4, v14
	v_addc_co_u32_e32 v5, vcc, 0, v5, vcc
	v_addc_co_u32_e64 v15, s[2:3], -1, v15, s[2:3]
	v_lshl_add_u32 v19, v2, 2, v17
	v_add_co_u32_e32 v2, vcc, 0x400, v2
	v_cmp_eq_u64_e64 s[2:3], 0, v[14:15]
	s_or_b64 s[36:37], s[2:3], s[36:37]
	v_addc_co_u32_e32 v3, vcc, 0, v3, vcc
	ds_write_b32 v19, v18
	ds_write_b32 v20, v18
	ds_write_b32 v19, v18 offset:2048
	ds_write_b32 v20, v18 offset:2048
	s_andn2_b64 exec, exec, s[36:37]
	s_cbranch_execnz .LBB49_66
; %bb.67:
	s_or_b64 exec, exec, s[36:37]
	v_lshlrev_b64 v[2:3], 8, v[12:13]
	v_cmp_ne_u64_e32 vcc, v[10:11], v[12:13]
	v_or_b32_e32 v3, 0, v3
	v_or_b32_e32 v2, v2, v0
	s_orn2_b64 s[2:3], vcc, exec
.LBB49_68:
	s_or_b64 exec, exec, s[20:21]
	s_and_b64 exec, exec, s[2:3]
	s_cbranch_execz .LBB49_71
; %bb.69:
	v_mov_b32_e32 v4, 0x1000
	v_lshl_add_u32 v4, v2, 2, v4
	s_mov_b64 s[2:3], 0
	v_mov_b32_e32 v5, 0
.LBB49_70:                              ; =>This Inner Loop Header: Depth=1
	v_add_co_u32_e32 v2, vcc, 0x100, v2
	v_addc_co_u32_e32 v3, vcc, 0, v3, vcc
	v_cmp_le_i64_e32 vcc, s[6:7], v[2:3]
	ds_write_b32 v4, v5
	s_or_b64 s[2:3], vcc, s[2:3]
	v_add_u32_e32 v4, 0x400, v4
	s_andn2_b64 exec, exec, s[2:3]
	s_cbranch_execnz .LBB49_70
.LBB49_71:
	s_or_b64 exec, exec, s[4:5]
	s_sub_u32 s4, s26, s6
	v_pk_mov_b32 v[2:3], s[6:7], s[6:7] op_sel:[0,1]
	s_subb_u32 s5, s27, s7
	v_cmp_ge_i64_e32 vcc, s[26:27], v[2:3]
	s_and_b64 s[2:3], vcc, exec
	s_cselect_b32 s5, s5, 0
	s_cselect_b32 s4, s4, 0
	s_waitcnt lgkmcnt(0)
	s_barrier
	s_and_saveexec_b64 s[2:3], s[0:1]
	s_xor_b64 s[20:21], exec, s[2:3]
	s_cbranch_execz .LBB49_88
; %bb.72:
	s_lshl_b64 s[0:1], s[26:27], 3
	s_add_u32 s0, s16, s0
	s_addc_u32 s1, s17, s1
	s_load_dwordx2 s[0:1], s[0:1], 0x0
	s_waitcnt lgkmcnt(0)
	s_sub_u32 s36, s0, s8
	s_subb_u32 s37, s1, s9
	v_cmp_gt_i64_e32 vcc, s[36:37], v[0:1]
	s_and_saveexec_b64 s[38:39], vcc
	s_cbranch_execz .LBB49_87
; %bb.73:
	s_add_u32 s40, s26, -1
	s_addc_u32 s41, s27, -1
	s_add_u32 s2, s26, -2
	s_addc_u32 s3, s27, -1
	v_pk_mov_b32 v[2:3], s[24:25], s[24:25] op_sel:[0,1]
	s_cmp_lg_u64 s[2:3], s[24:25]
	v_cmp_gt_i64_e32 vcc, s[40:41], v[2:3]
	s_cselect_b64 s[2:3], -1, 0
	s_and_b64 s[2:3], vcc, s[2:3]
	s_sub_u32 s42, s0, s30
	v_cndmask_b32_e64 v2, 0, 1, s[2:3]
	s_subb_u32 s43, s1, 0
	s_mov_b64 s[44:45], 0
	v_cmp_ne_u32_e64 s[0:1], 1, v2
	v_mov_b32_e32 v12, s17
	v_mov_b32_e32 v13, s31
	v_mov_b32_e32 v14, s19
	v_mov_b32_e32 v15, 0x1000
	s_mov_b64 s[46:47], 0
	s_branch .LBB49_76
.LBB49_74:                              ;   in Loop: Header=BB49_76 Depth=1
	s_or_b64 exec, exec, s[2:3]
.LBB49_75:                              ;   in Loop: Header=BB49_76 Depth=1
	s_or_b64 exec, exec, s[48:49]
	v_mov_b32_e32 v4, s23
	v_add_co_u32_e32 v2, vcc, s22, v2
	v_addc_co_u32_e32 v3, vcc, v4, v3, vcc
	global_load_sbyte v4, v[2:3], off
	s_add_u32 s46, s46, 0x100
	s_addc_u32 s47, s47, 0
	v_mov_b32_e32 v3, s47
	v_add_co_u32_e32 v2, vcc, s46, v0
	v_addc_co_u32_e32 v3, vcc, 0, v3, vcc
	v_cmp_le_i64_e32 vcc, s[36:37], v[2:3]
	v_lshlrev_b32_e32 v5, 2, v17
	s_or_b64 s[44:45], vcc, s[44:45]
	s_waitcnt vmcnt(0) lgkmcnt(0)
	v_mul_lo_u32 v2, v8, v4
	ds_write_b32 v5, v2
	s_andn2_b64 exec, exec, s[44:45]
	s_cbranch_execz .LBB49_87
.LBB49_76:                              ; =>This Loop Header: Depth=1
                                        ;     Child Loop BB49_78 Depth 2
	v_mov_b32_e32 v2, s47
	v_add_co_u32_e32 v4, vcc, s46, v6
	v_addc_co_u32_e32 v5, vcc, v2, v7, vcc
	s_and_b64 vcc, exec, s[0:1]
	v_pk_mov_b32 v[8:9], s[24:25], s[24:25] op_sel:[0,1]
	v_pk_mov_b32 v[10:11], s[40:41], s[40:41] op_sel:[0,1]
	s_cbranch_vccnz .LBB49_80
; %bb.77:                               ;   in Loop: Header=BB49_76 Depth=1
	s_mov_b64 s[48:49], 0
	v_pk_mov_b32 v[8:9], s[24:25], s[24:25] op_sel:[0,1]
	v_pk_mov_b32 v[10:11], s[40:41], s[40:41] op_sel:[0,1]
.LBB49_78:                              ;   Parent Loop BB49_76 Depth=1
                                        ; =>  This Inner Loop Header: Depth=2
	v_add_co_u32_e32 v2, vcc, v10, v8
	v_addc_co_u32_e32 v3, vcc, v11, v9, vcc
	v_lshrrev_b32_e32 v18, 31, v3
	v_add_co_u32_e32 v2, vcc, v2, v18
	v_addc_co_u32_e32 v3, vcc, 0, v3, vcc
	v_ashrrev_i64 v[2:3], 1, v[2:3]
	v_lshlrev_b64 v[18:19], 3, v[2:3]
	v_mov_b32_e32 v17, s17
	v_add_co_u32_e32 v18, vcc, s16, v18
	v_addc_co_u32_e32 v19, vcc, v17, v19, vcc
	global_load_dwordx2 v[18:19], v[18:19], off
	v_mov_b32_e32 v17, s31
	s_waitcnt vmcnt(0)
	v_subrev_co_u32_e32 v18, vcc, s30, v18
	v_subb_co_u32_e32 v19, vcc, v19, v17, vcc
	v_cmp_gt_i64_e32 vcc, v[18:19], v[4:5]
	v_cndmask_b32_e32 v10, v10, v2, vcc
	v_cndmask_b32_e32 v11, v11, v3, vcc
	;; [unrolled: 1-line block ×3, first 2 shown]
	v_add_co_u32_e64 v2, s[2:3], -1, v10
	v_cndmask_b32_e32 v9, v3, v9, vcc
	v_addc_co_u32_e64 v3, s[2:3], -1, v11, s[2:3]
	v_cmp_ge_i64_e32 vcc, v[8:9], v[10:11]
	v_cmp_eq_u64_e64 s[2:3], v[8:9], v[2:3]
	s_or_b64 s[2:3], vcc, s[2:3]
	s_and_b64 s[2:3], exec, s[2:3]
	s_or_b64 s[48:49], s[2:3], s[48:49]
	s_andn2_b64 exec, exec, s[48:49]
	s_cbranch_execnz .LBB49_78
; %bb.79:                               ;   in Loop: Header=BB49_76 Depth=1
	s_or_b64 exec, exec, s[48:49]
.LBB49_80:                              ;   in Loop: Header=BB49_76 Depth=1
	v_lshlrev_b64 v[2:3], 3, v[10:11]
	v_add_co_u32_e32 v2, vcc, s16, v2
	v_addc_co_u32_e32 v3, vcc, v12, v3, vcc
	v_lshlrev_b64 v[18:19], 2, v[4:5]
	global_load_dwordx2 v[2:3], v[2:3], off
	v_add_co_u32_e32 v18, vcc, s18, v18
	v_addc_co_u32_e32 v19, vcc, v14, v19, vcc
	global_load_dword v20, v[18:19], off
	v_add_co_u32_e32 v17, vcc, s46, v0
	v_cmp_le_i64_e32 vcc, s[42:43], v[4:5]
	s_waitcnt vmcnt(1)
	v_subrev_co_u32_e64 v18, s[2:3], s30, v2
	v_subb_co_u32_e64 v19, s[2:3], v3, v13, s[2:3]
	v_cmp_gt_i64_e64 s[2:3], v[18:19], v[4:5]
	s_waitcnt vmcnt(0)
	v_subrev_u32_e32 v2, s30, v20
	v_cndmask_b32_e64 v5, v11, v9, s[2:3]
	v_ashrrev_i32_e32 v3, 31, v2
	v_cndmask_b32_e64 v4, v10, v8, s[2:3]
	v_cmp_eq_u64_e64 s[2:3], v[4:5], v[2:3]
	s_or_b64 s[2:3], s[2:3], vcc
	v_lshlrev_b32_e32 v9, 2, v17
                                        ; implicit-def: $vgpr8
	s_and_saveexec_b64 s[48:49], s[2:3]
	s_xor_b64 s[2:3], exec, s[48:49]
	s_cbranch_execz .LBB49_82
; %bb.81:                               ;   in Loop: Header=BB49_76 Depth=1
	ds_read_b32 v8, v9
                                        ; implicit-def: $vgpr9
                                        ; implicit-def: $vgpr4_vgpr5
.LBB49_82:                              ;   in Loop: Header=BB49_76 Depth=1
	s_andn2_saveexec_b64 s[48:49], s[2:3]
	s_cbranch_execz .LBB49_75
; %bb.83:                               ;   in Loop: Header=BB49_76 Depth=1
	v_cmp_gt_i64_e32 vcc, s[4:5], v[2:3]
	v_cmp_le_i64_e64 s[2:3], s[26:27], v[2:3]
	s_or_b64 s[2:3], vcc, s[2:3]
                                        ; implicit-def: $vgpr8
	s_and_saveexec_b64 s[50:51], s[2:3]
	s_xor_b64 s[2:3], exec, s[50:51]
	s_cbranch_execz .LBB49_85
; %bb.84:                               ;   in Loop: Header=BB49_76 Depth=1
	s_waitcnt lgkmcnt(0)
	v_mov_b32_e32 v8, s23
	v_add_co_u32_e32 v4, vcc, s22, v4
	v_addc_co_u32_e32 v5, vcc, v8, v5, vcc
	global_load_sbyte v10, v[4:5], off
	ds_read_b32 v8, v9
	v_lshlrev_b64 v[4:5], 2, v[2:3]
	v_mov_b32_e32 v11, s15
	v_add_co_u32_e32 v4, vcc, s14, v4
	v_addc_co_u32_e32 v5, vcc, v11, v5, vcc
	s_waitcnt vmcnt(0) lgkmcnt(0)
	v_mul_lo_u32 v9, v8, v10
	global_atomic_add v[4:5], v9, off
                                        ; implicit-def: $vgpr9
                                        ; implicit-def: $vgpr4_vgpr5
.LBB49_85:                              ;   in Loop: Header=BB49_76 Depth=1
	s_andn2_saveexec_b64 s[2:3], s[2:3]
	s_cbranch_execz .LBB49_74
; %bb.86:                               ;   in Loop: Header=BB49_76 Depth=1
	s_waitcnt lgkmcnt(0)
	v_mov_b32_e32 v8, s23
	v_add_co_u32_e32 v4, vcc, s22, v4
	v_addc_co_u32_e32 v5, vcc, v8, v5, vcc
	global_load_sbyte v4, v[4:5], off
	ds_read_b32 v8, v9
	v_subrev_u32_e32 v5, s4, v2
	v_lshl_add_u32 v5, v5, 2, v15
	s_waitcnt vmcnt(0) lgkmcnt(0)
	v_mul_lo_u32 v4, v8, v4
	ds_add_u32 v5, v4
	s_branch .LBB49_74
.LBB49_87:
	s_or_b64 exec, exec, s[38:39]
                                        ; implicit-def: $vgpr8_vgpr9
                                        ; implicit-def: $vgpr6
.LBB49_88:
	s_andn2_saveexec_b64 s[20:21], s[20:21]
	s_cbranch_execz .LBB49_130
; %bb.89:
	s_add_u32 s36, s26, -1
	s_addc_u32 s37, s27, -1
	s_add_u32 s0, s26, -2
	s_addc_u32 s1, s27, -1
	v_pk_mov_b32 v[4:5], s[24:25], s[24:25] op_sel:[0,1]
	s_cmp_eq_u64 s[0:1], s[24:25]
	v_cmp_le_i64_e32 vcc, s[36:37], v[4:5]
	s_cselect_b64 s[0:1], -1, 0
	s_or_b64 s[2:3], vcc, s[0:1]
	s_and_b64 vcc, exec, s[2:3]
	v_pk_mov_b32 v[10:11], s[36:37], s[36:37] op_sel:[0,1]
	s_cbranch_vccnz .LBB49_93
; %bb.90:
	s_mov_b64 s[38:39], 0
	v_pk_mov_b32 v[4:5], s[24:25], s[24:25] op_sel:[0,1]
	v_pk_mov_b32 v[10:11], s[36:37], s[36:37] op_sel:[0,1]
	v_mov_b32_e32 v2, s17
	v_mov_b32_e32 v3, s31
.LBB49_91:                              ; =>This Inner Loop Header: Depth=1
	v_add_co_u32_e32 v12, vcc, v10, v4
	v_addc_co_u32_e32 v13, vcc, v11, v5, vcc
	v_lshrrev_b32_e32 v14, 31, v13
	v_add_co_u32_e32 v12, vcc, v12, v14
	v_addc_co_u32_e32 v13, vcc, 0, v13, vcc
	v_ashrrev_i64 v[12:13], 1, v[12:13]
	v_lshlrev_b64 v[14:15], 3, v[12:13]
	v_add_co_u32_e32 v14, vcc, s16, v14
	v_addc_co_u32_e32 v15, vcc, v2, v15, vcc
	global_load_dwordx2 v[14:15], v[14:15], off
	s_waitcnt vmcnt(0)
	v_subrev_co_u32_e32 v14, vcc, s30, v14
	v_subb_co_u32_e32 v15, vcc, v15, v3, vcc
	v_cmp_gt_i64_e32 vcc, v[14:15], v[6:7]
	v_cndmask_b32_e32 v10, v10, v12, vcc
	v_cndmask_b32_e32 v11, v11, v13, vcc
	;; [unrolled: 1-line block ×3, first 2 shown]
	v_add_co_u32_e64 v12, s[0:1], -1, v10
	v_cndmask_b32_e32 v5, v13, v5, vcc
	v_addc_co_u32_e64 v13, s[0:1], -1, v11, s[0:1]
	v_cmp_ge_i64_e32 vcc, v[4:5], v[10:11]
	v_cmp_eq_u64_e64 s[0:1], v[4:5], v[12:13]
	s_or_b64 s[0:1], vcc, s[0:1]
	s_and_b64 s[0:1], exec, s[0:1]
	s_or_b64 s[38:39], s[0:1], s[38:39]
	s_andn2_b64 exec, exec, s[38:39]
	s_cbranch_execnz .LBB49_91
; %bb.92:
	s_or_b64 exec, exec, s[38:39]
.LBB49_93:
	v_lshlrev_b64 v[2:3], 3, v[10:11]
	v_mov_b32_e32 v12, s17
	v_add_co_u32_e32 v2, vcc, s16, v2
	v_addc_co_u32_e32 v3, vcc, v12, v3, vcc
	global_load_dwordx2 v[12:13], v[2:3], off
	v_lshlrev_b64 v[2:3], 2, v[6:7]
	v_mov_b32_e32 v14, s19
	v_add_co_u32_e32 v2, vcc, s18, v2
	v_addc_co_u32_e32 v3, vcc, v14, v3, vcc
	global_load_dword v17, v[2:3], off
	v_mov_b32_e32 v15, s31
	s_xor_b64 s[2:3], s[2:3], -1
	s_lshl_b64 s[0:1], s[26:27], 3
	s_add_u32 s18, s16, s0
	s_addc_u32 s19, s17, s1
	s_waitcnt vmcnt(1)
	v_subrev_co_u32_e32 v14, vcc, s30, v12
	v_subb_co_u32_e32 v15, vcc, v13, v15, vcc
	v_cmp_gt_i64_e32 vcc, v[14:15], v[6:7]
	v_cndmask_b32_e32 v5, v11, v5, vcc
	v_cndmask_b32_e32 v4, v10, v4, vcc
	s_waitcnt vmcnt(0)
	v_subrev_u32_e32 v12, s30, v17
	v_ashrrev_i32_e32 v13, 31, v12
	v_cmp_ne_u64_e32 vcc, v[4:5], v[12:13]
	s_and_saveexec_b64 s[38:39], vcc
	s_cbranch_execz .LBB49_99
; %bb.94:
	s_load_dwordx2 s[0:1], s[18:19], 0x0
	s_waitcnt lgkmcnt(0)
	s_sub_u32 s0, s0, s30
	s_subb_u32 s1, s1, 0
	v_cmp_gt_i64_e32 vcc, s[0:1], v[6:7]
	s_and_b64 exec, exec, vcc
	s_cbranch_execz .LBB49_99
; %bb.95:
	v_cmp_gt_i64_e32 vcc, s[4:5], v[12:13]
	v_cmp_le_i64_e64 s[0:1], s[26:27], v[12:13]
	s_or_b64 s[0:1], vcc, s[0:1]
	s_and_saveexec_b64 s[40:41], s[0:1]
	s_xor_b64 s[0:1], exec, s[40:41]
	s_cbranch_execz .LBB49_97
; %bb.96:
	v_mov_b32_e32 v10, s23
	v_add_co_u32_e32 v4, vcc, s22, v4
	v_addc_co_u32_e32 v5, vcc, v10, v5, vcc
	global_load_sbyte v10, v[4:5], off
	ds_read_b32 v14, v16
	v_lshlrev_b64 v[4:5], 2, v[12:13]
	v_mov_b32_e32 v11, s15
	v_add_co_u32_e32 v4, vcc, s14, v4
	v_addc_co_u32_e32 v5, vcc, v11, v5, vcc
	s_waitcnt vmcnt(0) lgkmcnt(0)
	v_mul_lo_u32 v10, v14, v10
	global_atomic_add v[4:5], v10, off
                                        ; implicit-def: $vgpr4_vgpr5
.LBB49_97:
	s_andn2_saveexec_b64 s[0:1], s[0:1]
	s_cbranch_execz .LBB49_99
; %bb.98:
	v_mov_b32_e32 v10, s23
	v_add_co_u32_e32 v4, vcc, s22, v4
	v_addc_co_u32_e32 v5, vcc, v10, v5, vcc
	global_load_sbyte v4, v[4:5], off
	ds_read_b32 v5, v16
	v_subrev_u32_e32 v10, s4, v12
	v_mov_b32_e32 v11, 0x1000
	v_lshl_add_u32 v10, v10, 2, v11
	s_waitcnt vmcnt(0) lgkmcnt(0)
	v_mul_lo_u32 v4, v5, v4
	ds_add_u32 v10, v4
.LBB49_99:
	s_or_b64 exec, exec, s[38:39]
	v_mov_b32_e32 v5, s23
	v_add_co_u32_e32 v4, vcc, s22, v12
	v_addc_co_u32_e32 v5, vcc, v5, v13, vcc
	global_load_sbyte v12, v[4:5], off
	ds_read_b32 v13, v16
	v_add_co_u32_e32 v4, vcc, 0x100, v6
	v_cndmask_b32_e64 v14, 0, 1, s[2:3]
	v_addc_co_u32_e32 v5, vcc, 0, v7, vcc
	v_pk_mov_b32 v[10:11], s[24:25], s[24:25] op_sel:[0,1]
	v_cmp_ne_u32_e64 s[0:1], 1, v14
	s_andn2_b64 vcc, exec, s[2:3]
	s_waitcnt vmcnt(0) lgkmcnt(0)
	v_mul_lo_u32 v12, v13, v12
	ds_write_b32 v16, v12
	v_pk_mov_b32 v[12:13], s[36:37], s[36:37] op_sel:[0,1]
	s_cbranch_vccnz .LBB49_103
; %bb.100:
	s_mov_b64 s[38:39], 0
	v_pk_mov_b32 v[10:11], s[24:25], s[24:25] op_sel:[0,1]
	v_pk_mov_b32 v[12:13], s[36:37], s[36:37] op_sel:[0,1]
	v_mov_b32_e32 v14, s17
	v_mov_b32_e32 v15, s31
.LBB49_101:                             ; =>This Inner Loop Header: Depth=1
	v_add_co_u32_e32 v17, vcc, v12, v10
	v_addc_co_u32_e32 v19, vcc, v13, v11, vcc
	v_lshrrev_b32_e32 v18, 31, v19
	v_add_co_u32_e32 v18, vcc, v17, v18
	v_addc_co_u32_e32 v19, vcc, 0, v19, vcc
	v_ashrrev_i64 v[18:19], 1, v[18:19]
	v_lshlrev_b64 v[20:21], 3, v[18:19]
	v_add_co_u32_e32 v20, vcc, s16, v20
	v_addc_co_u32_e32 v21, vcc, v14, v21, vcc
	global_load_dwordx2 v[20:21], v[20:21], off
	s_waitcnt vmcnt(0)
	v_subrev_co_u32_e32 v20, vcc, s30, v20
	v_subb_co_u32_e32 v21, vcc, v21, v15, vcc
	v_cmp_gt_i64_e32 vcc, v[20:21], v[4:5]
	v_cndmask_b32_e32 v12, v12, v18, vcc
	v_cndmask_b32_e32 v13, v13, v19, vcc
	;; [unrolled: 1-line block ×3, first 2 shown]
	v_add_co_u32_e64 v18, s[2:3], -1, v12
	v_cndmask_b32_e32 v11, v19, v11, vcc
	v_addc_co_u32_e64 v19, s[2:3], -1, v13, s[2:3]
	v_cmp_ge_i64_e32 vcc, v[10:11], v[12:13]
	v_cmp_eq_u64_e64 s[2:3], v[10:11], v[18:19]
	s_or_b64 s[2:3], vcc, s[2:3]
	s_and_b64 s[2:3], exec, s[2:3]
	s_or_b64 s[38:39], s[2:3], s[38:39]
	s_andn2_b64 exec, exec, s[38:39]
	s_cbranch_execnz .LBB49_101
; %bb.102:
	s_or_b64 exec, exec, s[38:39]
.LBB49_103:
	v_lshlrev_b64 v[14:15], 3, v[12:13]
	v_mov_b32_e32 v17, s17
	v_add_co_u32_e32 v14, vcc, s16, v14
	v_addc_co_u32_e32 v15, vcc, v17, v15, vcc
	global_load_dwordx2 v[18:19], v[14:15], off
	global_load_dword v20, v[2:3], off offset:1024
	v_mov_b32_e32 v15, s31
	s_waitcnt vmcnt(1)
	v_subrev_co_u32_e32 v18, vcc, s30, v18
	v_subb_co_u32_e32 v19, vcc, v19, v15, vcc
	s_waitcnt vmcnt(0)
	v_subrev_u32_e32 v14, s30, v20
	v_cmp_gt_i64_e32 vcc, v[18:19], v[4:5]
	v_cndmask_b32_e32 v11, v13, v11, vcc
	v_cndmask_b32_e32 v10, v12, v10, vcc
	v_ashrrev_i32_e32 v15, 31, v14
	v_cmp_ne_u64_e32 vcc, v[10:11], v[14:15]
	s_and_saveexec_b64 s[38:39], vcc
	s_cbranch_execz .LBB49_109
; %bb.104:
	s_load_dwordx2 s[2:3], s[18:19], 0x0
	s_waitcnt lgkmcnt(0)
	s_sub_u32 s2, s2, s30
	s_subb_u32 s3, s3, 0
	v_cmp_gt_i64_e32 vcc, s[2:3], v[4:5]
	s_and_b64 exec, exec, vcc
	s_cbranch_execz .LBB49_109
; %bb.105:
	v_cmp_gt_i64_e32 vcc, s[4:5], v[14:15]
	v_cmp_le_i64_e64 s[2:3], s[26:27], v[14:15]
	s_or_b64 s[2:3], vcc, s[2:3]
	s_and_saveexec_b64 s[40:41], s[2:3]
	s_xor_b64 s[2:3], exec, s[40:41]
	s_cbranch_execz .LBB49_107
; %bb.106:
	v_mov_b32_e32 v5, s23
	v_add_co_u32_e32 v4, vcc, s22, v10
	v_addc_co_u32_e32 v5, vcc, v5, v11, vcc
	global_load_sbyte v10, v[4:5], off
	ds_read_b32 v12, v16 offset:1024
	v_lshlrev_b64 v[4:5], 2, v[14:15]
	v_mov_b32_e32 v11, s15
	v_add_co_u32_e32 v4, vcc, s14, v4
	v_addc_co_u32_e32 v5, vcc, v11, v5, vcc
	s_waitcnt vmcnt(0) lgkmcnt(0)
	v_mul_lo_u32 v10, v12, v10
	global_atomic_add v[4:5], v10, off
                                        ; implicit-def: $vgpr10_vgpr11
.LBB49_107:
	s_andn2_saveexec_b64 s[2:3], s[2:3]
	s_cbranch_execz .LBB49_109
; %bb.108:
	v_mov_b32_e32 v5, s23
	v_add_co_u32_e32 v4, vcc, s22, v10
	v_addc_co_u32_e32 v5, vcc, v5, v11, vcc
	global_load_sbyte v4, v[4:5], off
	ds_read_b32 v5, v16 offset:1024
	v_subrev_u32_e32 v10, s4, v14
	v_mov_b32_e32 v11, 0x1000
	v_lshl_add_u32 v10, v10, 2, v11
	s_waitcnt vmcnt(0) lgkmcnt(0)
	v_mul_lo_u32 v4, v5, v4
	ds_add_u32 v10, v4
.LBB49_109:
	s_or_b64 exec, exec, s[38:39]
	v_mov_b32_e32 v5, s23
	v_add_co_u32_e32 v4, vcc, s22, v14
	v_addc_co_u32_e32 v5, vcc, v5, v15, vcc
	global_load_sbyte v12, v[4:5], off
	ds_read_b32 v13, v16 offset:1024
	v_add_co_u32_e32 v4, vcc, 0x200, v6
	v_addc_co_u32_e32 v5, vcc, 0, v7, vcc
	v_pk_mov_b32 v[10:11], s[24:25], s[24:25] op_sel:[0,1]
	s_and_b64 vcc, exec, s[0:1]
	s_waitcnt vmcnt(0) lgkmcnt(0)
	v_mul_lo_u32 v6, v13, v12
	ds_write_b32 v16, v6 offset:1024
	v_pk_mov_b32 v[6:7], s[36:37], s[36:37] op_sel:[0,1]
	s_cbranch_vccnz .LBB49_113
; %bb.110:
	s_mov_b64 s[38:39], 0
	v_pk_mov_b32 v[10:11], s[24:25], s[24:25] op_sel:[0,1]
	v_pk_mov_b32 v[6:7], s[36:37], s[36:37] op_sel:[0,1]
	v_mov_b32_e32 v12, s17
	v_mov_b32_e32 v13, s31
.LBB49_111:                             ; =>This Inner Loop Header: Depth=1
	v_add_co_u32_e32 v14, vcc, v6, v10
	v_addc_co_u32_e32 v15, vcc, v7, v11, vcc
	v_lshrrev_b32_e32 v17, 31, v15
	v_add_co_u32_e32 v14, vcc, v14, v17
	v_addc_co_u32_e32 v15, vcc, 0, v15, vcc
	v_ashrrev_i64 v[14:15], 1, v[14:15]
	v_lshlrev_b64 v[18:19], 3, v[14:15]
	v_add_co_u32_e32 v18, vcc, s16, v18
	v_addc_co_u32_e32 v19, vcc, v12, v19, vcc
	global_load_dwordx2 v[18:19], v[18:19], off
	s_waitcnt vmcnt(0)
	v_subrev_co_u32_e32 v18, vcc, s30, v18
	v_subb_co_u32_e32 v19, vcc, v19, v13, vcc
	v_cmp_gt_i64_e32 vcc, v[18:19], v[4:5]
	v_cndmask_b32_e32 v6, v6, v14, vcc
	v_cndmask_b32_e32 v7, v7, v15, vcc
	;; [unrolled: 1-line block ×3, first 2 shown]
	v_add_co_u32_e64 v14, s[2:3], -1, v6
	v_cndmask_b32_e32 v11, v15, v11, vcc
	v_addc_co_u32_e64 v15, s[2:3], -1, v7, s[2:3]
	v_cmp_ge_i64_e32 vcc, v[10:11], v[6:7]
	v_cmp_eq_u64_e64 s[2:3], v[10:11], v[14:15]
	s_or_b64 s[2:3], vcc, s[2:3]
	s_and_b64 s[2:3], exec, s[2:3]
	s_or_b64 s[38:39], s[2:3], s[38:39]
	s_andn2_b64 exec, exec, s[38:39]
	s_cbranch_execnz .LBB49_111
; %bb.112:
	s_or_b64 exec, exec, s[38:39]
.LBB49_113:
	v_lshlrev_b64 v[12:13], 3, v[6:7]
	v_mov_b32_e32 v14, s17
	v_add_co_u32_e32 v12, vcc, s16, v12
	v_addc_co_u32_e32 v13, vcc, v14, v13, vcc
	global_load_dwordx2 v[14:15], v[12:13], off
	global_load_dword v17, v[2:3], off offset:2048
	v_mov_b32_e32 v13, s31
	s_waitcnt vmcnt(1)
	v_subrev_co_u32_e32 v14, vcc, s30, v14
	v_subb_co_u32_e32 v15, vcc, v15, v13, vcc
	s_waitcnt vmcnt(0)
	v_subrev_u32_e32 v12, s30, v17
	v_cmp_gt_i64_e32 vcc, v[14:15], v[4:5]
	v_cndmask_b32_e32 v7, v7, v11, vcc
	v_cndmask_b32_e32 v6, v6, v10, vcc
	v_ashrrev_i32_e32 v13, 31, v12
	v_cmp_ne_u64_e32 vcc, v[6:7], v[12:13]
	s_and_saveexec_b64 s[38:39], vcc
	s_cbranch_execz .LBB49_119
; %bb.114:
	s_load_dwordx2 s[2:3], s[18:19], 0x0
	s_waitcnt lgkmcnt(0)
	s_sub_u32 s2, s2, s30
	s_subb_u32 s3, s3, 0
	v_cmp_gt_i64_e32 vcc, s[2:3], v[4:5]
	s_and_b64 exec, exec, vcc
	s_cbranch_execz .LBB49_119
; %bb.115:
	v_cmp_gt_i64_e32 vcc, s[4:5], v[12:13]
	v_cmp_le_i64_e64 s[2:3], s[26:27], v[12:13]
	s_or_b64 s[2:3], vcc, s[2:3]
	s_and_saveexec_b64 s[40:41], s[2:3]
	s_xor_b64 s[2:3], exec, s[40:41]
	s_cbranch_execz .LBB49_117
; %bb.116:
	v_mov_b32_e32 v5, s23
	v_add_co_u32_e32 v4, vcc, s22, v6
	v_addc_co_u32_e32 v5, vcc, v5, v7, vcc
	global_load_sbyte v6, v[4:5], off
	ds_read_b32 v10, v16 offset:2048
	v_lshlrev_b64 v[4:5], 2, v[12:13]
	v_mov_b32_e32 v7, s15
	v_add_co_u32_e32 v4, vcc, s14, v4
	v_addc_co_u32_e32 v5, vcc, v7, v5, vcc
	s_waitcnt vmcnt(0) lgkmcnt(0)
	v_mul_lo_u32 v6, v10, v6
	global_atomic_add v[4:5], v6, off
                                        ; implicit-def: $vgpr6_vgpr7
.LBB49_117:
	s_andn2_saveexec_b64 s[2:3], s[2:3]
	s_cbranch_execz .LBB49_119
; %bb.118:
	v_mov_b32_e32 v5, s23
	v_add_co_u32_e32 v4, vcc, s22, v6
	v_addc_co_u32_e32 v5, vcc, v5, v7, vcc
	global_load_sbyte v4, v[4:5], off
	ds_read_b32 v5, v16 offset:2048
	v_subrev_u32_e32 v6, s4, v12
	v_mov_b32_e32 v7, 0x1000
	v_lshl_add_u32 v6, v6, 2, v7
	s_waitcnt vmcnt(0) lgkmcnt(0)
	v_mul_lo_u32 v4, v5, v4
	ds_add_u32 v6, v4
.LBB49_119:
	s_or_b64 exec, exec, s[38:39]
	v_mov_b32_e32 v5, s23
	v_add_co_u32_e32 v4, vcc, s22, v12
	v_addc_co_u32_e32 v5, vcc, v5, v13, vcc
	global_load_sbyte v6, v[4:5], off
	ds_read_b32 v7, v16 offset:2048
	s_and_b64 vcc, exec, s[0:1]
	v_pk_mov_b32 v[4:5], s[24:25], s[24:25] op_sel:[0,1]
	s_waitcnt vmcnt(0) lgkmcnt(0)
	v_mul_lo_u32 v6, v7, v6
	ds_write_b32 v16, v6 offset:2048
	v_pk_mov_b32 v[6:7], s[36:37], s[36:37] op_sel:[0,1]
	s_cbranch_vccnz .LBB49_123
; %bb.120:
	s_mov_b64 s[2:3], 0
	v_pk_mov_b32 v[4:5], s[24:25], s[24:25] op_sel:[0,1]
	v_pk_mov_b32 v[6:7], s[36:37], s[36:37] op_sel:[0,1]
	v_mov_b32_e32 v10, s17
	v_mov_b32_e32 v11, s31
.LBB49_121:                             ; =>This Inner Loop Header: Depth=1
	v_add_co_u32_e32 v12, vcc, v6, v4
	v_addc_co_u32_e32 v13, vcc, v7, v5, vcc
	v_lshrrev_b32_e32 v14, 31, v13
	v_add_co_u32_e32 v12, vcc, v12, v14
	v_addc_co_u32_e32 v13, vcc, 0, v13, vcc
	v_ashrrev_i64 v[12:13], 1, v[12:13]
	v_lshlrev_b64 v[14:15], 3, v[12:13]
	v_add_co_u32_e32 v14, vcc, s16, v14
	v_addc_co_u32_e32 v15, vcc, v10, v15, vcc
	global_load_dwordx2 v[14:15], v[14:15], off
	s_waitcnt vmcnt(0)
	v_subrev_co_u32_e32 v14, vcc, s30, v14
	v_subb_co_u32_e32 v15, vcc, v15, v11, vcc
	v_cmp_gt_i64_e32 vcc, v[14:15], v[8:9]
	v_cndmask_b32_e32 v6, v6, v12, vcc
	v_cndmask_b32_e32 v7, v7, v13, vcc
	;; [unrolled: 1-line block ×3, first 2 shown]
	v_add_co_u32_e64 v12, s[0:1], -1, v6
	v_cndmask_b32_e32 v5, v13, v5, vcc
	v_addc_co_u32_e64 v13, s[0:1], -1, v7, s[0:1]
	v_cmp_ge_i64_e32 vcc, v[4:5], v[6:7]
	v_cmp_eq_u64_e64 s[0:1], v[4:5], v[12:13]
	s_or_b64 s[0:1], vcc, s[0:1]
	s_and_b64 s[0:1], exec, s[0:1]
	s_or_b64 s[2:3], s[0:1], s[2:3]
	s_andn2_b64 exec, exec, s[2:3]
	s_cbranch_execnz .LBB49_121
; %bb.122:
	s_or_b64 exec, exec, s[2:3]
.LBB49_123:
	v_lshlrev_b64 v[10:11], 3, v[6:7]
	v_mov_b32_e32 v12, s17
	global_load_dword v13, v[2:3], off offset:3072
	v_add_co_u32_e32 v2, vcc, s16, v10
	v_addc_co_u32_e32 v3, vcc, v12, v11, vcc
	global_load_dwordx2 v[10:11], v[2:3], off
	v_mov_b32_e32 v3, s31
	s_waitcnt vmcnt(1)
	v_subrev_u32_e32 v2, s30, v13
	s_waitcnt vmcnt(0)
	v_subrev_co_u32_e32 v10, vcc, s30, v10
	v_subb_co_u32_e32 v11, vcc, v11, v3, vcc
	v_cmp_gt_i64_e32 vcc, v[10:11], v[8:9]
	v_cndmask_b32_e32 v5, v7, v5, vcc
	v_cndmask_b32_e32 v4, v6, v4, vcc
	v_ashrrev_i32_e32 v3, 31, v2
	v_cmp_ne_u64_e32 vcc, v[4:5], v[2:3]
	s_and_saveexec_b64 s[2:3], vcc
	s_cbranch_execz .LBB49_129
; %bb.124:
	s_load_dwordx2 s[0:1], s[18:19], 0x0
	s_waitcnt lgkmcnt(0)
	s_sub_u32 s0, s0, s30
	s_subb_u32 s1, s1, 0
	v_cmp_gt_i64_e32 vcc, s[0:1], v[8:9]
	s_and_b64 exec, exec, vcc
	s_cbranch_execz .LBB49_129
; %bb.125:
	v_cmp_gt_i64_e32 vcc, s[4:5], v[2:3]
	v_cmp_le_i64_e64 s[0:1], s[26:27], v[2:3]
	s_or_b64 s[0:1], vcc, s[0:1]
	s_and_saveexec_b64 s[18:19], s[0:1]
	s_xor_b64 s[0:1], exec, s[18:19]
	s_cbranch_execz .LBB49_127
; %bb.126:
	v_mov_b32_e32 v6, s23
	v_add_co_u32_e32 v4, vcc, s22, v4
	v_addc_co_u32_e32 v5, vcc, v6, v5, vcc
	global_load_sbyte v6, v[4:5], off
	ds_read_b32 v8, v16 offset:3072
	v_lshlrev_b64 v[4:5], 2, v[2:3]
	v_mov_b32_e32 v7, s15
	v_add_co_u32_e32 v4, vcc, s14, v4
	v_addc_co_u32_e32 v5, vcc, v7, v5, vcc
	s_waitcnt vmcnt(0) lgkmcnt(0)
	v_mul_lo_u32 v6, v8, v6
	global_atomic_add v[4:5], v6, off
                                        ; implicit-def: $vgpr4_vgpr5
.LBB49_127:
	s_andn2_saveexec_b64 s[0:1], s[0:1]
	s_cbranch_execz .LBB49_129
; %bb.128:
	v_mov_b32_e32 v6, s23
	v_add_co_u32_e32 v4, vcc, s22, v4
	v_addc_co_u32_e32 v5, vcc, v6, v5, vcc
	global_load_sbyte v4, v[4:5], off
	ds_read_b32 v5, v16 offset:3072
	v_subrev_u32_e32 v6, s4, v2
	v_mov_b32_e32 v7, 0x1000
	v_lshl_add_u32 v6, v6, 2, v7
	s_waitcnt vmcnt(0) lgkmcnt(0)
	v_mul_lo_u32 v4, v5, v4
	ds_add_u32 v6, v4
.LBB49_129:
	s_or_b64 exec, exec, s[2:3]
	v_mov_b32_e32 v4, s23
	v_add_co_u32_e32 v2, vcc, s22, v2
	v_addc_co_u32_e32 v3, vcc, v4, v3, vcc
	global_load_sbyte v2, v[2:3], off
	ds_read_b32 v3, v16 offset:3072
	s_waitcnt vmcnt(0) lgkmcnt(0)
	v_mul_lo_u32 v2, v3, v2
	ds_write_b32 v16, v2 offset:3072
.LBB49_130:
	s_or_b64 exec, exec, s[20:21]
	v_pk_mov_b32 v[2:3], s[6:7], s[6:7] op_sel:[0,1]
	v_cmp_lt_i64_e32 vcc, s[26:27], v[2:3]
	s_and_b64 s[0:1], vcc, exec
	s_cselect_b32 s18, s26, s6
	s_cselect_b32 s0, s27, s7
	s_sub_u32 s2, s18, s28
	s_subb_u32 s3, s0, s29
	v_cmp_gt_i64_e32 vcc, s[2:3], v[0:1]
	s_waitcnt lgkmcnt(0)
	s_barrier
	s_and_saveexec_b64 s[0:1], vcc
	s_cbranch_execz .LBB49_133
; %bb.131:
	v_pk_mov_b32 v[2:3], s[6:7], s[6:7] op_sel:[0,1]
	v_cmp_gt_i64_e32 vcc, s[26:27], v[2:3]
	s_and_b64 s[4:5], vcc, exec
	s_cselect_b32 s5, s27, s7
	s_cselect_b32 s4, s26, s6
	s_lshl_b64 s[4:5], s[4:5], 2
	v_lshlrev_b32_e32 v2, 2, v0
	v_mov_b32_e32 v3, s5
	v_add_co_u32_e32 v2, vcc, s4, v2
	v_addc_co_u32_e32 v3, vcc, 0, v3, vcc
	s_lshl_b64 s[4:5], s[6:7], 2
	v_mov_b32_e32 v4, s5
	v_subrev_co_u32_e32 v2, vcc, s4, v2
	v_subb_co_u32_e32 v3, vcc, v3, v4, vcc
	v_mov_b32_e32 v4, s15
	v_add_co_u32_e32 v2, vcc, s14, v2
	v_addc_co_u32_e32 v3, vcc, v4, v3, vcc
	v_mov_b32_e32 v4, 0x1000
	v_lshl_add_u32 v6, v0, 2, v4
	s_mov_b64 s[4:5], 0
	v_pk_mov_b32 v[4:5], v[0:1], v[0:1] op_sel:[0,1]
.LBB49_132:                             ; =>This Inner Loop Header: Depth=1
	ds_read_b32 v7, v6
	v_add_co_u32_e32 v4, vcc, 0x100, v4
	v_addc_co_u32_e32 v5, vcc, 0, v5, vcc
	s_waitcnt lgkmcnt(0)
	global_atomic_add v[2:3], v7, off
	v_cmp_le_i64_e32 vcc, s[2:3], v[4:5]
	s_or_b64 s[4:5], vcc, s[4:5]
	v_add_co_u32_e32 v2, vcc, 0x400, v2
	v_add_u32_e32 v6, 0x400, v6
	v_addc_co_u32_e32 v3, vcc, 0, v3, vcc
	s_andn2_b64 exec, exec, s[4:5]
	s_cbranch_execnz .LBB49_132
.LBB49_133:
	s_or_b64 exec, exec, s[0:1]
	s_add_i32 s0, s34, -1
	s_ashr_i32 s1, s0, 1
	s_or_b32 s0, s1, s0
	s_ashr_i32 s1, s0, 2
	s_or_b32 s0, s1, s0
	;; [unrolled: 2-line block ×5, first 2 shown]
	s_add_i32 s0, s0, 1
	s_ashr_i32 s3, s0, 1
	v_mov_b32_e32 v2, s25
	v_add_co_u32_e32 v6, vcc, s24, v0
	v_addc_co_u32_e32 v7, vcc, 0, v2, vcc
	s_cmp_gt_i32 s3, 1
	s_mov_b64 s[0:1], -1
	s_barrier
	s_cbranch_scc1 .LBB49_148
; %bb.134:
	v_cmp_gt_i64_e32 vcc, s[26:27], v[6:7]
	s_and_saveexec_b64 s[0:1], vcc
	s_cbranch_execz .LBB49_147
; %bb.135:
	s_sub_i32 s4, s18, s26
	s_lshl_b32 s4, s4, 2
	s_add_i32 s22, s4, 0x1000
	s_lshl_b32 s4, s8, 2
	s_sub_i32 s23, 0, s4
	s_mov_b64 s[4:5], 0
	v_mov_b32_e32 v17, s17
	v_pk_mov_b32 v[8:9], v[6:7], v[6:7] op_sel:[0,1]
	s_branch .LBB49_138
.LBB49_136:                             ;   in Loop: Header=BB49_138 Depth=1
	s_or_b64 exec, exec, s[18:19]
.LBB49_137:                             ;   in Loop: Header=BB49_138 Depth=1
	s_or_b64 exec, exec, s[6:7]
	v_lshl_add_u32 v2, v8, 2, s22
	ds_read_b32 v4, v2
	v_lshlrev_b64 v[2:3], 2, v[8:9]
	v_mov_b32_e32 v5, s15
	v_add_co_u32_e32 v2, vcc, s14, v2
	s_waitcnt lgkmcnt(0)
	v_add_u32_e32 v4, v4, v18
	v_addc_co_u32_e32 v3, vcc, v5, v3, vcc
	global_atomic_add v[2:3], v4, off
	v_mov_b32_e32 v2, s13
	v_add_co_u32_e32 v8, vcc, s12, v8
	v_addc_co_u32_e32 v9, vcc, v9, v2, vcc
	v_cmp_le_i64_e32 vcc, s[26:27], v[8:9]
	s_or_b64 s[4:5], vcc, s[4:5]
	s_andn2_b64 exec, exec, s[4:5]
	s_cbranch_execz .LBB49_147
.LBB49_138:                             ; =>This Loop Header: Depth=1
                                        ;     Child Loop BB49_141 Depth 2
                                        ;     Child Loop BB49_145 Depth 2
	v_lshlrev_b64 v[2:3], 3, v[8:9]
	v_add_co_u32_e32 v2, vcc, s16, v2
	v_addc_co_u32_e32 v3, vcc, v17, v3, vcc
	global_load_dwordx4 v[2:5], v[2:3], off
	v_mov_b32_e32 v18, 0
	s_waitcnt vmcnt(0)
	v_cmp_lt_i64_e32 vcc, v[2:3], v[4:5]
	s_and_saveexec_b64 s[6:7], vcc
	s_cbranch_execz .LBB49_137
; %bb.139:                              ;   in Loop: Header=BB49_138 Depth=1
	v_mov_b32_e32 v11, s9
	v_subrev_co_u32_e32 v4, vcc, s8, v4
	v_subb_co_u32_e32 v5, vcc, v5, v11, vcc
	v_subrev_co_u32_e32 v10, vcc, s8, v2
	v_subb_co_u32_e32 v11, vcc, v3, v11, vcc
	v_add_co_u32_e32 v12, vcc, 1, v10
	v_addc_co_u32_e32 v13, vcc, 0, v11, vcc
	v_cmp_gt_i64_e32 vcc, v[12:13], v[4:5]
	v_cndmask_b32_e32 v12, v4, v12, vcc
	v_cndmask_b32_e32 v13, v5, v13, vcc
	v_mov_b32_e32 v14, s9
	v_add_co_u32_e32 v12, vcc, s8, v12
	v_addc_co_u32_e32 v13, vcc, v14, v13, vcc
	v_sub_co_u32_e32 v12, vcc, v12, v2
	v_subb_co_u32_e32 v13, vcc, v13, v3, vcc
	v_cmp_lt_u64_e32 vcc, 1, v[12:13]
	s_mov_b64 s[20:21], -1
	v_mov_b32_e32 v18, 0
	s_and_saveexec_b64 s[18:19], vcc
	s_cbranch_execz .LBB49_143
; %bb.140:                              ;   in Loop: Header=BB49_138 Depth=1
	v_and_b32_e32 v14, -2, v12
	v_mov_b32_e32 v15, v13
	v_lshl_add_u32 v19, v2, 2, s23
	s_mov_b64 s[20:21], 0
	v_mov_b32_e32 v18, 0
	v_pk_mov_b32 v[2:3], v[14:15], v[14:15] op_sel:[0,1]
	v_mov_b32_e32 v20, 0
.LBB49_141:                             ;   Parent Loop BB49_138 Depth=1
                                        ; =>  This Inner Loop Header: Depth=2
	ds_read2_b32 v[22:23], v19 offset1:1
	v_add_co_u32_e32 v2, vcc, -2, v2
	v_addc_co_u32_e32 v3, vcc, -1, v3, vcc
	v_cmp_eq_u64_e32 vcc, 0, v[2:3]
	v_add_u32_e32 v19, 8, v19
	s_or_b64 s[20:21], vcc, s[20:21]
	s_waitcnt lgkmcnt(0)
	v_add_u32_e32 v20, v23, v20
	v_add_u32_e32 v18, v22, v18
	s_andn2_b64 exec, exec, s[20:21]
	s_cbranch_execnz .LBB49_141
; %bb.142:                              ;   in Loop: Header=BB49_138 Depth=1
	s_or_b64 exec, exec, s[20:21]
	v_add_co_u32_e32 v10, vcc, v10, v14
	v_addc_co_u32_e32 v11, vcc, v11, v15, vcc
	v_cmp_ne_u64_e32 vcc, v[12:13], v[14:15]
	v_add_u32_e32 v18, v18, v20
	s_orn2_b64 s[20:21], vcc, exec
.LBB49_143:                             ;   in Loop: Header=BB49_138 Depth=1
	s_or_b64 exec, exec, s[18:19]
	s_and_saveexec_b64 s[18:19], s[20:21]
	s_cbranch_execz .LBB49_136
; %bb.144:                              ;   in Loop: Header=BB49_138 Depth=1
	v_lshlrev_b32_e32 v2, 2, v10
	s_mov_b64 s[20:21], 0
.LBB49_145:                             ;   Parent Loop BB49_138 Depth=1
                                        ; =>  This Inner Loop Header: Depth=2
	ds_read_b32 v3, v2
	v_add_co_u32_e32 v10, vcc, 1, v10
	v_addc_co_u32_e32 v11, vcc, 0, v11, vcc
	v_cmp_ge_i64_e32 vcc, v[10:11], v[4:5]
	v_add_u32_e32 v2, 4, v2
	s_or_b64 s[20:21], vcc, s[20:21]
	s_waitcnt lgkmcnt(0)
	v_add_u32_e32 v18, v3, v18
	s_andn2_b64 exec, exec, s[20:21]
	s_cbranch_execnz .LBB49_145
; %bb.146:                              ;   in Loop: Header=BB49_138 Depth=1
	s_or_b64 exec, exec, s[20:21]
	s_branch .LBB49_136
.LBB49_147:
	s_or_b64 exec, exec, s[0:1]
	s_mov_b64 s[0:1], 0
.LBB49_148:
	s_andn2_b64 vcc, exec, s[0:1]
	s_cbranch_vccnz .LBB49_179
; %bb.149:
	v_cvt_f32_u32_e32 v14, s3
	s_sub_i32 s6, 0, s3
	v_mov_b32_e32 v11, 0
	v_mov_b32_e32 v4, s11
	v_rcp_iflag_f32_e32 v2, v14
	v_mov_b32_e32 v12, s9
	v_mul_f32_e32 v2, 0x4f7ffffe, v2
	v_cvt_u32_f32_e32 v2, v2
	v_mul_lo_u32 v3, s6, v2
	v_mul_hi_u32 v3, v2, v3
	v_add_u32_e32 v2, v2, v3
	v_mul_hi_u32 v2, v0, v2
	v_mul_lo_u32 v3, v2, s3
	v_sub_u32_e32 v3, v0, v3
	v_add_u32_e32 v5, 1, v2
	v_cmp_le_u32_e32 vcc, s3, v3
	v_cndmask_b32_e32 v2, v2, v5, vcc
	v_subrev_u32_e32 v5, s3, v3
	v_cndmask_b32_e32 v3, v3, v5, vcc
	v_add_u32_e32 v5, 1, v2
	v_cmp_le_u32_e32 vcc, s3, v3
	v_cndmask_b32_e32 v10, v2, v5, vcc
	v_lshlrev_b64 v[2:3], 3, v[10:11]
	v_add_co_u32_e32 v2, vcc, s10, v2
	v_addc_co_u32_e32 v3, vcc, v4, v3, vcc
	global_load_dwordx4 v[2:5], v[2:3], off
	s_waitcnt vmcnt(0)
	v_subrev_co_u32_e32 v8, vcc, s8, v2
	v_subb_co_u32_e32 v9, vcc, v3, v12, vcc
	v_subrev_co_u32_e32 v17, vcc, s8, v4
	v_subb_co_u32_e32 v18, vcc, v5, v12, vcc
	v_sub_co_u32_e32 v3, vcc, v17, v8
	v_subb_co_u32_e32 v13, vcc, v18, v9, vcc
	v_mov_b32_e32 v12, v11
	v_cmp_ne_u64_e32 vcc, 0, v[12:13]
                                        ; implicit-def: $vgpr4_vgpr5
	s_and_saveexec_b64 s[0:1], vcc
	s_xor_b64 s[4:5], exec, s[0:1]
	s_cbranch_execz .LBB49_151
; %bb.150:
	v_cvt_f32_ubyte0_e32 v4, 0
	v_madmk_f32 v4, v4, 0x4f800000, v14
	v_rcp_f32_e32 v4, v4
	s_sub_u32 s0, 0, s3
	s_subb_u32 s1, 0, 0
	v_mul_f32_e32 v4, 0x5f7ffffc, v4
	v_mul_f32_e32 v5, 0x2f800000, v4
	v_trunc_f32_e32 v5, v5
	v_madmk_f32 v4, v5, 0xcf800000, v4
	v_cvt_u32_f32_e32 v5, v5
	v_cvt_u32_f32_e32 v4, v4
	v_mul_lo_u32 v12, s0, v5
	v_mul_hi_u32 v15, s0, v4
	v_mul_lo_u32 v14, s1, v4
	v_add_u32_e32 v12, v15, v12
	v_add_u32_e32 v12, v12, v14
	v_mul_lo_u32 v19, s0, v4
	v_mul_lo_u32 v15, v4, v12
	v_mul_hi_u32 v20, v4, v19
	v_mul_hi_u32 v14, v4, v12
	v_add_co_u32_e32 v15, vcc, v20, v15
	v_addc_co_u32_e32 v14, vcc, 0, v14, vcc
	v_mul_hi_u32 v21, v5, v19
	v_mul_lo_u32 v19, v5, v19
	v_add_co_u32_e32 v15, vcc, v15, v19
	v_mul_hi_u32 v20, v5, v12
	v_addc_co_u32_e32 v14, vcc, v14, v21, vcc
	v_addc_co_u32_e32 v15, vcc, 0, v20, vcc
	v_mul_lo_u32 v12, v5, v12
	v_add_co_u32_e32 v12, vcc, v14, v12
	v_addc_co_u32_e32 v14, vcc, 0, v15, vcc
	v_add_co_u32_e32 v4, vcc, v4, v12
	v_addc_co_u32_e32 v5, vcc, v5, v14, vcc
	v_mul_lo_u32 v12, s0, v5
	v_mul_hi_u32 v14, s0, v4
	v_add_u32_e32 v12, v14, v12
	v_mul_lo_u32 v14, s1, v4
	v_add_u32_e32 v12, v12, v14
	v_mul_lo_u32 v15, s0, v4
	v_mul_hi_u32 v19, v5, v15
	v_mul_lo_u32 v20, v5, v15
	v_mul_lo_u32 v22, v4, v12
	v_mul_hi_u32 v15, v4, v15
	v_mul_hi_u32 v21, v4, v12
	v_add_co_u32_e32 v15, vcc, v15, v22
	v_addc_co_u32_e32 v21, vcc, 0, v21, vcc
	v_add_co_u32_e32 v15, vcc, v15, v20
	v_mul_hi_u32 v14, v5, v12
	v_addc_co_u32_e32 v15, vcc, v21, v19, vcc
	v_addc_co_u32_e32 v14, vcc, 0, v14, vcc
	v_mul_lo_u32 v12, v5, v12
	v_add_co_u32_e32 v12, vcc, v15, v12
	v_addc_co_u32_e32 v14, vcc, 0, v14, vcc
	v_add_co_u32_e32 v12, vcc, v4, v12
	v_addc_co_u32_e32 v14, vcc, v5, v14, vcc
	v_ashrrev_i32_e32 v15, 31, v13
	v_add_co_u32_e32 v3, vcc, v3, v15
	v_addc_co_u32_e32 v4, vcc, v13, v15, vcc
	v_xor_b32_e32 v3, v3, v15
	v_xor_b32_e32 v19, v4, v15
	v_mad_u64_u32 v[4:5], s[0:1], v3, v14, 0
	v_mul_hi_u32 v13, v3, v12
	v_add_co_u32_e32 v20, vcc, v13, v4
	v_addc_co_u32_e32 v21, vcc, 0, v5, vcc
	v_mad_u64_u32 v[12:13], s[0:1], v19, v12, 0
	v_add_co_u32_e32 v12, vcc, v20, v12
	v_mad_u64_u32 v[4:5], s[0:1], v19, v14, 0
	v_addc_co_u32_e32 v12, vcc, v21, v13, vcc
	v_addc_co_u32_e32 v5, vcc, 0, v5, vcc
	v_add_co_u32_e32 v14, vcc, v12, v4
	v_addc_co_u32_e32 v20, vcc, 0, v5, vcc
	v_mad_u64_u32 v[4:5], s[0:1], s3, v14, 0
	v_mov_b32_e32 v12, v5
	v_mad_u64_u32 v[12:13], s[0:1], s3, v20, v[12:13]
	v_sub_co_u32_e32 v3, vcc, v3, v4
	v_subb_co_u32_e32 v4, vcc, v19, v12, vcc
	v_subrev_co_u32_e32 v5, vcc, s3, v3
	v_subbrev_co_u32_e32 v12, vcc, 0, v4, vcc
	v_cmp_le_u32_e32 vcc, s3, v5
	v_cndmask_b32_e64 v5, 0, -1, vcc
	v_cmp_eq_u32_e32 vcc, 0, v12
	v_cndmask_b32_e32 v5, -1, v5, vcc
	v_add_co_u32_e32 v12, vcc, 2, v14
	v_addc_co_u32_e32 v13, vcc, 0, v20, vcc
	v_add_co_u32_e32 v19, vcc, 1, v14
	v_cmp_le_u32_e64 s[0:1], s3, v3
	v_addc_co_u32_e32 v21, vcc, 0, v20, vcc
	v_cndmask_b32_e64 v3, 0, -1, s[0:1]
	v_cmp_eq_u32_e64 s[0:1], 0, v4
	v_cmp_ne_u32_e32 vcc, 0, v5
	v_cndmask_b32_e64 v3, -1, v3, s[0:1]
	v_cmp_ne_u32_e64 s[0:1], 0, v3
	v_cndmask_b32_e32 v4, v19, v12, vcc
	v_cndmask_b32_e32 v5, v21, v13, vcc
	v_cndmask_b32_e64 v4, v14, v4, s[0:1]
	v_cndmask_b32_e64 v3, v20, v5, s[0:1]
	v_xor_b32_e32 v4, v4, v15
	v_xor_b32_e32 v3, v3, v15
	v_sub_co_u32_e32 v4, vcc, v4, v15
	v_subb_co_u32_e32 v5, vcc, v3, v15, vcc
                                        ; implicit-def: $vgpr3
.LBB49_151:
	s_andn2_saveexec_b64 s[0:1], s[4:5]
	s_cbranch_execz .LBB49_153
; %bb.152:
	v_cvt_f32_u32_e32 v4, s3
	v_rcp_iflag_f32_e32 v4, v4
	v_mul_f32_e32 v4, 0x4f7ffffe, v4
	v_cvt_u32_f32_e32 v4, v4
	v_mul_lo_u32 v5, s6, v4
	v_mul_hi_u32 v5, v4, v5
	v_add_u32_e32 v4, v4, v5
	v_mul_hi_u32 v4, v3, v4
	v_mul_lo_u32 v5, v4, s3
	v_sub_u32_e32 v3, v3, v5
	v_add_u32_e32 v12, 1, v4
	v_subrev_u32_e32 v5, s3, v3
	v_cmp_le_u32_e32 vcc, s3, v3
	v_cndmask_b32_e32 v3, v3, v5, vcc
	v_cndmask_b32_e32 v4, v4, v12, vcc
	v_add_u32_e32 v5, 1, v4
	v_cmp_le_u32_e32 vcc, s3, v3
	v_cndmask_b32_e32 v4, v4, v5, vcc
	v_mov_b32_e32 v5, 0
.LBB49_153:
	s_or_b64 exec, exec, s[0:1]
	v_cmp_gt_i64_e32 vcc, s[28:29], v[10:11]
	v_mov_b32_e32 v19, 0
	s_and_saveexec_b64 s[0:1], vcc
	s_cbranch_execz .LBB49_167
; %bb.154:
	s_add_i32 s4, s3, -1
	v_and_b32_e32 v10, s4, v0
	v_cmp_lt_i64_e32 vcc, 0, v[4:5]
	v_mov_b32_e32 v19, 0
	s_and_saveexec_b64 s[4:5], vcc
	s_cbranch_execz .LBB49_164
; %bb.155:
	v_cmp_lt_u64_e32 vcc, 3, v[4:5]
	v_pk_mov_b32 v[12:13], 0, 0
	v_mov_b32_e32 v19, 0
	s_and_saveexec_b64 s[6:7], vcc
	s_cbranch_execz .LBB49_159
; %bb.156:
	s_lshl_b32 s10, s8, 2
	s_lshl_b32 s11, s3, 3
	;; [unrolled: 1-line block ×3, first 2 shown]
	v_lshlrev_b32_e32 v3, 2, v2
	s_sub_i32 s17, s11, s10
	s_mul_i32 s11, s3, 12
	v_and_b32_e32 v13, 0x7fffffff, v5
	v_and_b32_e32 v12, -4, v4
	s_sub_i32 s9, s9, s10
	v_lshl_add_u32 v3, v10, 2, v3
	s_lshl_b32 s16, s3, 4
	s_sub_i32 s18, s11, s10
	s_sub_i32 s19, 0, s10
	s_mov_b64 s[10:11], 0
	v_mov_b32_e32 v19, 0
	s_mov_b64 s[12:13], 0
.LBB49_157:                             ; =>This Inner Loop Header: Depth=1
	v_add_u32_e32 v11, s19, v3
	v_add_u32_e32 v14, s9, v3
	;; [unrolled: 1-line block ×4, first 2 shown]
	ds_read_b32 v11, v11
	ds_read_b32 v14, v14
	;; [unrolled: 1-line block ×4, first 2 shown]
	s_add_u32 s12, s12, 4
	s_addc_u32 s13, s13, 0
	v_cmp_eq_u64_e32 vcc, s[12:13], v[12:13]
	s_waitcnt lgkmcnt(2)
	v_add3_u32 v11, v11, v19, v14
	v_add_u32_e32 v3, s16, v3
	s_or_b64 s[10:11], vcc, s[10:11]
	s_waitcnt lgkmcnt(0)
	v_add3_u32 v19, v15, v11, v20
	s_andn2_b64 exec, exec, s[10:11]
	s_cbranch_execnz .LBB49_157
; %bb.158:
	s_or_b64 exec, exec, s[10:11]
.LBB49_159:
	s_or_b64 exec, exec, s[6:7]
	v_and_b32_e32 v14, 3, v4
	v_mov_b32_e32 v15, 0
	s_mov_b64 s[10:11], 0
	v_cmp_ne_u64_e32 vcc, 0, v[14:15]
	s_and_saveexec_b64 s[6:7], vcc
	s_cbranch_execz .LBB49_163
; %bb.160:
	v_mul_lo_u32 v3, s3, v12
	v_add3_u32 v2, v10, v3, v2
	v_subrev_u32_e32 v2, s8, v2
	v_lshlrev_b32_e32 v2, 2, v2
	s_lshl_b32 s8, s3, 2
.LBB49_161:                             ; =>This Inner Loop Header: Depth=1
	ds_read_b32 v3, v2
	v_add_co_u32_e32 v14, vcc, -1, v14
	v_addc_co_u32_e32 v15, vcc, -1, v15, vcc
	v_cmp_eq_u64_e32 vcc, 0, v[14:15]
	v_add_u32_e32 v2, s8, v2
	s_or_b64 s[10:11], vcc, s[10:11]
	s_waitcnt lgkmcnt(0)
	v_add_u32_e32 v19, v3, v19
	s_andn2_b64 exec, exec, s[10:11]
	s_cbranch_execnz .LBB49_161
; %bb.162:
	s_or_b64 exec, exec, s[10:11]
.LBB49_163:
	s_or_b64 exec, exec, s[6:7]
.LBB49_164:
	s_or_b64 exec, exec, s[4:5]
	v_mad_u64_u32 v[2:3], s[4:5], v4, s3, v[8:9]
	v_mov_b32_e32 v4, v3
	v_mad_u64_u32 v[4:5], s[4:5], v5, s3, v[4:5]
	v_mov_b32_e32 v3, v4
	v_sub_co_u32_e32 v4, vcc, v17, v2
	v_mov_b32_e32 v11, 0
	v_subb_co_u32_e32 v5, vcc, v18, v3, vcc
	v_cmp_gt_i64_e32 vcc, v[4:5], v[10:11]
	s_and_saveexec_b64 s[4:5], vcc
	s_cbranch_execz .LBB49_166
; %bb.165:
	v_add_lshl_u32 v2, v10, v2, 2
	ds_read_b32 v2, v2
	s_waitcnt lgkmcnt(0)
	v_add_u32_e32 v19, v2, v19
.LBB49_166:
	s_or_b64 exec, exec, s[4:5]
.LBB49_167:
	s_or_b64 exec, exec, s[0:1]
	v_cmp_gt_i64_e32 vcc, s[28:29], v[0:1]
	s_barrier
	ds_write_b32 v16, v19
	s_waitcnt lgkmcnt(0)
	s_barrier
	s_and_saveexec_b64 s[0:1], vcc
	s_cbranch_execz .LBB49_179
; %bb.168:
	s_add_i32 s5, s3, -2
	s_lshr_b32 s4, s5, 1
	s_add_i32 s4, s4, 1
	v_mul_lo_u32 v1, s3, v0
	s_mov_b32 s0, 0
	s_cmp_lt_u32 s5, 14
	s_cbranch_scc1 .LBB49_171
; %bb.169:
	s_and_b32 s1, s4, -8
	v_lshlrev_b32_e32 v4, 2, v1
	v_mov_b32_e32 v2, 0
	v_mov_b32_e32 v3, 0
.LBB49_170:                             ; =>This Inner Loop Header: Depth=1
	ds_read2_b32 v[8:9], v4 offset1:1
	ds_read2_b32 v[10:11], v4 offset0:2 offset1:3
	ds_read2_b32 v[12:13], v4 offset0:4 offset1:5
	;; [unrolled: 1-line block ×7, first 2 shown]
	s_waitcnt lgkmcnt(6)
	v_add3_u32 v2, v8, v2, v10
	v_add3_u32 v3, v9, v3, v11
	s_waitcnt lgkmcnt(4)
	v_add3_u32 v3, v13, v3, v15
	v_add3_u32 v2, v12, v2, v14
	s_add_i32 s0, s0, 16
	s_add_i32 s1, s1, -8
	s_waitcnt lgkmcnt(2)
	v_add3_u32 v2, v16, v2, v18
	v_add3_u32 v3, v17, v3, v19
	v_add_u32_e32 v4, 64, v4
	s_cmp_lg_u32 s1, 0
	s_waitcnt lgkmcnt(0)
	v_add3_u32 v3, v21, v3, v23
	v_add3_u32 v2, v20, v2, v22
	s_cbranch_scc1 .LBB49_170
	s_branch .LBB49_172
.LBB49_171:
	s_mov_b32 s1, s0
	v_pk_mov_b32 v[2:3], s[0:1], s[0:1] op_sel:[0,1]
.LBB49_172:
	s_and_b32 s1, s4, 7
	s_cmp_eq_u32 s1, 0
	s_cbranch_scc1 .LBB49_175
; %bb.173:
	v_add_lshl_u32 v4, s0, v1, 2
.LBB49_174:                             ; =>This Inner Loop Header: Depth=1
	ds_read2_b32 v[8:9], v4 offset1:1
	s_add_i32 s1, s1, -1
	v_add_u32_e32 v4, 8, v4
	s_cmp_lg_u32 s1, 0
	s_waitcnt lgkmcnt(0)
	v_add_u32_e32 v3, v9, v3
	v_add_u32_e32 v2, v8, v2
	s_cbranch_scc1 .LBB49_174
.LBB49_175:
	s_and_b32 s0, s3, 0x7ffffffe
	s_cmp_eq_u32 s3, s0
	v_add_u32_e32 v2, v2, v3
	s_cbranch_scc1 .LBB49_178
; %bb.176:
	s_lshl_b32 s1, s3, 2
	s_and_b32 s1, s1, -8
	s_sub_i32 s0, s3, s0
	v_lshl_add_u32 v1, v1, 2, s1
.LBB49_177:                             ; =>This Inner Loop Header: Depth=1
	ds_read_b32 v3, v1
	s_add_i32 s0, s0, -1
	v_add_u32_e32 v1, 4, v1
	s_cmp_eq_u32 s0, 0
	s_waitcnt lgkmcnt(0)
	v_add_u32_e32 v2, v3, v2
	s_cbranch_scc0 .LBB49_177
.LBB49_178:
	s_lshl_b32 s0, s2, 2
	s_addk_i32 s0, 0x1000
	v_lshl_add_u32 v0, v0, 2, s0
	ds_read_b32 v3, v0
	v_lshlrev_b64 v[0:1], 2, v[6:7]
	v_mov_b32_e32 v4, s15
	v_add_co_u32_e32 v0, vcc, s14, v0
	s_waitcnt lgkmcnt(0)
	v_add_u32_e32 v2, v3, v2
	v_addc_co_u32_e32 v1, vcc, v4, v1, vcc
	global_atomic_add v[0:1], v2, off
.LBB49_179:
	s_endpgm
	.section	.rodata,"a",@progbits
	.p2align	6, 0x0
	.amdhsa_kernel _ZN9rocsparseL27csrmvn_symm_adaptive_kernelIliaaiiEEvbT_S1_PKS1_NS_24const_host_device_scalarIT4_EES3_PKT0_PKT1_PKT2_S6_PT3_21rocsparse_index_base_b
		.amdhsa_group_segment_fixed_size 4096
		.amdhsa_private_segment_fixed_size 0
		.amdhsa_kernarg_size 352
		.amdhsa_user_sgpr_count 6
		.amdhsa_user_sgpr_private_segment_buffer 1
		.amdhsa_user_sgpr_dispatch_ptr 0
		.amdhsa_user_sgpr_queue_ptr 0
		.amdhsa_user_sgpr_kernarg_segment_ptr 1
		.amdhsa_user_sgpr_dispatch_id 0
		.amdhsa_user_sgpr_flat_scratch_init 0
		.amdhsa_user_sgpr_kernarg_preload_length 0
		.amdhsa_user_sgpr_kernarg_preload_offset 0
		.amdhsa_user_sgpr_private_segment_size 0
		.amdhsa_uses_dynamic_stack 0
		.amdhsa_system_sgpr_private_segment_wavefront_offset 0
		.amdhsa_system_sgpr_workgroup_id_x 1
		.amdhsa_system_sgpr_workgroup_id_y 0
		.amdhsa_system_sgpr_workgroup_id_z 0
		.amdhsa_system_sgpr_workgroup_info 0
		.amdhsa_system_vgpr_workitem_id 0
		.amdhsa_next_free_vgpr 32
		.amdhsa_next_free_sgpr 56
		.amdhsa_accum_offset 32
		.amdhsa_reserve_vcc 1
		.amdhsa_reserve_flat_scratch 0
		.amdhsa_float_round_mode_32 0
		.amdhsa_float_round_mode_16_64 0
		.amdhsa_float_denorm_mode_32 3
		.amdhsa_float_denorm_mode_16_64 3
		.amdhsa_dx10_clamp 1
		.amdhsa_ieee_mode 1
		.amdhsa_fp16_overflow 0
		.amdhsa_tg_split 0
		.amdhsa_exception_fp_ieee_invalid_op 0
		.amdhsa_exception_fp_denorm_src 0
		.amdhsa_exception_fp_ieee_div_zero 0
		.amdhsa_exception_fp_ieee_overflow 0
		.amdhsa_exception_fp_ieee_underflow 0
		.amdhsa_exception_fp_ieee_inexact 0
		.amdhsa_exception_int_div_zero 0
	.end_amdhsa_kernel
	.section	.text._ZN9rocsparseL27csrmvn_symm_adaptive_kernelIliaaiiEEvbT_S1_PKS1_NS_24const_host_device_scalarIT4_EES3_PKT0_PKT1_PKT2_S6_PT3_21rocsparse_index_base_b,"axG",@progbits,_ZN9rocsparseL27csrmvn_symm_adaptive_kernelIliaaiiEEvbT_S1_PKS1_NS_24const_host_device_scalarIT4_EES3_PKT0_PKT1_PKT2_S6_PT3_21rocsparse_index_base_b,comdat
.Lfunc_end49:
	.size	_ZN9rocsparseL27csrmvn_symm_adaptive_kernelIliaaiiEEvbT_S1_PKS1_NS_24const_host_device_scalarIT4_EES3_PKT0_PKT1_PKT2_S6_PT3_21rocsparse_index_base_b, .Lfunc_end49-_ZN9rocsparseL27csrmvn_symm_adaptive_kernelIliaaiiEEvbT_S1_PKS1_NS_24const_host_device_scalarIT4_EES3_PKT0_PKT1_PKT2_S6_PT3_21rocsparse_index_base_b
                                        ; -- End function
	.section	.AMDGPU.csdata,"",@progbits
; Kernel info:
; codeLenInByte = 8924
; NumSgprs: 60
; NumVgprs: 32
; NumAgprs: 0
; TotalNumVgprs: 32
; ScratchSize: 0
; MemoryBound: 0
; FloatMode: 240
; IeeeMode: 1
; LDSByteSize: 4096 bytes/workgroup (compile time only)
; SGPRBlocks: 7
; VGPRBlocks: 3
; NumSGPRsForWavesPerEU: 60
; NumVGPRsForWavesPerEU: 32
; AccumOffset: 32
; Occupancy: 8
; WaveLimiterHint : 1
; COMPUTE_PGM_RSRC2:SCRATCH_EN: 0
; COMPUTE_PGM_RSRC2:USER_SGPR: 6
; COMPUTE_PGM_RSRC2:TRAP_HANDLER: 0
; COMPUTE_PGM_RSRC2:TGID_X_EN: 1
; COMPUTE_PGM_RSRC2:TGID_Y_EN: 0
; COMPUTE_PGM_RSRC2:TGID_Z_EN: 0
; COMPUTE_PGM_RSRC2:TIDIG_COMP_CNT: 0
; COMPUTE_PGM_RSRC3_GFX90A:ACCUM_OFFSET: 7
; COMPUTE_PGM_RSRC3_GFX90A:TG_SPLIT: 0
	.section	.text._ZL33csrmvn_symm_large_adaptive_kernelIliaaiiEvbT_PKS0_N9rocsparse24const_host_device_scalarIT4_EES2_PKT0_PKT1_PKT2_S6_PT3_21rocsparse_index_base_b,"axG",@progbits,_ZL33csrmvn_symm_large_adaptive_kernelIliaaiiEvbT_PKS0_N9rocsparse24const_host_device_scalarIT4_EES2_PKT0_PKT1_PKT2_S6_PT3_21rocsparse_index_base_b,comdat
	.globl	_ZL33csrmvn_symm_large_adaptive_kernelIliaaiiEvbT_PKS0_N9rocsparse24const_host_device_scalarIT4_EES2_PKT0_PKT1_PKT2_S6_PT3_21rocsparse_index_base_b ; -- Begin function _ZL33csrmvn_symm_large_adaptive_kernelIliaaiiEvbT_PKS0_N9rocsparse24const_host_device_scalarIT4_EES2_PKT0_PKT1_PKT2_S6_PT3_21rocsparse_index_base_b
	.p2align	8
	.type	_ZL33csrmvn_symm_large_adaptive_kernelIliaaiiEvbT_PKS0_N9rocsparse24const_host_device_scalarIT4_EES2_PKT0_PKT1_PKT2_S6_PT3_21rocsparse_index_base_b,@function
_ZL33csrmvn_symm_large_adaptive_kernelIliaaiiEvbT_PKS0_N9rocsparse24const_host_device_scalarIT4_EES2_PKT0_PKT1_PKT2_S6_PT3_21rocsparse_index_base_b: ; @_ZL33csrmvn_symm_large_adaptive_kernelIliaaiiEvbT_PKS0_N9rocsparse24const_host_device_scalarIT4_EES2_PKT0_PKT1_PKT2_S6_PT3_21rocsparse_index_base_b
; %bb.0:
	s_load_dwordx2 s[24:25], s[4:5], 0x50
	s_load_dwordx2 s[8:9], s[4:5], 0x18
	s_mov_b64 s[10:11], -1
	s_waitcnt lgkmcnt(0)
	s_bitcmp1_b32 s25, 0
	s_cselect_b64 s[0:1], -1, 0
	s_xor_b64 s[2:3], s[0:1], -1
	s_and_b64 vcc, exec, s[2:3]
                                        ; implicit-def: $sgpr25
	s_cbranch_vccnz .LBB50_4
; %bb.1:
	s_load_dwordx2 s[0:1], s[4:5], 0x40
	s_andn2_b64 vcc, exec, s[10:11]
	s_cbranch_vccz .LBB50_5
.LBB50_2:
	s_and_b64 vcc, exec, s[2:3]
	s_cbranch_vccz .LBB50_6
.LBB50_3:
	s_waitcnt lgkmcnt(0)
	s_load_dword s1, s[0:1], 0x0
	s_cbranch_execz .LBB50_7
	s_branch .LBB50_8
.LBB50_4:
	s_load_dword s25, s[8:9], 0x0
	s_load_dwordx2 s[0:1], s[4:5], 0x40
	s_cbranch_execnz .LBB50_2
.LBB50_5:
	s_waitcnt lgkmcnt(0)
	s_mov_b32 s25, s8
	s_and_b64 vcc, exec, s[2:3]
	s_cbranch_vccnz .LBB50_3
.LBB50_6:
                                        ; implicit-def: $sgpr1
.LBB50_7:
	s_waitcnt lgkmcnt(0)
	s_mov_b32 s1, s0
.LBB50_8:
	s_waitcnt lgkmcnt(0)
	s_cmp_lg_u32 s25, 0
	s_cselect_b64 s[2:3], -1, 0
	s_cmp_lg_u32 s1, 1
	s_cselect_b64 s[0:1], -1, 0
	s_or_b64 s[0:1], s[2:3], s[0:1]
	s_andn2_b64 vcc, exec, s[0:1]
	s_mov_b32 s33, 0
	s_cbranch_vccnz .LBB50_46
; %bb.9:
	s_load_dwordx2 s[0:1], s[4:5], 0x10
	s_ashr_i32 s7, s6, 31
	s_lshl_b64 s[2:3], s[6:7], 3
	v_lshlrev_b32_e32 v12, 2, v0
	v_mov_b32_e32 v1, 0
	s_waitcnt lgkmcnt(0)
	s_add_u32 s0, s0, s2
	s_addc_u32 s1, s1, s3
	ds_write2st64_b32 v12, v1, v1 offset1:4
	ds_write2st64_b32 v12, v1, v1 offset0:8 offset1:12
	s_waitcnt lgkmcnt(0)
	s_barrier
	s_load_dwordx4 s[20:23], s[0:1], 0x0
	s_load_dwordx8 s[12:19], s[4:5], 0x20
	s_load_dwordx2 s[26:27], s[4:5], 0x48
	v_subrev_co_u32_e64 v13, s[0:1], s24, v0
	s_waitcnt lgkmcnt(0)
	v_pk_mov_b32 v[2:3], s[22:23], s[22:23] op_sel:[0,1]
	v_cmp_lt_i64_e32 vcc, s[20:21], v[2:3]
	v_subb_co_u32_e64 v14, s[0:1], 0, 0, s[0:1]
	s_cbranch_vccnz .LBB50_11
; %bb.10:
	s_lshl_b64 s[0:1], s[20:21], 3
	s_add_u32 s0, s12, s0
	s_addc_u32 s1, s13, s1
	s_load_dwordx2 s[28:29], s[0:1], 0x0
	s_cbranch_execz .LBB50_12
	s_branch .LBB50_37
.LBB50_11:
                                        ; implicit-def: $sgpr28_sgpr29
.LBB50_12:
	s_lshl_b64 s[10:11], s[20:21], 3
	v_not_b32_e32 v2, v0
	s_add_u32 s10, s12, s10
	v_not_b32_e32 v1, 0
	v_mov_b32_e32 v3, s33
	v_add_co_u32_e32 v15, vcc, s24, v2
	s_movk_i32 s30, 0x100
	s_addc_u32 s11, s13, s11
	v_addc_co_u32_e32 v16, vcc, v1, v3, vcc
	v_cmp_gt_u32_e64 s[0:1], s30, v0
	v_cmp_gt_u32_e64 s[2:3], 64, v0
	;; [unrolled: 1-line block ×4, first 2 shown]
	v_cmp_eq_u32_e64 s[8:9], 0, v0
	s_waitcnt lgkmcnt(0)
	s_load_dwordx2 s[28:29], s[10:11], 0x0
	v_subrev_co_u32_e32 v0, vcc, s24, v0
	v_subb_co_u32_e32 v1, vcc, 0, v3, vcc
	v_add_co_u32_e32 v17, vcc, s30, v0
	s_add_u32 s48, s12, 8
	v_addc_co_u32_e32 v18, vcc, 0, v1, vcc
	s_addc_u32 s49, s13, 0
	s_add_u32 s50, s14, 0x400
	v_mov_b32_e32 v0, s17
	v_add_co_u32_e32 v19, vcc, s16, v17
	s_mov_b32 s46, s24
	s_mov_b32 s47, s24
	s_addc_u32 s51, s15, 0
	v_addc_co_u32_e32 v20, vcc, v0, v18, vcc
	s_mov_b64 s[30:31], 0xff
	v_mov_b32_e32 v21, s19
	v_mov_b32_e32 v22, 0
	s_waitcnt lgkmcnt(0)
	s_mov_b64 s[10:11], s[28:29]
	s_mov_b64 s[34:35], s[20:21]
	s_branch .LBB50_14
.LBB50_13:                              ;   in Loop: Header=BB50_14 Depth=1
	s_or_b64 exec, exec, s[10:11]
	s_add_u32 s34, s34, 1
	s_addc_u32 s35, s35, 0
	v_pk_mov_b32 v[0:1], s[22:23], s[22:23] op_sel:[0,1]
	v_cmp_ge_i64_e32 vcc, s[34:35], v[0:1]
	s_mov_b64 s[10:11], s[36:37]
	s_cbranch_vccnz .LBB50_37
.LBB50_14:                              ; =>This Loop Header: Depth=1
                                        ;     Child Loop BB50_17 Depth 2
                                        ;     Child Loop BB50_21 Depth 2
	s_lshl_b64 s[36:37], s[34:35], 3
	s_add_u32 s36, s48, s36
	s_addc_u32 s37, s49, s37
	s_load_dwordx2 s[36:37], s[36:37], 0x0
	v_mov_b32_e32 v1, s11
	v_add_co_u32_e32 v0, vcc, s10, v13
	v_addc_co_u32_e32 v1, vcc, v1, v14, vcc
	s_waitcnt lgkmcnt(0)
	s_sub_u32 s40, s36, s24
	s_subb_u32 s41, s37, 0
	v_cmp_gt_i64_e32 vcc, s[40:41], v[0:1]
	v_mov_b32_e32 v6, 0
	s_and_saveexec_b64 s[38:39], vcc
	s_cbranch_execz .LBB50_24
; %bb.15:                               ;   in Loop: Header=BB50_14 Depth=1
	v_mov_b32_e32 v4, s11
	v_add_co_u32_e32 v2, vcc, s10, v17
	v_addc_co_u32_e32 v3, vcc, v18, v4, vcc
	v_mov_b32_e32 v5, s41
	v_cmp_lt_i64_e32 vcc, s[40:41], v[2:3]
	v_cndmask_b32_e32 v3, v5, v3, vcc
	v_mov_b32_e32 v5, s40
	v_cndmask_b32_e32 v2, v5, v2, vcc
	v_add_co_u32_e32 v2, vcc, v15, v2
	v_addc_co_u32_e32 v3, vcc, v16, v3, vcc
	v_subrev_co_u32_e32 v2, vcc, s10, v2
	v_subb_co_u32_e32 v3, vcc, v3, v4, vcc
	v_cmp_lt_u64_e32 vcc, s[30:31], v[2:3]
	s_mov_b64 s[44:45], -1
	v_mov_b32_e32 v6, 0
	s_and_saveexec_b64 s[42:43], vcc
	s_cbranch_execz .LBB50_19
; %bb.16:                               ;   in Loop: Header=BB50_14 Depth=1
	v_lshrrev_b64 v[2:3], 8, v[2:3]
	v_add_co_u32_e32 v2, vcc, 1, v2
	v_addc_co_u32_e32 v3, vcc, 0, v3, vcc
	v_lshlrev_b64 v[6:7], 2, v[0:1]
	v_mov_b32_e32 v8, s51
	v_add_co_u32_e32 v6, vcc, s50, v6
	v_addc_co_u32_e32 v7, vcc, v8, v7, vcc
	v_and_b32_e32 v4, -2, v2
	v_mov_b32_e32 v5, v3
	v_mov_b32_e32 v9, s11
	v_add_co_u32_e32 v8, vcc, s10, v19
	v_addc_co_u32_e32 v9, vcc, v20, v9, vcc
	s_mov_b64 s[44:45], 0
	v_mov_b32_e32 v23, 0
	v_pk_mov_b32 v[10:11], v[4:5], v[4:5] op_sel:[0,1]
	v_mov_b32_e32 v24, 0
.LBB50_17:                              ;   Parent Loop BB50_14 Depth=1
                                        ; =>  This Inner Loop Header: Depth=2
	global_load_dword v25, v[6:7], off offset:-1024
	global_load_dword v26, v[6:7], off
	global_load_sbyte v30, v[8:9], off offset:-256
	global_load_sbyte v31, v[8:9], off
	s_waitcnt vmcnt(3)
	v_subrev_u32_e32 v25, s46, v25
	s_waitcnt vmcnt(2)
	v_subrev_u32_e32 v26, s47, v26
	v_ashrrev_i32_e32 v27, 31, v26
	v_add_co_u32_e32 v26, vcc, s18, v26
	v_ashrrev_i32_e32 v29, 31, v25
	v_add_co_u32_e64 v28, s[10:11], s18, v25
	v_addc_co_u32_e32 v27, vcc, v21, v27, vcc
	v_addc_co_u32_e64 v29, s[10:11], v21, v29, s[10:11]
	global_load_sbyte v25, v[26:27], off
	s_nop 0
	global_load_sbyte v26, v[28:29], off
	v_add_co_u32_e32 v10, vcc, -2, v10
	v_addc_co_u32_e32 v11, vcc, -1, v11, vcc
	v_add_co_u32_e32 v6, vcc, 0x800, v6
	v_addc_co_u32_e32 v7, vcc, 0, v7, vcc
	v_add_co_u32_e32 v8, vcc, 0x200, v8
	v_cmp_eq_u64_e64 s[10:11], 0, v[10:11]
	v_addc_co_u32_e32 v9, vcc, 0, v9, vcc
	s_or_b64 s[44:45], s[10:11], s[44:45]
	s_waitcnt vmcnt(1)
	v_mad_i32_i24 v24, v25, v31, v24
	s_waitcnt vmcnt(0)
	v_mad_i32_i24 v23, v26, v30, v23
	s_andn2_b64 exec, exec, s[44:45]
	s_cbranch_execnz .LBB50_17
; %bb.18:                               ;   in Loop: Header=BB50_14 Depth=1
	s_or_b64 exec, exec, s[44:45]
	v_lshlrev_b64 v[6:7], 8, v[4:5]
	v_add_co_u32_e32 v0, vcc, v0, v6
	v_addc_co_u32_e32 v1, vcc, v1, v7, vcc
	v_cmp_ne_u64_e32 vcc, v[2:3], v[4:5]
	v_add_u32_e32 v6, v23, v24
	s_orn2_b64 s[44:45], vcc, exec
.LBB50_19:                              ;   in Loop: Header=BB50_14 Depth=1
	s_or_b64 exec, exec, s[42:43]
	s_and_saveexec_b64 s[10:11], s[44:45]
	s_cbranch_execz .LBB50_23
; %bb.20:                               ;   in Loop: Header=BB50_14 Depth=1
	v_lshlrev_b64 v[2:3], 2, v[0:1]
	v_mov_b32_e32 v4, s15
	v_add_co_u32_e32 v2, vcc, s14, v2
	v_addc_co_u32_e32 v3, vcc, v4, v3, vcc
	s_mov_b64 s[42:43], 0
.LBB50_21:                              ;   Parent Loop BB50_14 Depth=1
                                        ; =>  This Inner Loop Header: Depth=2
	global_load_dword v7, v[2:3], off
	v_mov_b32_e32 v5, s17
	v_add_co_u32_e32 v4, vcc, s16, v0
	v_addc_co_u32_e32 v5, vcc, v5, v1, vcc
	global_load_sbyte v9, v[4:5], off
	v_mov_b32_e32 v8, s19
	s_waitcnt vmcnt(1)
	v_subrev_u32_e32 v4, s24, v7
	v_ashrrev_i32_e32 v5, 31, v4
	v_add_co_u32_e32 v4, vcc, s18, v4
	v_addc_co_u32_e32 v5, vcc, v8, v5, vcc
	global_load_sbyte v4, v[4:5], off
	v_add_co_u32_e32 v0, vcc, 0x100, v0
	v_addc_co_u32_e32 v1, vcc, 0, v1, vcc
	v_add_co_u32_e32 v2, vcc, 0x400, v2
	v_addc_co_u32_e32 v3, vcc, 0, v3, vcc
	v_cmp_le_i64_e32 vcc, s[40:41], v[0:1]
	s_or_b64 s[42:43], vcc, s[42:43]
	s_waitcnt vmcnt(0)
	v_mad_i32_i24 v6, v4, v9, v6
	s_andn2_b64 exec, exec, s[42:43]
	s_cbranch_execnz .LBB50_21
; %bb.22:                               ;   in Loop: Header=BB50_14 Depth=1
	s_or_b64 exec, exec, s[42:43]
.LBB50_23:                              ;   in Loop: Header=BB50_14 Depth=1
	s_or_b64 exec, exec, s[10:11]
.LBB50_24:                              ;   in Loop: Header=BB50_14 Depth=1
	s_or_b64 exec, exec, s[38:39]
	ds_write_b32 v12, v6
	s_waitcnt lgkmcnt(0)
	s_barrier
	s_and_saveexec_b64 s[10:11], s[0:1]
	s_cbranch_execz .LBB50_26
; %bb.25:                               ;   in Loop: Header=BB50_14 Depth=1
	ds_read2st64_b32 v[0:1], v12 offset1:4
	ds_read2st64_b32 v[2:3], v12 offset0:8 offset1:12
	s_waitcnt lgkmcnt(0)
	v_add_u32_e32 v1, v2, v1
	v_add3_u32 v0, v1, v3, v0
	ds_write_b32 v12, v0
.LBB50_26:                              ;   in Loop: Header=BB50_14 Depth=1
	s_or_b64 exec, exec, s[10:11]
	s_waitcnt lgkmcnt(0)
	s_barrier
	s_and_saveexec_b64 s[10:11], s[2:3]
	s_cbranch_execz .LBB50_28
; %bb.27:                               ;   in Loop: Header=BB50_14 Depth=1
	ds_read2st64_b32 v[0:1], v12 offset1:1
	ds_read2st64_b32 v[2:3], v12 offset0:2 offset1:3
	s_waitcnt lgkmcnt(0)
	v_add_u32_e32 v1, v2, v1
	v_add3_u32 v0, v1, v3, v0
	ds_write_b32 v12, v0
.LBB50_28:                              ;   in Loop: Header=BB50_14 Depth=1
	s_or_b64 exec, exec, s[10:11]
	s_waitcnt lgkmcnt(0)
	s_barrier
	s_and_saveexec_b64 s[10:11], s[4:5]
	s_cbranch_execz .LBB50_30
; %bb.29:                               ;   in Loop: Header=BB50_14 Depth=1
	ds_read2_b32 v[0:1], v12 offset1:16
	ds_read2_b32 v[2:3], v12 offset0:32 offset1:48
	s_waitcnt lgkmcnt(0)
	v_add_u32_e32 v1, v2, v1
	v_add3_u32 v0, v1, v3, v0
	ds_write_b32 v12, v0
.LBB50_30:                              ;   in Loop: Header=BB50_14 Depth=1
	s_or_b64 exec, exec, s[10:11]
	s_waitcnt lgkmcnt(0)
	s_barrier
	s_and_saveexec_b64 s[10:11], s[6:7]
	s_cbranch_execz .LBB50_32
; %bb.31:                               ;   in Loop: Header=BB50_14 Depth=1
	ds_read2_b32 v[0:1], v12 offset1:4
	ds_read2_b32 v[2:3], v12 offset0:8 offset1:12
	s_waitcnt lgkmcnt(0)
	v_add_u32_e32 v1, v2, v1
	v_add3_u32 v0, v1, v3, v0
	ds_write_b32 v12, v0
.LBB50_32:                              ;   in Loop: Header=BB50_14 Depth=1
	s_or_b64 exec, exec, s[10:11]
	s_waitcnt lgkmcnt(0)
	s_barrier
	s_and_saveexec_b64 s[10:11], s[8:9]
	s_cbranch_execz .LBB50_34
; %bb.33:                               ;   in Loop: Header=BB50_14 Depth=1
	ds_read2_b32 v[0:1], v22 offset0:1 offset1:2
	ds_read_b32 v2, v22 offset:12
	ds_read_b32 v3, v12
	s_waitcnt lgkmcnt(2)
	v_add_u32_e32 v0, v1, v0
	s_waitcnt lgkmcnt(1)
	v_add_u32_e32 v0, v0, v2
	;; [unrolled: 2-line block ×3, first 2 shown]
	ds_write_b32 v12, v0
.LBB50_34:                              ;   in Loop: Header=BB50_14 Depth=1
	s_or_b64 exec, exec, s[10:11]
	s_waitcnt lgkmcnt(0)
	s_barrier
	s_and_saveexec_b64 s[10:11], s[8:9]
	s_cbranch_execz .LBB50_13
; %bb.35:                               ;   in Loop: Header=BB50_14 Depth=1
	s_mov_b64 s[38:39], exec
	v_mbcnt_lo_u32_b32 v0, s38, 0
	v_mbcnt_hi_u32_b32 v0, s39, v0
	v_cmp_eq_u32_e32 vcc, 0, v0
	s_and_b64 s[40:41], exec, vcc
	s_mov_b64 exec, s[40:41]
	s_cbranch_execz .LBB50_13
; %bb.36:                               ;   in Loop: Header=BB50_14 Depth=1
	ds_read_b32 v0, v22
	s_lshl_b64 s[40:41], s[34:35], 2
	s_add_u32 s40, s26, s40
	s_addc_u32 s41, s27, s41
	s_bcnt1_i32_b64 s38, s[38:39]
	s_waitcnt lgkmcnt(0)
	v_mul_lo_u32 v0, v0, s25
	v_mul_lo_u32 v0, v0, s38
	global_atomic_add v22, v0, s[40:41]
	s_branch .LBB50_13
.LBB50_37:
	s_lshl_b64 s[0:1], s[22:23], 3
	s_add_u32 s0, s12, s0
	s_addc_u32 s1, s13, s1
	s_load_dwordx2 s[0:1], s[0:1], 0x0
	s_waitcnt lgkmcnt(0)
	v_mov_b32_e32 v1, s29
	v_add_co_u32_e32 v0, vcc, s28, v13
	v_addc_co_u32_e32 v1, vcc, v1, v14, vcc
	s_sub_u32 s4, s0, s24
	s_subb_u32 s5, s1, 0
	v_cmp_gt_i64_e32 vcc, s[4:5], v[0:1]
	s_and_saveexec_b64 s[0:1], vcc
	s_cbranch_execz .LBB50_46
; %bb.38:
	s_add_u32 s6, s22, -1
	s_addc_u32 s7, s23, -1
	s_add_u32 s0, s22, -2
	s_addc_u32 s1, s23, -1
	v_pk_mov_b32 v[2:3], s[20:21], s[20:21] op_sel:[0,1]
	s_cmp_lg_u64 s[0:1], s[20:21]
	v_cmp_gt_i64_e32 vcc, s[6:7], v[2:3]
	s_cselect_b64 s[0:1], -1, 0
	s_and_b64 s[0:1], vcc, s[0:1]
	v_cndmask_b32_e64 v2, 0, 1, s[0:1]
	s_mov_b64 s[8:9], 0
	v_cmp_ne_u32_e64 s[0:1], 1, v2
	v_mov_b32_e32 v8, s13
	v_mov_b32_e32 v9, s33
	;; [unrolled: 1-line block ×3, first 2 shown]
	s_branch .LBB50_40
.LBB50_39:                              ;   in Loop: Header=BB50_40 Depth=1
	s_or_b64 exec, exec, s[2:3]
	v_add_co_u32_e32 v0, vcc, 0x100, v0
	v_addc_co_u32_e32 v1, vcc, 0, v1, vcc
	v_cmp_le_i64_e32 vcc, s[4:5], v[0:1]
	s_or_b64 s[8:9], vcc, s[8:9]
	s_andn2_b64 exec, exec, s[8:9]
	s_cbranch_execz .LBB50_46
.LBB50_40:                              ; =>This Loop Header: Depth=1
                                        ;     Child Loop BB50_42 Depth 2
	s_and_b64 vcc, exec, s[0:1]
	v_pk_mov_b32 v[2:3], s[20:21], s[20:21] op_sel:[0,1]
	v_pk_mov_b32 v[4:5], s[6:7], s[6:7] op_sel:[0,1]
	s_cbranch_vccnz .LBB50_44
; %bb.41:                               ;   in Loop: Header=BB50_40 Depth=1
	s_mov_b64 s[10:11], 0
	v_pk_mov_b32 v[2:3], s[20:21], s[20:21] op_sel:[0,1]
	v_pk_mov_b32 v[4:5], s[6:7], s[6:7] op_sel:[0,1]
.LBB50_42:                              ;   Parent Loop BB50_40 Depth=1
                                        ; =>  This Inner Loop Header: Depth=2
	v_add_co_u32_e32 v6, vcc, v4, v2
	v_addc_co_u32_e32 v7, vcc, v5, v3, vcc
	v_lshrrev_b32_e32 v12, 31, v7
	v_add_co_u32_e32 v6, vcc, v6, v12
	v_addc_co_u32_e32 v7, vcc, 0, v7, vcc
	v_ashrrev_i64 v[6:7], 1, v[6:7]
	v_lshlrev_b64 v[12:13], 3, v[6:7]
	v_mov_b32_e32 v11, s13
	v_add_co_u32_e32 v12, vcc, s12, v12
	v_addc_co_u32_e32 v13, vcc, v11, v13, vcc
	global_load_dwordx2 v[12:13], v[12:13], off
	v_mov_b32_e32 v11, s33
	s_waitcnt vmcnt(0)
	v_subrev_co_u32_e32 v12, vcc, s24, v12
	v_subb_co_u32_e32 v13, vcc, v13, v11, vcc
	v_cmp_gt_i64_e32 vcc, v[12:13], v[0:1]
	v_cndmask_b32_e32 v4, v4, v6, vcc
	v_cndmask_b32_e32 v5, v5, v7, vcc
	;; [unrolled: 1-line block ×3, first 2 shown]
	v_add_co_u32_e64 v6, s[2:3], -1, v4
	v_cndmask_b32_e32 v3, v7, v3, vcc
	v_addc_co_u32_e64 v7, s[2:3], -1, v5, s[2:3]
	v_cmp_ge_i64_e32 vcc, v[2:3], v[4:5]
	v_cmp_eq_u64_e64 s[2:3], v[2:3], v[6:7]
	s_or_b64 s[2:3], vcc, s[2:3]
	s_and_b64 s[2:3], exec, s[2:3]
	s_or_b64 s[10:11], s[2:3], s[10:11]
	s_andn2_b64 exec, exec, s[10:11]
	s_cbranch_execnz .LBB50_42
; %bb.43:                               ;   in Loop: Header=BB50_40 Depth=1
	s_or_b64 exec, exec, s[10:11]
.LBB50_44:                              ;   in Loop: Header=BB50_40 Depth=1
	v_lshlrev_b64 v[6:7], 3, v[4:5]
	v_add_co_u32_e32 v6, vcc, s12, v6
	v_addc_co_u32_e32 v7, vcc, v8, v7, vcc
	v_lshlrev_b64 v[12:13], 2, v[0:1]
	global_load_dwordx2 v[6:7], v[6:7], off
	v_add_co_u32_e32 v12, vcc, s14, v12
	v_addc_co_u32_e32 v13, vcc, v10, v13, vcc
	global_load_dword v11, v[12:13], off
	s_waitcnt vmcnt(1)
	v_subrev_co_u32_e32 v12, vcc, s24, v6
	v_subb_co_u32_e32 v13, vcc, v7, v9, vcc
	v_cmp_gt_i64_e32 vcc, v[12:13], v[0:1]
	s_waitcnt vmcnt(0)
	v_subrev_u32_e32 v6, s24, v11
	v_cndmask_b32_e32 v3, v5, v3, vcc
	v_cndmask_b32_e32 v2, v4, v2, vcc
	v_ashrrev_i32_e32 v7, 31, v6
	v_cmp_ne_u64_e32 vcc, v[2:3], v[6:7]
	s_and_saveexec_b64 s[2:3], vcc
	s_cbranch_execz .LBB50_39
; %bb.45:                               ;   in Loop: Header=BB50_40 Depth=1
	v_mov_b32_e32 v5, s17
	v_add_co_u32_e32 v4, vcc, s16, v0
	v_addc_co_u32_e32 v5, vcc, v5, v1, vcc
	global_load_sbyte v4, v[4:5], off
	v_mov_b32_e32 v5, s19
	v_add_co_u32_e32 v2, vcc, s18, v2
	v_addc_co_u32_e32 v3, vcc, v5, v3, vcc
	global_load_sbyte v5, v[2:3], off
	v_lshlrev_b64 v[2:3], 2, v[6:7]
	v_mov_b32_e32 v6, s27
	v_add_co_u32_e32 v2, vcc, s26, v2
	v_addc_co_u32_e32 v3, vcc, v6, v3, vcc
	s_waitcnt vmcnt(1)
	v_mul_lo_u32 v4, s25, v4
	s_waitcnt vmcnt(0)
	v_mul_lo_u32 v4, v4, v5
	global_atomic_add v[2:3], v4, off
	s_branch .LBB50_39
.LBB50_46:
	s_endpgm
	.section	.rodata,"a",@progbits
	.p2align	6, 0x0
	.amdhsa_kernel _ZL33csrmvn_symm_large_adaptive_kernelIliaaiiEvbT_PKS0_N9rocsparse24const_host_device_scalarIT4_EES2_PKT0_PKT1_PKT2_S6_PT3_21rocsparse_index_base_b
		.amdhsa_group_segment_fixed_size 4096
		.amdhsa_private_segment_fixed_size 0
		.amdhsa_kernarg_size 88
		.amdhsa_user_sgpr_count 6
		.amdhsa_user_sgpr_private_segment_buffer 1
		.amdhsa_user_sgpr_dispatch_ptr 0
		.amdhsa_user_sgpr_queue_ptr 0
		.amdhsa_user_sgpr_kernarg_segment_ptr 1
		.amdhsa_user_sgpr_dispatch_id 0
		.amdhsa_user_sgpr_flat_scratch_init 0
		.amdhsa_user_sgpr_kernarg_preload_length 0
		.amdhsa_user_sgpr_kernarg_preload_offset 0
		.amdhsa_user_sgpr_private_segment_size 0
		.amdhsa_uses_dynamic_stack 0
		.amdhsa_system_sgpr_private_segment_wavefront_offset 0
		.amdhsa_system_sgpr_workgroup_id_x 1
		.amdhsa_system_sgpr_workgroup_id_y 0
		.amdhsa_system_sgpr_workgroup_id_z 0
		.amdhsa_system_sgpr_workgroup_info 0
		.amdhsa_system_vgpr_workitem_id 0
		.amdhsa_next_free_vgpr 32
		.amdhsa_next_free_sgpr 52
		.amdhsa_accum_offset 32
		.amdhsa_reserve_vcc 1
		.amdhsa_reserve_flat_scratch 0
		.amdhsa_float_round_mode_32 0
		.amdhsa_float_round_mode_16_64 0
		.amdhsa_float_denorm_mode_32 3
		.amdhsa_float_denorm_mode_16_64 3
		.amdhsa_dx10_clamp 1
		.amdhsa_ieee_mode 1
		.amdhsa_fp16_overflow 0
		.amdhsa_tg_split 0
		.amdhsa_exception_fp_ieee_invalid_op 0
		.amdhsa_exception_fp_denorm_src 0
		.amdhsa_exception_fp_ieee_div_zero 0
		.amdhsa_exception_fp_ieee_overflow 0
		.amdhsa_exception_fp_ieee_underflow 0
		.amdhsa_exception_fp_ieee_inexact 0
		.amdhsa_exception_int_div_zero 0
	.end_amdhsa_kernel
	.section	.text._ZL33csrmvn_symm_large_adaptive_kernelIliaaiiEvbT_PKS0_N9rocsparse24const_host_device_scalarIT4_EES2_PKT0_PKT1_PKT2_S6_PT3_21rocsparse_index_base_b,"axG",@progbits,_ZL33csrmvn_symm_large_adaptive_kernelIliaaiiEvbT_PKS0_N9rocsparse24const_host_device_scalarIT4_EES2_PKT0_PKT1_PKT2_S6_PT3_21rocsparse_index_base_b,comdat
.Lfunc_end50:
	.size	_ZL33csrmvn_symm_large_adaptive_kernelIliaaiiEvbT_PKS0_N9rocsparse24const_host_device_scalarIT4_EES2_PKT0_PKT1_PKT2_S6_PT3_21rocsparse_index_base_b, .Lfunc_end50-_ZL33csrmvn_symm_large_adaptive_kernelIliaaiiEvbT_PKS0_N9rocsparse24const_host_device_scalarIT4_EES2_PKT0_PKT1_PKT2_S6_PT3_21rocsparse_index_base_b
                                        ; -- End function
	.section	.AMDGPU.csdata,"",@progbits
; Kernel info:
; codeLenInByte = 2076
; NumSgprs: 56
; NumVgprs: 32
; NumAgprs: 0
; TotalNumVgprs: 32
; ScratchSize: 0
; MemoryBound: 0
; FloatMode: 240
; IeeeMode: 1
; LDSByteSize: 4096 bytes/workgroup (compile time only)
; SGPRBlocks: 6
; VGPRBlocks: 3
; NumSGPRsForWavesPerEU: 56
; NumVGPRsForWavesPerEU: 32
; AccumOffset: 32
; Occupancy: 8
; WaveLimiterHint : 1
; COMPUTE_PGM_RSRC2:SCRATCH_EN: 0
; COMPUTE_PGM_RSRC2:USER_SGPR: 6
; COMPUTE_PGM_RSRC2:TRAP_HANDLER: 0
; COMPUTE_PGM_RSRC2:TGID_X_EN: 1
; COMPUTE_PGM_RSRC2:TGID_Y_EN: 0
; COMPUTE_PGM_RSRC2:TGID_Z_EN: 0
; COMPUTE_PGM_RSRC2:TIDIG_COMP_CNT: 0
; COMPUTE_PGM_RSRC3_GFX90A:ACCUM_OFFSET: 7
; COMPUTE_PGM_RSRC3_GFX90A:TG_SPLIT: 0
	.section	.text._ZN9rocsparseL22csrmvn_adaptive_kernelIllaaiiEEvbT_PKS1_PjPKT0_NS_24const_host_device_scalarIT4_EES3_S7_PKT1_PKT2_SA_PT3_21rocsparse_index_base_b,"axG",@progbits,_ZN9rocsparseL22csrmvn_adaptive_kernelIllaaiiEEvbT_PKS1_PjPKT0_NS_24const_host_device_scalarIT4_EES3_S7_PKT1_PKT2_SA_PT3_21rocsparse_index_base_b,comdat
	.globl	_ZN9rocsparseL22csrmvn_adaptive_kernelIllaaiiEEvbT_PKS1_PjPKT0_NS_24const_host_device_scalarIT4_EES3_S7_PKT1_PKT2_SA_PT3_21rocsparse_index_base_b ; -- Begin function _ZN9rocsparseL22csrmvn_adaptive_kernelIllaaiiEEvbT_PKS1_PjPKT0_NS_24const_host_device_scalarIT4_EES3_S7_PKT1_PKT2_SA_PT3_21rocsparse_index_base_b
	.p2align	8
	.type	_ZN9rocsparseL22csrmvn_adaptive_kernelIllaaiiEEvbT_PKS1_PjPKT0_NS_24const_host_device_scalarIT4_EES3_S7_PKT1_PKT2_SA_PT3_21rocsparse_index_base_b,@function
_ZN9rocsparseL22csrmvn_adaptive_kernelIllaaiiEEvbT_PKS1_PjPKT0_NS_24const_host_device_scalarIT4_EES3_S7_PKT1_PKT2_SA_PT3_21rocsparse_index_base_b: ; @_ZN9rocsparseL22csrmvn_adaptive_kernelIllaaiiEEvbT_PKS1_PjPKT0_NS_24const_host_device_scalarIT4_EES3_S7_PKT1_PKT2_SA_PT3_21rocsparse_index_base_b
; %bb.0:
	s_load_dwordx2 s[44:45], s[4:5], 0x60
	s_load_dwordx2 s[8:9], s[4:5], 0x28
	s_mov_b64 s[10:11], -1
	s_waitcnt lgkmcnt(0)
	s_bitcmp1_b32 s45, 0
	s_cselect_b64 s[0:1], -1, 0
	s_xor_b64 s[2:3], s[0:1], -1
	s_and_b64 vcc, exec, s[2:3]
                                        ; implicit-def: $sgpr45
	s_cbranch_vccnz .LBB51_4
; %bb.1:
	s_load_dwordx2 s[0:1], s[4:5], 0x50
	s_andn2_b64 vcc, exec, s[10:11]
	s_cbranch_vccz .LBB51_5
.LBB51_2:
	s_and_b64 vcc, exec, s[2:3]
	s_cbranch_vccz .LBB51_6
.LBB51_3:
	s_waitcnt lgkmcnt(0)
	s_load_dword s33, s[0:1], 0x0
	s_cbranch_execz .LBB51_7
	s_branch .LBB51_8
.LBB51_4:
	s_load_dword s45, s[8:9], 0x0
	s_load_dwordx2 s[0:1], s[4:5], 0x50
	s_cbranch_execnz .LBB51_2
.LBB51_5:
	s_waitcnt lgkmcnt(0)
	s_mov_b32 s45, s8
	s_and_b64 vcc, exec, s[2:3]
	s_cbranch_vccnz .LBB51_3
.LBB51_6:
                                        ; implicit-def: $sgpr33
.LBB51_7:
	s_waitcnt lgkmcnt(0)
	s_mov_b32 s33, s0
.LBB51_8:
	s_waitcnt lgkmcnt(0)
	s_cmp_lg_u32 s45, 0
	s_cselect_b64 s[0:1], -1, 0
	s_cmp_lg_u32 s33, 1
	s_cselect_b64 s[2:3], -1, 0
	s_or_b64 s[0:1], s[0:1], s[2:3]
	s_andn2_b64 vcc, exec, s[0:1]
	s_cbranch_vccnz .LBB51_125
; %bb.9:
	s_load_dwordx2 s[0:1], s[4:5], 0x10
	s_load_dwordx2 s[2:3], s[4:5], 0x20
	s_ashr_i32 s7, s6, 31
	s_lshl_b64 s[8:9], s[6:7], 3
	s_waitcnt lgkmcnt(0)
	s_add_u32 s0, s0, s8
	s_addc_u32 s1, s1, s9
	s_load_dwordx4 s[36:39], s[0:1], 0x0
	s_load_dwordx2 s[22:23], s[4:5], 0x58
	s_load_dwordx8 s[24:31], s[4:5], 0x30
	s_waitcnt lgkmcnt(0)
	s_sub_u32 s0, s38, s36
	s_subb_u32 s1, s39, s37
	s_add_u32 s2, s2, s8
	s_addc_u32 s3, s3, s9
	s_lshl_b64 s[8:9], s[36:37], 3
	s_add_u32 s42, s24, s8
	s_addc_u32 s43, s25, s9
	s_load_dwordx2 s[34:35], s[2:3], 0x0
	s_load_dwordx2 s[40:41], s[42:43], 0x0
	v_cmp_lt_i64_e64 s[8:9], s[0:1], 2
	s_mov_b64 s[2:3], -1
	s_and_b64 vcc, exec, s[8:9]
	s_cbranch_vccz .LBB51_75
; %bb.10:
	s_cmp_lg_u64 s[0:1], 1
	s_cselect_b64 s[0:1], -1, 0
	s_waitcnt lgkmcnt(0)
	s_cmp_lg_u64 s[34:35], 0
	s_cselect_b64 s[2:3], -1, 0
	s_or_b64 s[2:3], s[0:1], s[2:3]
	s_mov_b64 s[0:1], -1
	s_and_b64 vcc, exec, s[2:3]
	s_cbranch_vccnz .LBB51_39
; %bb.11:
	v_pk_mov_b32 v[2:3], s[36:37], s[36:37] op_sel:[0,1]
	v_cmp_le_i64_e32 vcc, s[38:39], v[2:3]
	s_cbranch_vccnz .LBB51_38
; %bb.12:
	v_subrev_co_u32_e32 v1, vcc, s44, v0
	s_cmp_lg_u32 s33, 0
	v_subb_co_u32_e64 v10, s[0:1], 0, 0, vcc
	s_cselect_b64 s[20:21], -1, 0
	s_movk_i32 s0, 0x80
	s_add_u32 s57, s24, 8
	v_cndmask_b32_e64 v4, 0, 1, s[20:21]
	s_mov_b32 s56, 0
	v_lshlrev_b32_e32 v11, 2, v0
	v_cmp_gt_u32_e64 s[0:1], s0, v0
	v_cmp_gt_u32_e64 s[2:3], 64, v0
	;; [unrolled: 1-line block ×7, first 2 shown]
	v_cmp_eq_u32_e64 s[18:19], 0, v0
	s_addc_u32 s58, s25, 0
	v_mov_b32_e32 v12, 0
	v_pk_mov_b32 v[2:3], s[38:39], s[38:39] op_sel:[0,1]
	v_cmp_ne_u32_e64 s[20:21], 1, v4
	s_mov_b64 s[48:49], s[40:41]
	s_mov_b64 s[46:47], s[36:37]
	s_branch .LBB51_15
.LBB51_13:                              ;   in Loop: Header=BB51_15 Depth=1
	s_lshl_b64 s[52:53], s[46:47], 2
	s_add_u32 s52, s22, s52
	s_addc_u32 s53, s23, s53
	s_waitcnt lgkmcnt(0)
	global_store_dword v12, v4, s[52:53]
.LBB51_14:                              ;   in Loop: Header=BB51_15 Depth=1
	s_or_b64 exec, exec, s[50:51]
	s_add_u32 s46, s46, 1
	s_addc_u32 s47, s47, 0
	v_cmp_ge_i64_e32 vcc, s[46:47], v[2:3]
	s_cbranch_vccnz .LBB51_38
.LBB51_15:                              ; =>This Loop Header: Depth=1
                                        ;     Child Loop BB51_17 Depth 2
	s_mov_b64 s[52:53], s[48:49]
	s_lshl_b64 s[48:49], s[46:47], 3
	s_add_u32 s48, s57, s48
	s_addc_u32 s49, s58, s49
	s_load_dwordx2 s[48:49], s[48:49], 0x0
	v_mov_b32_e32 v5, s53
	v_add_co_u32_e32 v4, vcc, s52, v1
	v_addc_co_u32_e32 v5, vcc, v5, v10, vcc
	s_waitcnt lgkmcnt(0)
	s_sub_u32 s50, s48, s44
	s_subb_u32 s51, s49, 0
	v_cmp_gt_i64_e32 vcc, s[50:51], v[4:5]
	v_mov_b32_e32 v6, 0
	s_and_saveexec_b64 s[52:53], vcc
	s_cbranch_execz .LBB51_19
; %bb.16:                               ;   in Loop: Header=BB51_15 Depth=1
	v_lshlrev_b64 v[6:7], 3, v[4:5]
	v_mov_b32_e32 v9, s27
	v_add_co_u32_e32 v8, vcc, s26, v6
	v_addc_co_u32_e32 v9, vcc, v9, v7, vcc
	s_mov_b64 s[54:55], 0
	v_mov_b32_e32 v6, 0
.LBB51_17:                              ;   Parent Loop BB51_15 Depth=1
                                        ; =>  This Inner Loop Header: Depth=2
	global_load_dwordx2 v[14:15], v[8:9], off
	v_mov_b32_e32 v7, s29
	v_add_co_u32_e32 v16, vcc, s28, v4
	v_addc_co_u32_e32 v17, vcc, v7, v5, vcc
	v_mov_b32_e32 v13, s56
	v_mov_b32_e32 v18, s31
	global_load_sbyte v7, v[16:17], off
	s_waitcnt vmcnt(1)
	v_subrev_co_u32_e32 v14, vcc, s44, v14
	v_subb_co_u32_e32 v13, vcc, v15, v13, vcc
	v_add_co_u32_e32 v14, vcc, s30, v14
	v_addc_co_u32_e32 v15, vcc, v18, v13, vcc
	global_load_sbyte v13, v[14:15], off
	v_add_co_u32_e32 v4, vcc, 0x100, v4
	v_addc_co_u32_e32 v5, vcc, 0, v5, vcc
	v_add_co_u32_e32 v8, vcc, 0x800, v8
	v_addc_co_u32_e32 v9, vcc, 0, v9, vcc
	v_cmp_le_i64_e32 vcc, s[50:51], v[4:5]
	s_waitcnt vmcnt(1)
	v_mul_lo_u32 v7, s45, v7
	s_or_b64 s[54:55], vcc, s[54:55]
	s_waitcnt vmcnt(0)
	v_mad_u64_u32 v[6:7], s[60:61], v7, v13, v[6:7]
	s_andn2_b64 exec, exec, s[54:55]
	s_cbranch_execnz .LBB51_17
; %bb.18:                               ;   in Loop: Header=BB51_15 Depth=1
	s_or_b64 exec, exec, s[54:55]
.LBB51_19:                              ;   in Loop: Header=BB51_15 Depth=1
	s_or_b64 exec, exec, s[52:53]
	ds_write_b32 v11, v6
	s_waitcnt lgkmcnt(0)
	s_barrier
	s_and_saveexec_b64 s[50:51], s[0:1]
	s_cbranch_execz .LBB51_21
; %bb.20:                               ;   in Loop: Header=BB51_15 Depth=1
	ds_read2st64_b32 v[4:5], v11 offset1:2
	s_waitcnt lgkmcnt(0)
	v_add_u32_e32 v4, v5, v4
	ds_write_b32 v11, v4
.LBB51_21:                              ;   in Loop: Header=BB51_15 Depth=1
	s_or_b64 exec, exec, s[50:51]
	s_waitcnt lgkmcnt(0)
	s_barrier
	s_and_saveexec_b64 s[50:51], s[2:3]
	s_cbranch_execz .LBB51_23
; %bb.22:                               ;   in Loop: Header=BB51_15 Depth=1
	ds_read2st64_b32 v[4:5], v11 offset1:1
	s_waitcnt lgkmcnt(0)
	v_add_u32_e32 v4, v5, v4
	ds_write_b32 v11, v4
.LBB51_23:                              ;   in Loop: Header=BB51_15 Depth=1
	s_or_b64 exec, exec, s[50:51]
	s_waitcnt lgkmcnt(0)
	s_barrier
	s_and_saveexec_b64 s[50:51], s[8:9]
	s_cbranch_execz .LBB51_25
; %bb.24:                               ;   in Loop: Header=BB51_15 Depth=1
	ds_read2_b32 v[4:5], v11 offset1:32
	s_waitcnt lgkmcnt(0)
	v_add_u32_e32 v4, v5, v4
	ds_write_b32 v11, v4
.LBB51_25:                              ;   in Loop: Header=BB51_15 Depth=1
	s_or_b64 exec, exec, s[50:51]
	s_waitcnt lgkmcnt(0)
	s_barrier
	s_and_saveexec_b64 s[50:51], s[10:11]
	s_cbranch_execz .LBB51_27
; %bb.26:                               ;   in Loop: Header=BB51_15 Depth=1
	ds_read2_b32 v[4:5], v11 offset1:16
	s_waitcnt lgkmcnt(0)
	v_add_u32_e32 v4, v5, v4
	ds_write_b32 v11, v4
.LBB51_27:                              ;   in Loop: Header=BB51_15 Depth=1
	;; [unrolled: 11-line block ×5, first 2 shown]
	s_or_b64 exec, exec, s[50:51]
	s_waitcnt lgkmcnt(0)
	s_barrier
	s_and_saveexec_b64 s[50:51], s[18:19]
	s_cbranch_execz .LBB51_35
; %bb.34:                               ;   in Loop: Header=BB51_15 Depth=1
	ds_read_b64 v[4:5], v12
	s_waitcnt lgkmcnt(0)
	v_add_u32_e32 v4, v5, v4
	ds_write_b32 v12, v4
.LBB51_35:                              ;   in Loop: Header=BB51_15 Depth=1
	s_or_b64 exec, exec, s[50:51]
	s_waitcnt lgkmcnt(0)
	s_barrier
	s_and_saveexec_b64 s[50:51], s[18:19]
	s_cbranch_execz .LBB51_14
; %bb.36:                               ;   in Loop: Header=BB51_15 Depth=1
	ds_read_b32 v4, v12
	s_and_b64 vcc, exec, s[20:21]
	s_cbranch_vccnz .LBB51_13
; %bb.37:                               ;   in Loop: Header=BB51_15 Depth=1
	s_lshl_b64 s[52:53], s[46:47], 2
	s_add_u32 s52, s22, s52
	s_addc_u32 s53, s23, s53
	global_load_dword v5, v12, s[52:53]
	s_waitcnt vmcnt(0)
	v_mul_lo_u32 v5, v5, s33
	s_waitcnt lgkmcnt(0)
	v_add_u32_e32 v4, v5, v4
	s_branch .LBB51_13
.LBB51_38:
	s_mov_b64 s[0:1], 0
.LBB51_39:
	s_andn2_b64 vcc, exec, s[0:1]
	s_cbranch_vccnz .LBB51_74
; %bb.40:
	s_load_dwordx2 s[8:9], s[4:5], 0x18
	s_sub_u32 s10, s6, s34
	s_subb_u32 s11, s7, s35
	s_lshl_b64 s[0:1], s[6:7], 2
	s_mov_b32 s19, 0
	s_waitcnt lgkmcnt(0)
	s_add_u32 s2, s8, s0
	s_addc_u32 s3, s9, s1
	s_load_dword s18, s[2:3], 0x0
	s_cmp_eq_u64 s[34:35], 0
	s_cselect_b64 s[12:13], -1, 0
	s_cmp_lg_u64 s[34:35], 0
	v_cmp_eq_u32_e64 s[0:1], 0, v0
	s_cselect_b64 s[6:7], -1, 0
	s_and_b64 s[14:15], s[0:1], s[12:13]
	v_mov_b32_e32 v2, 0
	s_and_saveexec_b64 s[12:13], s[14:15]
	s_cbranch_execz .LBB51_44
; %bb.41:
	s_lshl_b64 s[16:17], s[36:37], 2
	s_add_u32 s16, s22, s16
	s_addc_u32 s17, s23, s17
	s_load_dword s20, s[16:17], 0x0
	s_mov_b64 s[14:15], exec
	v_mbcnt_lo_u32_b32 v1, s14, 0
	s_add_i32 s16, s33, -1
	v_mbcnt_hi_u32_b32 v1, s15, v1
	s_waitcnt lgkmcnt(0)
	s_mul_i32 s20, s20, s16
	v_cmp_eq_u32_e32 vcc, 0, v1
	s_waitcnt vmcnt(0) expcnt(0) lgkmcnt(0)
	s_and_saveexec_b64 s[16:17], vcc
	s_cbranch_execz .LBB51_43
; %bb.42:
	s_lshl_b64 s[46:47], s[10:11], 2
	s_add_u32 s46, s8, s46
	s_addc_u32 s47, s9, s47
	s_bcnt1_i32_b64 s14, s[14:15]
	s_and_b32 s14, s14, 1
	v_mov_b32_e32 v1, 0
	v_mov_b32_e32 v2, s14
	global_atomic_xor v1, v2, s[46:47]
.LBB51_43:
	s_or_b64 exec, exec, s[16:17]
	v_mov_b32_e32 v2, s20
.LBB51_44:
	s_or_b64 exec, exec, s[12:13]
	s_mul_i32 s12, s35, 0xc00
	s_mul_hi_u32 s13, s34, 0xc00
	s_add_i32 s14, s13, s12
	s_load_dwordx2 s[12:13], s[42:43], 0x8
	s_sub_u32 s16, s40, s44
	s_mul_i32 s15, s34, 0xc00
	s_subb_u32 s17, s41, 0
	s_add_u32 s16, s16, s15
	s_addc_u32 s17, s17, s14
	s_waitcnt lgkmcnt(0)
	s_sub_u32 s14, s12, s44
	v_mov_b32_e32 v1, s17
	v_add_co_u32_e32 v4, vcc, s16, v0
	s_subb_u32 s15, s13, 0
	v_addc_co_u32_e32 v5, vcc, 0, v1, vcc
	v_cmp_gt_i64_e32 vcc, s[14:15], v[4:5]
	s_and_saveexec_b64 s[12:13], vcc
	s_cbranch_execz .LBB51_48
; %bb.45:
	s_add_u32 s16, s16, 0xc00
	s_addc_u32 s17, s17, 0
	v_pk_mov_b32 v[6:7], s[14:15], s[14:15] op_sel:[0,1]
	v_cmp_lt_i64_e32 vcc, s[16:17], v[6:7]
	v_lshlrev_b64 v[6:7], 3, v[4:5]
	s_and_b64 s[20:21], vcc, exec
	v_mov_b32_e32 v1, s27
	v_add_co_u32_e32 v6, vcc, s26, v6
	s_cselect_b32 s15, s17, s15
	s_cselect_b32 s14, s16, s14
	v_addc_co_u32_e32 v7, vcc, v1, v7, vcc
	s_mov_b64 s[16:17], 0
	v_mov_b32_e32 v1, s29
	v_mov_b32_e32 v8, s19
	;; [unrolled: 1-line block ×3, first 2 shown]
.LBB51_46:                              ; =>This Inner Loop Header: Depth=1
	global_load_dwordx2 v[10:11], v[6:7], off
	v_add_co_u32_e32 v12, vcc, s28, v4
	v_addc_co_u32_e32 v13, vcc, v1, v5, vcc
	global_load_sbyte v3, v[12:13], off
	s_waitcnt vmcnt(1)
	v_subrev_co_u32_e32 v10, vcc, s44, v10
	v_subb_co_u32_e32 v11, vcc, v11, v8, vcc
	v_add_co_u32_e32 v10, vcc, s30, v10
	v_addc_co_u32_e32 v11, vcc, v9, v11, vcc
	global_load_sbyte v10, v[10:11], off
	v_add_co_u32_e32 v4, vcc, 0x100, v4
	v_addc_co_u32_e32 v5, vcc, 0, v5, vcc
	v_add_co_u32_e32 v6, vcc, 0x800, v6
	v_addc_co_u32_e32 v7, vcc, 0, v7, vcc
	v_cmp_le_i64_e32 vcc, s[14:15], v[4:5]
	s_waitcnt vmcnt(1)
	v_mul_lo_u32 v3, s45, v3
	s_or_b64 s[16:17], vcc, s[16:17]
	s_waitcnt vmcnt(0)
	v_mad_u64_u32 v[2:3], s[20:21], v3, v10, v[2:3]
	s_andn2_b64 exec, exec, s[16:17]
	s_cbranch_execnz .LBB51_46
; %bb.47:
	s_or_b64 exec, exec, s[16:17]
.LBB51_48:
	s_or_b64 exec, exec, s[12:13]
	s_movk_i32 s12, 0x80
	v_lshlrev_b32_e32 v1, 2, v0
	v_cmp_gt_u32_e32 vcc, s12, v0
	ds_write_b32 v1, v2
	s_waitcnt lgkmcnt(0)
	s_barrier
	s_and_saveexec_b64 s[12:13], vcc
	s_cbranch_execz .LBB51_50
; %bb.49:
	ds_read2st64_b32 v[2:3], v1 offset1:2
	s_waitcnt lgkmcnt(0)
	v_add_u32_e32 v2, v3, v2
	ds_write_b32 v1, v2
.LBB51_50:
	s_or_b64 exec, exec, s[12:13]
	v_cmp_gt_u32_e32 vcc, 64, v0
	s_waitcnt lgkmcnt(0)
	s_barrier
	s_and_saveexec_b64 s[12:13], vcc
	s_cbranch_execz .LBB51_52
; %bb.51:
	ds_read2st64_b32 v[2:3], v1 offset1:1
	s_waitcnt lgkmcnt(0)
	v_add_u32_e32 v2, v3, v2
	ds_write_b32 v1, v2
.LBB51_52:
	s_or_b64 exec, exec, s[12:13]
	v_cmp_gt_u32_e32 vcc, 32, v0
	s_waitcnt lgkmcnt(0)
	s_barrier
	s_and_saveexec_b64 s[12:13], vcc
	s_cbranch_execz .LBB51_54
; %bb.53:
	ds_read2_b32 v[2:3], v1 offset1:32
	s_waitcnt lgkmcnt(0)
	v_add_u32_e32 v2, v3, v2
	ds_write_b32 v1, v2
.LBB51_54:
	s_or_b64 exec, exec, s[12:13]
	v_cmp_gt_u32_e32 vcc, 16, v0
	s_waitcnt lgkmcnt(0)
	s_barrier
	s_and_saveexec_b64 s[12:13], vcc
	s_cbranch_execz .LBB51_56
; %bb.55:
	ds_read2_b32 v[2:3], v1 offset1:16
	s_waitcnt lgkmcnt(0)
	v_add_u32_e32 v2, v3, v2
	ds_write_b32 v1, v2
.LBB51_56:
	;; [unrolled: 12-line block ×5, first 2 shown]
	s_or_b64 exec, exec, s[12:13]
	s_waitcnt lgkmcnt(0)
	s_barrier
	s_and_saveexec_b64 s[12:13], s[0:1]
	s_cbranch_execz .LBB51_64
; %bb.63:
	v_mov_b32_e32 v1, 0
	ds_read_b64 v[2:3], v1
	s_waitcnt lgkmcnt(0)
	v_add_u32_e32 v2, v3, v2
	ds_write_b32 v1, v2
.LBB51_64:
	s_or_b64 exec, exec, s[12:13]
	s_waitcnt lgkmcnt(0)
	s_barrier
	s_and_saveexec_b64 s[12:13], s[0:1]
	s_cbranch_execz .LBB51_73
; %bb.65:
	s_andn2_b64 vcc, exec, s[6:7]
	s_cbranch_vccnz .LBB51_71
; %bb.66:
	s_lshl_b64 s[0:1], s[10:11], 2
	s_add_u32 s0, s8, s0
	s_addc_u32 s1, s9, s1
	v_mov_b32_e32 v1, 0
	s_branch .LBB51_68
.LBB51_67:                              ;   in Loop: Header=BB51_68 Depth=1
	s_or_b64 exec, exec, s[6:7]
	s_waitcnt vmcnt(0)
	v_readfirstlane_b32 s6, v2
	s_cmp_eq_u32 s6, s18
	s_cbranch_scc0 .LBB51_70
.LBB51_68:                              ; =>This Inner Loop Header: Depth=1
	v_mbcnt_lo_u32_b32 v2, exec_lo, 0
	v_mbcnt_hi_u32_b32 v2, exec_hi, v2
	v_cmp_eq_u32_e32 vcc, 0, v2
                                        ; implicit-def: $vgpr2
	s_and_saveexec_b64 s[6:7], vcc
	s_cbranch_execz .LBB51_67
; %bb.69:                               ;   in Loop: Header=BB51_68 Depth=1
	global_load_dword v2, v1, s[0:1] glc
	s_branch .LBB51_67
.LBB51_70:
	v_mov_b32_e32 v1, 0
	global_load_dword v2, v1, s[2:3]
	s_waitcnt vmcnt(0)
	v_xor_b32_e32 v2, 1, v2
	global_store_dword v1, v2, s[2:3]
.LBB51_71:
	s_mov_b64 s[0:1], exec
	v_mbcnt_lo_u32_b32 v1, s0, 0
	v_mbcnt_hi_u32_b32 v1, s1, v1
	v_cmp_eq_u32_e32 vcc, 0, v1
	s_and_b64 s[2:3], exec, vcc
	s_mov_b64 exec, s[2:3]
	s_cbranch_execz .LBB51_73
; %bb.72:
	v_mov_b32_e32 v1, 0
	ds_read_b32 v2, v1
	s_lshl_b64 s[2:3], s[36:37], 2
	s_add_u32 s2, s22, s2
	s_addc_u32 s3, s23, s3
	s_bcnt1_i32_b64 s0, s[0:1]
	s_waitcnt lgkmcnt(0)
	v_mul_lo_u32 v2, v2, s0
	global_atomic_add v1, v2, s[2:3]
.LBB51_73:
	s_or_b64 exec, exec, s[12:13]
.LBB51_74:
	s_mov_b64 s[2:3], 0
.LBB51_75:
	s_andn2_b64 vcc, exec, s[2:3]
	s_cbranch_vccnz .LBB51_125
; %bb.76:
	s_load_dwordx2 s[0:1], s[4:5], 0x8
	v_subrev_co_u32_e32 v1, vcc, s44, v0
	v_subb_co_u32_e64 v3, s[2:3], 0, 0, vcc
	s_waitcnt lgkmcnt(0)
	v_mov_b32_e32 v4, s41
	v_add_co_u32_e32 v2, vcc, s40, v1
	v_addc_co_u32_e32 v3, vcc, v4, v3, vcc
	v_add_co_u32_e32 v4, vcc, 0x300, v2
	v_addc_co_u32_e32 v5, vcc, 0, v3, vcc
	s_mov_b32 s8, 0
	v_cmp_le_i64_e32 vcc, s[0:1], v[4:5]
	s_and_saveexec_b64 s[0:1], vcc
	s_xor_b64 s[0:1], exec, s[0:1]
	s_cbranch_execz .LBB51_81
; %bb.77:
	s_lshl_b64 s[2:3], s[38:39], 3
	s_add_u32 s2, s24, s2
	s_addc_u32 s3, s25, s3
	s_load_dwordx2 s[2:3], s[2:3], 0x0
	s_waitcnt lgkmcnt(0)
	s_sub_u32 s2, s2, s44
	s_subb_u32 s3, s3, 0
	v_cmp_gt_i64_e32 vcc, s[2:3], v[2:3]
	s_and_saveexec_b64 s[4:5], vcc
	s_cbranch_execz .LBB51_80
; %bb.78:
	v_lshlrev_b64 v[4:5], 3, v[2:3]
	v_mov_b32_e32 v6, s27
	v_add_co_u32_e32 v4, vcc, s26, v4
	v_lshlrev_b32_e32 v1, 2, v0
	v_addc_co_u32_e32 v5, vcc, v6, v5, vcc
	s_mov_b64 s[6:7], 0
	v_mov_b32_e32 v6, s29
	v_mov_b32_e32 v7, s8
	;; [unrolled: 1-line block ×3, first 2 shown]
.LBB51_79:                              ; =>This Inner Loop Header: Depth=1
	global_load_dwordx2 v[10:11], v[4:5], off
	v_add_co_u32_e32 v12, vcc, s28, v2
	v_addc_co_u32_e32 v13, vcc, v6, v3, vcc
	global_load_sbyte v9, v[12:13], off
	s_waitcnt vmcnt(1)
	v_subrev_co_u32_e32 v10, vcc, s44, v10
	v_subb_co_u32_e32 v11, vcc, v11, v7, vcc
	v_add_co_u32_e32 v10, vcc, s30, v10
	v_addc_co_u32_e32 v11, vcc, v8, v11, vcc
	global_load_sbyte v10, v[10:11], off
	v_add_co_u32_e32 v2, vcc, 0x100, v2
	v_addc_co_u32_e32 v3, vcc, 0, v3, vcc
	v_add_co_u32_e32 v4, vcc, 0x800, v4
	v_addc_co_u32_e32 v5, vcc, 0, v5, vcc
	s_waitcnt vmcnt(1)
	v_mul_lo_u32 v9, s45, v9
	v_cmp_le_i64_e32 vcc, s[2:3], v[2:3]
	s_or_b64 s[6:7], vcc, s[6:7]
	s_waitcnt vmcnt(0)
	v_mul_lo_u32 v9, v9, v10
	ds_write_b32 v1, v9
	v_add_u32_e32 v1, 0x400, v1
	s_andn2_b64 exec, exec, s[6:7]
	s_cbranch_execnz .LBB51_79
.LBB51_80:
	s_or_b64 exec, exec, s[4:5]
                                        ; implicit-def: $vgpr2
.LBB51_81:
	s_or_saveexec_b64 s[0:1], s[0:1]
	v_lshlrev_b32_e32 v16, 2, v0
	s_xor_b64 exec, exec, s[0:1]
	s_cbranch_execz .LBB51_83
; %bb.82:
	v_lshlrev_b64 v[4:5], 3, v[2:3]
	v_mov_b32_e32 v1, s27
	v_add_co_u32_e32 v4, vcc, s26, v4
	v_addc_co_u32_e32 v5, vcc, v1, v5, vcc
	global_load_dwordx2 v[6:7], v[4:5], off
	global_load_dwordx2 v[8:9], v[4:5], off offset:2048
	s_movk_i32 s2, 0x1000
	v_add_co_u32_e32 v4, vcc, s2, v4
	v_addc_co_u32_e32 v5, vcc, 0, v5, vcc
	global_load_dwordx2 v[10:11], v[4:5], off
	global_load_dwordx2 v[12:13], v[4:5], off offset:2048
	v_mov_b32_e32 v1, s29
	v_add_co_u32_e32 v2, vcc, s28, v2
	v_addc_co_u32_e32 v3, vcc, v1, v3, vcc
	v_mov_b32_e32 v14, s8
	global_load_sbyte v1, v[2:3], off
	global_load_sbyte v17, v[2:3], off offset:256
	global_load_sbyte v18, v[2:3], off offset:512
	;; [unrolled: 1-line block ×3, first 2 shown]
	v_mov_b32_e32 v15, s31
	s_waitcnt vmcnt(7)
	v_subrev_co_u32_e32 v2, vcc, s44, v6
	v_subb_co_u32_e32 v3, vcc, v7, v14, vcc
	s_waitcnt vmcnt(6)
	v_subrev_co_u32_e32 v4, vcc, s44, v8
	v_subb_co_u32_e32 v5, vcc, v9, v14, vcc
	v_add_co_u32_e32 v2, vcc, s30, v2
	v_addc_co_u32_e32 v3, vcc, v15, v3, vcc
	v_add_co_u32_e32 v4, vcc, s30, v4
	v_addc_co_u32_e32 v5, vcc, v15, v5, vcc
	s_waitcnt vmcnt(5)
	v_subrev_co_u32_e32 v6, vcc, s44, v10
	v_subb_co_u32_e32 v7, vcc, v11, v14, vcc
	s_waitcnt vmcnt(4)
	v_subrev_co_u32_e32 v8, vcc, s44, v12
	v_subb_co_u32_e32 v9, vcc, v13, v14, vcc
	global_load_sbyte v10, v[2:3], off
	global_load_sbyte v11, v[4:5], off
	v_add_co_u32_e32 v2, vcc, s30, v6
	v_addc_co_u32_e32 v3, vcc, v15, v7, vcc
	v_add_co_u32_e32 v4, vcc, s30, v8
	v_addc_co_u32_e32 v5, vcc, v15, v9, vcc
	global_load_sbyte v6, v[2:3], off
	global_load_sbyte v7, v[4:5], off
	s_waitcnt vmcnt(7)
	v_mul_lo_u32 v1, s45, v1
	s_waitcnt vmcnt(6)
	v_mul_lo_u32 v2, s45, v17
	;; [unrolled: 2-line block ×6, first 2 shown]
	ds_write2st64_b32 v16, v1, v2 offset1:4
	s_waitcnt vmcnt(1)
	v_mul_lo_u32 v1, v3, v6
	s_waitcnt vmcnt(0)
	v_mul_lo_u32 v2, v4, v7
	ds_write2st64_b32 v16, v1, v2 offset0:8 offset1:12
.LBB51_83:
	s_or_b64 exec, exec, s[0:1]
	v_cmp_lt_i64_e64 s[2:3], s[34:35], 2
	s_mov_b64 s[0:1], -1
	s_and_b64 vcc, exec, s[2:3]
	s_waitcnt lgkmcnt(0)
	s_barrier
	s_cbranch_vccz .LBB51_100
; %bb.84:
	v_mov_b32_e32 v1, s37
	v_add_co_u32_e32 v6, vcc, s36, v0
	v_addc_co_u32_e32 v7, vcc, 0, v1, vcc
	v_cmp_gt_i64_e32 vcc, s[38:39], v[6:7]
	s_and_saveexec_b64 s[0:1], vcc
	s_cbranch_execz .LBB51_99
; %bb.85:
	s_cmp_lg_u32 s33, 0
	s_cselect_b64 s[2:3], -1, 0
	s_lshl_b32 s4, s40, 2
	s_sub_i32 s12, 0, s4
	s_mov_b64 s[4:5], 0
	v_mov_b32_e32 v1, s25
	s_branch .LBB51_87
.LBB51_86:                              ;   in Loop: Header=BB51_87 Depth=1
	v_mov_b32_e32 v4, s23
	v_add_co_u32_e32 v2, vcc, s22, v2
	v_addc_co_u32_e32 v3, vcc, v4, v3, vcc
	v_add_co_u32_e32 v6, vcc, 0x100, v6
	v_addc_co_u32_e32 v7, vcc, 0, v7, vcc
	v_cmp_le_i64_e32 vcc, s[38:39], v[6:7]
	s_or_b64 s[4:5], vcc, s[4:5]
	global_store_dword v[2:3], v10, off
	s_andn2_b64 exec, exec, s[4:5]
	s_cbranch_execz .LBB51_99
.LBB51_87:                              ; =>This Loop Header: Depth=1
                                        ;     Child Loop BB51_90 Depth 2
                                        ;     Child Loop BB51_94 Depth 2
	v_lshlrev_b64 v[2:3], 3, v[6:7]
	v_add_co_u32_e32 v2, vcc, s24, v2
	v_addc_co_u32_e32 v3, vcc, v1, v3, vcc
	global_load_dwordx4 v[2:5], v[2:3], off
	v_mov_b32_e32 v10, 0
	s_waitcnt vmcnt(0)
	v_cmp_lt_i64_e32 vcc, v[2:3], v[4:5]
	s_and_saveexec_b64 s[6:7], vcc
	s_cbranch_execz .LBB51_97
; %bb.88:                               ;   in Loop: Header=BB51_87 Depth=1
	v_mov_b32_e32 v9, s41
	v_subrev_co_u32_e32 v4, vcc, s40, v4
	v_subb_co_u32_e32 v5, vcc, v5, v9, vcc
	v_subrev_co_u32_e32 v8, vcc, s40, v2
	v_subb_co_u32_e32 v9, vcc, v3, v9, vcc
	v_add_co_u32_e32 v10, vcc, 1, v8
	v_addc_co_u32_e32 v11, vcc, 0, v9, vcc
	v_cmp_gt_i64_e32 vcc, v[10:11], v[4:5]
	v_cndmask_b32_e32 v10, v4, v10, vcc
	v_cndmask_b32_e32 v11, v5, v11, vcc
	v_mov_b32_e32 v12, s41
	v_add_co_u32_e32 v10, vcc, s40, v10
	v_addc_co_u32_e32 v11, vcc, v12, v11, vcc
	v_sub_co_u32_e32 v12, vcc, v10, v2
	v_subb_co_u32_e32 v13, vcc, v11, v3, vcc
	v_cmp_lt_u64_e32 vcc, 1, v[12:13]
	s_mov_b64 s[10:11], -1
	v_mov_b32_e32 v10, 0
	s_and_saveexec_b64 s[8:9], vcc
	s_cbranch_execz .LBB51_92
; %bb.89:                               ;   in Loop: Header=BB51_87 Depth=1
	v_and_b32_e32 v14, -2, v12
	v_mov_b32_e32 v15, v13
	v_lshl_add_u32 v11, v2, 2, s12
	s_mov_b64 s[10:11], 0
	v_mov_b32_e32 v10, 0
	v_pk_mov_b32 v[2:3], v[14:15], v[14:15] op_sel:[0,1]
	v_mov_b32_e32 v17, 0
.LBB51_90:                              ;   Parent Loop BB51_87 Depth=1
                                        ; =>  This Inner Loop Header: Depth=2
	ds_read2_b32 v[18:19], v11 offset1:1
	v_add_co_u32_e32 v2, vcc, -2, v2
	v_addc_co_u32_e32 v3, vcc, -1, v3, vcc
	v_cmp_eq_u64_e32 vcc, 0, v[2:3]
	v_add_u32_e32 v11, 8, v11
	s_or_b64 s[10:11], vcc, s[10:11]
	s_waitcnt lgkmcnt(0)
	v_add_u32_e32 v17, v19, v17
	v_add_u32_e32 v10, v18, v10
	s_andn2_b64 exec, exec, s[10:11]
	s_cbranch_execnz .LBB51_90
; %bb.91:                               ;   in Loop: Header=BB51_87 Depth=1
	s_or_b64 exec, exec, s[10:11]
	v_add_co_u32_e32 v8, vcc, v8, v14
	v_addc_co_u32_e32 v9, vcc, v9, v15, vcc
	v_cmp_ne_u64_e32 vcc, v[12:13], v[14:15]
	v_add_u32_e32 v10, v10, v17
	s_orn2_b64 s[10:11], vcc, exec
.LBB51_92:                              ;   in Loop: Header=BB51_87 Depth=1
	s_or_b64 exec, exec, s[8:9]
	s_and_saveexec_b64 s[8:9], s[10:11]
	s_cbranch_execz .LBB51_96
; %bb.93:                               ;   in Loop: Header=BB51_87 Depth=1
	v_lshlrev_b32_e32 v2, 2, v8
	s_mov_b64 s[10:11], 0
.LBB51_94:                              ;   Parent Loop BB51_87 Depth=1
                                        ; =>  This Inner Loop Header: Depth=2
	ds_read_b32 v3, v2
	v_add_co_u32_e32 v8, vcc, 1, v8
	v_addc_co_u32_e32 v9, vcc, 0, v9, vcc
	v_cmp_ge_i64_e32 vcc, v[8:9], v[4:5]
	v_add_u32_e32 v2, 4, v2
	s_or_b64 s[10:11], vcc, s[10:11]
	s_waitcnt lgkmcnt(0)
	v_add_u32_e32 v10, v3, v10
	s_andn2_b64 exec, exec, s[10:11]
	s_cbranch_execnz .LBB51_94
; %bb.95:                               ;   in Loop: Header=BB51_87 Depth=1
	s_or_b64 exec, exec, s[10:11]
.LBB51_96:                              ;   in Loop: Header=BB51_87 Depth=1
	s_or_b64 exec, exec, s[8:9]
.LBB51_97:                              ;   in Loop: Header=BB51_87 Depth=1
	s_or_b64 exec, exec, s[6:7]
	s_and_b64 vcc, exec, s[2:3]
	v_lshlrev_b64 v[2:3], 2, v[6:7]
	s_cbranch_vccz .LBB51_86
; %bb.98:                               ;   in Loop: Header=BB51_87 Depth=1
	v_mov_b32_e32 v5, s23
	v_add_co_u32_e32 v4, vcc, s22, v2
	v_addc_co_u32_e32 v5, vcc, v5, v3, vcc
	global_load_dword v4, v[4:5], off
	s_waitcnt vmcnt(0)
	v_mad_u64_u32 v[10:11], s[6:7], v4, s33, v[10:11]
	s_branch .LBB51_86
.LBB51_99:
	s_or_b64 exec, exec, s[0:1]
	s_mov_b64 s[0:1], 0
.LBB51_100:
	s_andn2_b64 vcc, exec, s[0:1]
	s_cbranch_vccnz .LBB51_125
; %bb.101:
	s_flbit_i32_b32 s0, s34
	s_min_u32 s0, s0, 32
	s_sub_i32 s0, 31, s0
	v_lshrrev_b32_e32 v4, s0, v0
	v_mov_b32_e32 v1, s37
	v_add_co_u32_e32 v2, vcc, s36, v4
	v_addc_co_u32_e32 v3, vcc, 0, v1, vcc
	s_add_i32 s0, s34, -1
	v_mov_b32_e32 v8, 0
	v_and_b32_e64 v1, s0, 0
	v_and_b32_e32 v0, s0, v0
	v_cmp_le_i64_e64 s[0:1], s[38:39], v[2:3]
	v_cmp_gt_i64_e32 vcc, s[38:39], v[2:3]
	s_and_saveexec_b64 s[2:3], vcc
	s_cbranch_execz .LBB51_107
; %bb.102:
	v_lshlrev_b32_e32 v4, 3, v4
	global_load_dwordx4 v[6:9], v4, s[42:43]
	v_mov_b32_e32 v5, s41
	v_subrev_co_u32_e32 v10, vcc, s40, v0
	v_subb_co_u32_e32 v11, vcc, v1, v5, vcc
	s_waitcnt vmcnt(0)
	v_subrev_co_u32_e32 v4, vcc, s40, v8
	v_subb_co_u32_e32 v5, vcc, v9, v5, vcc
	v_add_co_u32_e32 v6, vcc, v6, v10
	v_addc_co_u32_e32 v7, vcc, v7, v11, vcc
	v_cmp_lt_i64_e32 vcc, v[6:7], v[4:5]
	v_mov_b32_e32 v8, 0
	s_and_saveexec_b64 s[4:5], vcc
	s_cbranch_execz .LBB51_106
; %bb.103:
	v_lshlrev_b32_e32 v9, 2, v6
	s_lshl_b32 s8, s34, 2
	s_mov_b64 s[6:7], 0
	v_mov_b32_e32 v8, 0
	v_mov_b32_e32 v10, s35
.LBB51_104:                             ; =>This Inner Loop Header: Depth=1
	ds_read_b32 v11, v9
	v_add_co_u32_e32 v6, vcc, s34, v6
	v_addc_co_u32_e32 v7, vcc, v7, v10, vcc
	v_cmp_ge_i64_e32 vcc, v[6:7], v[4:5]
	v_add_u32_e32 v9, s8, v9
	s_or_b64 s[6:7], vcc, s[6:7]
	s_waitcnt lgkmcnt(0)
	v_add_u32_e32 v8, v11, v8
	s_andn2_b64 exec, exec, s[6:7]
	s_cbranch_execnz .LBB51_104
; %bb.105:
	s_or_b64 exec, exec, s[6:7]
.LBB51_106:
	s_or_b64 exec, exec, s[4:5]
.LBB51_107:
	s_or_b64 exec, exec, s[2:3]
	v_mov_b32_e32 v4, 0x81
	v_mov_b32_e32 v5, 0
	v_cmp_lt_i64_e32 vcc, s[34:35], v[4:5]
	s_and_b64 vcc, exec, vcc
	s_barrier
	ds_write_b32 v16, v8
	s_waitcnt lgkmcnt(0)
	s_barrier
	s_cbranch_vccnz .LBB51_109
; %bb.108:
	ds_read_b32 v4, v16 offset:512
	s_waitcnt lgkmcnt(0)
	s_barrier
	v_add_u32_e32 v8, v4, v8
	ds_write_b32 v16, v8
.LBB51_109:
	v_mov_b32_e32 v4, 0x41
	v_mov_b32_e32 v5, 0
	v_cmp_lt_i64_e32 vcc, s[34:35], v[4:5]
	s_waitcnt lgkmcnt(0)
	s_barrier
	s_cbranch_vccnz .LBB51_111
; %bb.110:
	ds_read_b32 v4, v16 offset:256
	s_waitcnt lgkmcnt(0)
	s_barrier
	v_add_u32_e32 v8, v4, v8
	ds_write_b32 v16, v8
.LBB51_111:
	v_cmp_lt_i64_e64 s[2:3], s[34:35], 33
	s_and_b64 vcc, exec, s[2:3]
	s_waitcnt lgkmcnt(0)
	s_barrier
	s_cbranch_vccnz .LBB51_113
; %bb.112:
	ds_read_b32 v4, v16 offset:128
	s_waitcnt lgkmcnt(0)
	s_barrier
	v_add_u32_e32 v8, v4, v8
	ds_write_b32 v16, v8
.LBB51_113:
	v_cmp_lt_i64_e64 s[2:3], s[34:35], 17
	s_and_b64 vcc, exec, s[2:3]
	;; [unrolled: 12-line block ×4, first 2 shown]
	s_waitcnt lgkmcnt(0)
	s_barrier
	s_cbranch_vccnz .LBB51_119
; %bb.118:
	ds_read_b32 v4, v16 offset:16
	s_waitcnt lgkmcnt(0)
	s_barrier
	v_add_u32_e32 v8, v4, v8
	ds_write_b32 v16, v8
.LBB51_119:
	s_cmp_eq_u64 s[34:35], 2
	s_waitcnt lgkmcnt(0)
	s_barrier
	s_cbranch_scc1 .LBB51_121
; %bb.120:
	ds_read_b32 v4, v16 offset:8
	s_waitcnt lgkmcnt(0)
	s_barrier
	v_add_u32_e32 v8, v4, v8
	ds_write_b32 v16, v8
.LBB51_121:
	s_waitcnt lgkmcnt(0)
	s_barrier
	ds_read_b32 v4, v16 offset:4
	v_cmp_eq_u64_e32 vcc, 0, v[0:1]
	s_xor_b64 s[0:1], s[0:1], -1
	s_and_b64 s[0:1], vcc, s[0:1]
	s_waitcnt lgkmcnt(0)
	v_add_u32_e32 v4, v4, v8
	s_barrier
	ds_write_b32 v16, v4
	s_and_saveexec_b64 s[2:3], s[0:1]
	s_cbranch_execz .LBB51_125
; %bb.122:
	s_cmp_eq_u32 s33, 0
	v_lshlrev_b64 v[0:1], 2, v[2:3]
	s_cbranch_scc1 .LBB51_124
; %bb.123:
	v_mov_b32_e32 v3, s23
	v_add_co_u32_e32 v2, vcc, s22, v0
	v_addc_co_u32_e32 v3, vcc, v3, v1, vcc
	global_load_dword v2, v[2:3], off
	s_waitcnt vmcnt(0)
	v_mad_u64_u32 v[4:5], s[0:1], v2, s33, v[4:5]
.LBB51_124:
	v_mov_b32_e32 v2, s23
	v_add_co_u32_e32 v0, vcc, s22, v0
	v_addc_co_u32_e32 v1, vcc, v2, v1, vcc
	global_store_dword v[0:1], v4, off
.LBB51_125:
	s_endpgm
	.section	.rodata,"a",@progbits
	.p2align	6, 0x0
	.amdhsa_kernel _ZN9rocsparseL22csrmvn_adaptive_kernelIllaaiiEEvbT_PKS1_PjPKT0_NS_24const_host_device_scalarIT4_EES3_S7_PKT1_PKT2_SA_PT3_21rocsparse_index_base_b
		.amdhsa_group_segment_fixed_size 4096
		.amdhsa_private_segment_fixed_size 0
		.amdhsa_kernarg_size 104
		.amdhsa_user_sgpr_count 6
		.amdhsa_user_sgpr_private_segment_buffer 1
		.amdhsa_user_sgpr_dispatch_ptr 0
		.amdhsa_user_sgpr_queue_ptr 0
		.amdhsa_user_sgpr_kernarg_segment_ptr 1
		.amdhsa_user_sgpr_dispatch_id 0
		.amdhsa_user_sgpr_flat_scratch_init 0
		.amdhsa_user_sgpr_kernarg_preload_length 0
		.amdhsa_user_sgpr_kernarg_preload_offset 0
		.amdhsa_user_sgpr_private_segment_size 0
		.amdhsa_uses_dynamic_stack 0
		.amdhsa_system_sgpr_private_segment_wavefront_offset 0
		.amdhsa_system_sgpr_workgroup_id_x 1
		.amdhsa_system_sgpr_workgroup_id_y 0
		.amdhsa_system_sgpr_workgroup_id_z 0
		.amdhsa_system_sgpr_workgroup_info 0
		.amdhsa_system_vgpr_workitem_id 0
		.amdhsa_next_free_vgpr 20
		.amdhsa_next_free_sgpr 62
		.amdhsa_accum_offset 20
		.amdhsa_reserve_vcc 1
		.amdhsa_reserve_flat_scratch 0
		.amdhsa_float_round_mode_32 0
		.amdhsa_float_round_mode_16_64 0
		.amdhsa_float_denorm_mode_32 3
		.amdhsa_float_denorm_mode_16_64 3
		.amdhsa_dx10_clamp 1
		.amdhsa_ieee_mode 1
		.amdhsa_fp16_overflow 0
		.amdhsa_tg_split 0
		.amdhsa_exception_fp_ieee_invalid_op 0
		.amdhsa_exception_fp_denorm_src 0
		.amdhsa_exception_fp_ieee_div_zero 0
		.amdhsa_exception_fp_ieee_overflow 0
		.amdhsa_exception_fp_ieee_underflow 0
		.amdhsa_exception_fp_ieee_inexact 0
		.amdhsa_exception_int_div_zero 0
	.end_amdhsa_kernel
	.section	.text._ZN9rocsparseL22csrmvn_adaptive_kernelIllaaiiEEvbT_PKS1_PjPKT0_NS_24const_host_device_scalarIT4_EES3_S7_PKT1_PKT2_SA_PT3_21rocsparse_index_base_b,"axG",@progbits,_ZN9rocsparseL22csrmvn_adaptive_kernelIllaaiiEEvbT_PKS1_PjPKT0_NS_24const_host_device_scalarIT4_EES3_S7_PKT1_PKT2_SA_PT3_21rocsparse_index_base_b,comdat
.Lfunc_end51:
	.size	_ZN9rocsparseL22csrmvn_adaptive_kernelIllaaiiEEvbT_PKS1_PjPKT0_NS_24const_host_device_scalarIT4_EES3_S7_PKT1_PKT2_SA_PT3_21rocsparse_index_base_b, .Lfunc_end51-_ZN9rocsparseL22csrmvn_adaptive_kernelIllaaiiEEvbT_PKS1_PjPKT0_NS_24const_host_device_scalarIT4_EES3_S7_PKT1_PKT2_SA_PT3_21rocsparse_index_base_b
                                        ; -- End function
	.section	.AMDGPU.csdata,"",@progbits
; Kernel info:
; codeLenInByte = 4188
; NumSgprs: 66
; NumVgprs: 20
; NumAgprs: 0
; TotalNumVgprs: 20
; ScratchSize: 0
; MemoryBound: 0
; FloatMode: 240
; IeeeMode: 1
; LDSByteSize: 4096 bytes/workgroup (compile time only)
; SGPRBlocks: 8
; VGPRBlocks: 2
; NumSGPRsForWavesPerEU: 66
; NumVGPRsForWavesPerEU: 20
; AccumOffset: 20
; Occupancy: 8
; WaveLimiterHint : 1
; COMPUTE_PGM_RSRC2:SCRATCH_EN: 0
; COMPUTE_PGM_RSRC2:USER_SGPR: 6
; COMPUTE_PGM_RSRC2:TRAP_HANDLER: 0
; COMPUTE_PGM_RSRC2:TGID_X_EN: 1
; COMPUTE_PGM_RSRC2:TGID_Y_EN: 0
; COMPUTE_PGM_RSRC2:TGID_Z_EN: 0
; COMPUTE_PGM_RSRC2:TIDIG_COMP_CNT: 0
; COMPUTE_PGM_RSRC3_GFX90A:ACCUM_OFFSET: 4
; COMPUTE_PGM_RSRC3_GFX90A:TG_SPLIT: 0
	.section	.text._ZN9rocsparseL22partial_scale_y_kernelIliiEEvT_S1_S1_NS_24const_host_device_scalarIT1_EEPT0_b,"axG",@progbits,_ZN9rocsparseL22partial_scale_y_kernelIliiEEvT_S1_S1_NS_24const_host_device_scalarIT1_EEPT0_b,comdat
	.globl	_ZN9rocsparseL22partial_scale_y_kernelIliiEEvT_S1_S1_NS_24const_host_device_scalarIT1_EEPT0_b ; -- Begin function _ZN9rocsparseL22partial_scale_y_kernelIliiEEvT_S1_S1_NS_24const_host_device_scalarIT1_EEPT0_b
	.p2align	8
	.type	_ZN9rocsparseL22partial_scale_y_kernelIliiEEvT_S1_S1_NS_24const_host_device_scalarIT1_EEPT0_b,@function
_ZN9rocsparseL22partial_scale_y_kernelIliiEEvT_S1_S1_NS_24const_host_device_scalarIT1_EEPT0_b: ; @_ZN9rocsparseL22partial_scale_y_kernelIliiEEvT_S1_S1_NS_24const_host_device_scalarIT1_EEPT0_b
; %bb.0:
	s_load_dword s0, s[4:5], 0x28
	s_load_dwordx8 s[8:15], s[4:5], 0x0
	s_waitcnt lgkmcnt(0)
	s_bitcmp0_b32 s0, 0
	s_cbranch_scc0 .LBB52_2
; %bb.1:
	s_load_dword s15, s[14:15], 0x0
	s_cbranch_execz .LBB52_3
	s_branch .LBB52_4
.LBB52_2:
                                        ; implicit-def: $sgpr15
.LBB52_3:
	s_waitcnt lgkmcnt(0)
	s_mov_b32 s15, s14
.LBB52_4:
	s_waitcnt lgkmcnt(0)
	s_cmp_eq_u32 s15, 1
	s_cbranch_scc1 .LBB52_14
; %bb.5:
	s_add_u32 s0, s10, s8
	s_addc_u32 s1, s11, s9
	s_sub_u32 s0, s0, s12
	v_lshl_or_b32 v0, s6, 8, v0
	v_mov_b32_e32 v1, 0
	s_subb_u32 s1, s1, s13
	v_cmp_gt_i64_e32 vcc, s[0:1], v[0:1]
	s_and_saveexec_b64 s[0:1], vcc
	s_cbranch_execz .LBB52_14
; %bb.6:
	s_load_dwordx2 s[0:1], s[4:5], 0x20
	s_cmp_lg_u32 s15, 0
	v_cmp_le_i64_e32 vcc, s[10:11], v[0:1]
	s_cselect_b64 s[2:3], -1, 0
	s_and_saveexec_b64 s[4:5], vcc
	s_xor_b64 s[4:5], exec, s[4:5]
	s_cbranch_execz .LBB52_10
; %bb.7:
	v_mov_b32_e32 v1, s11
	v_subrev_co_u32_e32 v0, vcc, s10, v0
	s_lshl_b64 s[6:7], s[12:13], 2
	v_subb_co_u32_e32 v1, vcc, 0, v1, vcc
	s_waitcnt lgkmcnt(0)
	s_add_u32 s6, s6, s0
	v_lshlrev_b64 v[0:1], 2, v[0:1]
	s_addc_u32 s7, s7, s1
	v_mov_b32_e32 v3, s7
	v_add_co_u32_e32 v2, vcc, s6, v0
	v_addc_co_u32_e32 v3, vcc, v3, v1, vcc
	s_and_b64 vcc, exec, s[2:3]
	s_cbranch_vccz .LBB52_15
; %bb.8:
	global_load_dword v0, v[2:3], off
	s_waitcnt vmcnt(0)
	v_mul_lo_u32 v0, v0, s15
	global_store_dword v[2:3], v0, off
                                        ; implicit-def: $vgpr0_vgpr1
	s_cbranch_execnz .LBB52_10
.LBB52_9:
	v_mov_b32_e32 v0, 0
	global_store_dword v[2:3], v0, off
                                        ; implicit-def: $vgpr0_vgpr1
.LBB52_10:
	s_andn2_saveexec_b64 s[4:5], s[4:5]
	s_cbranch_execz .LBB52_14
; %bb.11:
	v_lshlrev_b64 v[0:1], 2, v[0:1]
	s_waitcnt lgkmcnt(0)
	v_mov_b32_e32 v2, s1
	v_add_co_u32_e32 v0, vcc, s0, v0
	v_addc_co_u32_e32 v1, vcc, v2, v1, vcc
	s_and_b64 vcc, exec, s[2:3]
	s_cbranch_vccz .LBB52_16
; %bb.12:
	global_load_dword v2, v[0:1], off
	s_waitcnt vmcnt(0)
	v_mul_lo_u32 v2, v2, s15
	global_store_dword v[0:1], v2, off
	s_cbranch_execnz .LBB52_14
.LBB52_13:
	v_mov_b32_e32 v2, 0
	global_store_dword v[0:1], v2, off
.LBB52_14:
	s_endpgm
.LBB52_15:
                                        ; implicit-def: $vgpr0_vgpr1
	s_branch .LBB52_9
.LBB52_16:
	s_branch .LBB52_13
	.section	.rodata,"a",@progbits
	.p2align	6, 0x0
	.amdhsa_kernel _ZN9rocsparseL22partial_scale_y_kernelIliiEEvT_S1_S1_NS_24const_host_device_scalarIT1_EEPT0_b
		.amdhsa_group_segment_fixed_size 0
		.amdhsa_private_segment_fixed_size 0
		.amdhsa_kernarg_size 44
		.amdhsa_user_sgpr_count 6
		.amdhsa_user_sgpr_private_segment_buffer 1
		.amdhsa_user_sgpr_dispatch_ptr 0
		.amdhsa_user_sgpr_queue_ptr 0
		.amdhsa_user_sgpr_kernarg_segment_ptr 1
		.amdhsa_user_sgpr_dispatch_id 0
		.amdhsa_user_sgpr_flat_scratch_init 0
		.amdhsa_user_sgpr_kernarg_preload_length 0
		.amdhsa_user_sgpr_kernarg_preload_offset 0
		.amdhsa_user_sgpr_private_segment_size 0
		.amdhsa_uses_dynamic_stack 0
		.amdhsa_system_sgpr_private_segment_wavefront_offset 0
		.amdhsa_system_sgpr_workgroup_id_x 1
		.amdhsa_system_sgpr_workgroup_id_y 0
		.amdhsa_system_sgpr_workgroup_id_z 0
		.amdhsa_system_sgpr_workgroup_info 0
		.amdhsa_system_vgpr_workitem_id 0
		.amdhsa_next_free_vgpr 4
		.amdhsa_next_free_sgpr 16
		.amdhsa_accum_offset 4
		.amdhsa_reserve_vcc 1
		.amdhsa_reserve_flat_scratch 0
		.amdhsa_float_round_mode_32 0
		.amdhsa_float_round_mode_16_64 0
		.amdhsa_float_denorm_mode_32 3
		.amdhsa_float_denorm_mode_16_64 3
		.amdhsa_dx10_clamp 1
		.amdhsa_ieee_mode 1
		.amdhsa_fp16_overflow 0
		.amdhsa_tg_split 0
		.amdhsa_exception_fp_ieee_invalid_op 0
		.amdhsa_exception_fp_denorm_src 0
		.amdhsa_exception_fp_ieee_div_zero 0
		.amdhsa_exception_fp_ieee_overflow 0
		.amdhsa_exception_fp_ieee_underflow 0
		.amdhsa_exception_fp_ieee_inexact 0
		.amdhsa_exception_int_div_zero 0
	.end_amdhsa_kernel
	.section	.text._ZN9rocsparseL22partial_scale_y_kernelIliiEEvT_S1_S1_NS_24const_host_device_scalarIT1_EEPT0_b,"axG",@progbits,_ZN9rocsparseL22partial_scale_y_kernelIliiEEvT_S1_S1_NS_24const_host_device_scalarIT1_EEPT0_b,comdat
.Lfunc_end52:
	.size	_ZN9rocsparseL22partial_scale_y_kernelIliiEEvT_S1_S1_NS_24const_host_device_scalarIT1_EEPT0_b, .Lfunc_end52-_ZN9rocsparseL22partial_scale_y_kernelIliiEEvT_S1_S1_NS_24const_host_device_scalarIT1_EEPT0_b
                                        ; -- End function
	.section	.AMDGPU.csdata,"",@progbits
; Kernel info:
; codeLenInByte = 332
; NumSgprs: 20
; NumVgprs: 4
; NumAgprs: 0
; TotalNumVgprs: 4
; ScratchSize: 0
; MemoryBound: 0
; FloatMode: 240
; IeeeMode: 1
; LDSByteSize: 0 bytes/workgroup (compile time only)
; SGPRBlocks: 2
; VGPRBlocks: 0
; NumSGPRsForWavesPerEU: 20
; NumVGPRsForWavesPerEU: 4
; AccumOffset: 4
; Occupancy: 8
; WaveLimiterHint : 0
; COMPUTE_PGM_RSRC2:SCRATCH_EN: 0
; COMPUTE_PGM_RSRC2:USER_SGPR: 6
; COMPUTE_PGM_RSRC2:TRAP_HANDLER: 0
; COMPUTE_PGM_RSRC2:TGID_X_EN: 1
; COMPUTE_PGM_RSRC2:TGID_Y_EN: 0
; COMPUTE_PGM_RSRC2:TGID_Z_EN: 0
; COMPUTE_PGM_RSRC2:TIDIG_COMP_CNT: 0
; COMPUTE_PGM_RSRC3_GFX90A:ACCUM_OFFSET: 0
; COMPUTE_PGM_RSRC3_GFX90A:TG_SPLIT: 0
	.section	.text._ZN9rocsparseL27csrmvn_symm_adaptive_kernelIllaaiiEEvbT_S1_PKS1_NS_24const_host_device_scalarIT4_EES3_PKT0_PKT1_PKT2_S6_PT3_21rocsparse_index_base_b,"axG",@progbits,_ZN9rocsparseL27csrmvn_symm_adaptive_kernelIllaaiiEEvbT_S1_PKS1_NS_24const_host_device_scalarIT4_EES3_PKT0_PKT1_PKT2_S6_PT3_21rocsparse_index_base_b,comdat
	.globl	_ZN9rocsparseL27csrmvn_symm_adaptive_kernelIllaaiiEEvbT_S1_PKS1_NS_24const_host_device_scalarIT4_EES3_PKT0_PKT1_PKT2_S6_PT3_21rocsparse_index_base_b ; -- Begin function _ZN9rocsparseL27csrmvn_symm_adaptive_kernelIllaaiiEEvbT_S1_PKS1_NS_24const_host_device_scalarIT4_EES3_PKT0_PKT1_PKT2_S6_PT3_21rocsparse_index_base_b
	.p2align	8
	.type	_ZN9rocsparseL27csrmvn_symm_adaptive_kernelIllaaiiEEvbT_S1_PKS1_NS_24const_host_device_scalarIT4_EES3_PKT0_PKT1_PKT2_S6_PT3_21rocsparse_index_base_b,@function
_ZN9rocsparseL27csrmvn_symm_adaptive_kernelIllaaiiEEvbT_S1_PKS1_NS_24const_host_device_scalarIT4_EES3_PKT0_PKT1_PKT2_S6_PT3_21rocsparse_index_base_b: ; @_ZN9rocsparseL27csrmvn_symm_adaptive_kernelIllaaiiEEvbT_S1_PKS1_NS_24const_host_device_scalarIT4_EES3_PKT0_PKT1_PKT2_S6_PT3_21rocsparse_index_base_b
; %bb.0:
	s_load_dwordx2 s[28:29], s[4:5], 0x58
	s_load_dwordx2 s[8:9], s[4:5], 0x20
	s_mov_b64 s[10:11], -1
                                        ; implicit-def: $sgpr33
	s_waitcnt lgkmcnt(0)
	s_bitcmp1_b32 s29, 0
	s_cselect_b64 s[0:1], -1, 0
	s_xor_b64 s[2:3], s[0:1], -1
	s_and_b64 vcc, exec, s[2:3]
	s_cbranch_vccnz .LBB53_4
; %bb.1:
	s_load_dwordx2 s[0:1], s[4:5], 0x48
	s_andn2_b64 vcc, exec, s[10:11]
	s_cbranch_vccz .LBB53_5
.LBB53_2:
	s_and_b64 vcc, exec, s[2:3]
	s_cbranch_vccz .LBB53_6
.LBB53_3:
	s_waitcnt lgkmcnt(0)
	s_load_dword s1, s[0:1], 0x0
	s_cbranch_execz .LBB53_7
	s_branch .LBB53_8
.LBB53_4:
	s_load_dword s33, s[8:9], 0x0
	s_load_dwordx2 s[0:1], s[4:5], 0x48
	s_cbranch_execnz .LBB53_2
.LBB53_5:
	s_waitcnt lgkmcnt(0)
	s_mov_b32 s33, s8
	s_and_b64 vcc, exec, s[2:3]
	s_cbranch_vccnz .LBB53_3
.LBB53_6:
                                        ; implicit-def: $sgpr1
.LBB53_7:
	s_waitcnt lgkmcnt(0)
	s_mov_b32 s1, s0
.LBB53_8:
	s_waitcnt lgkmcnt(0)
	s_cmp_lg_u32 s33, 0
	s_cselect_b64 s[2:3], -1, 0
	s_cmp_lg_u32 s1, 1
	s_cselect_b64 s[0:1], -1, 0
	s_or_b64 s[0:1], s[2:3], s[0:1]
	s_andn2_b64 vcc, exec, s[0:1]
	s_cbranch_vccnz .LBB53_173
; %bb.9:
	s_load_dwordx2 s[0:1], s[4:5], 0x18
	s_ashr_i32 s7, s6, 31
	s_lshl_b64 s[2:3], s[6:7], 3
	v_lshlrev_b32_e32 v16, 2, v0
	v_mov_b32_e32 v1, 0
	s_waitcnt lgkmcnt(0)
	s_add_u32 s0, s0, s2
	s_addc_u32 s1, s1, s3
	ds_write2st64_b32 v16, v1, v1 offset1:4
	ds_write2st64_b32 v16, v1, v1 offset0:8 offset1:12
	s_waitcnt lgkmcnt(0)
	s_barrier
	s_load_dwordx4 s[20:23], s[0:1], 0x0
	s_load_dwordx8 s[12:19], s[4:5], 0x28
	s_load_dwordx2 s[24:25], s[4:5], 0x50
	s_mov_b64 s[0:1], -1
	s_waitcnt lgkmcnt(0)
	s_sub_u32 s26, s22, s20
	s_subb_u32 s27, s23, s21
	v_cmp_gt_i64_e64 s[2:3], s[26:27], 2
	s_and_b64 vcc, exec, s[2:3]
	s_cbranch_vccnz .LBB53_42
; %bb.10:
	v_pk_mov_b32 v[2:3], s[20:21], s[20:21] op_sel:[0,1]
	v_cmp_gt_i64_e32 vcc, s[22:23], v[2:3]
	v_subrev_co_u32_e64 v1, s[0:1], s28, v0
	s_mov_b32 s29, 0
	v_subb_co_u32_e64 v8, s[0:1], 0, 0, s[0:1]
	s_cbranch_vccnz .LBB53_12
; %bb.11:
	s_lshl_b64 s[0:1], s[20:21], 3
	s_add_u32 s0, s12, s0
	s_addc_u32 s1, s13, s1
	s_load_dwordx2 s[30:31], s[0:1], 0x0
	s_cbranch_execz .LBB53_13
	s_branch .LBB53_32
.LBB53_12:
                                        ; implicit-def: $sgpr30_sgpr31
.LBB53_13:
	s_waitcnt lgkmcnt(0)
	s_lshl_b64 s[30:31], s[20:21], 3
	s_add_u32 s30, s12, s30
	s_addc_u32 s31, s13, s31
	s_load_dwordx2 s[30:31], s[30:31], 0x0
	s_movk_i32 s0, 0x100
	s_add_u32 s44, s12, 8
	v_cmp_gt_u32_e64 s[0:1], s0, v0
	v_cmp_gt_u32_e64 s[2:3], 64, v0
	;; [unrolled: 1-line block ×4, first 2 shown]
	v_cmp_eq_u32_e64 s[10:11], 0, v0
	s_addc_u32 s45, s13, 0
	v_mov_b32_e32 v9, s29
	v_mov_b32_e32 v10, s17
	;; [unrolled: 1-line block ×4, first 2 shown]
	v_pk_mov_b32 v[2:3], s[22:23], s[22:23] op_sel:[0,1]
	s_waitcnt lgkmcnt(0)
	s_mov_b64 s[36:37], s[30:31]
	s_mov_b64 s[34:35], s[20:21]
	s_branch .LBB53_15
.LBB53_14:                              ;   in Loop: Header=BB53_15 Depth=1
	s_or_b64 exec, exec, s[38:39]
	s_add_u32 s34, s34, 1
	s_addc_u32 s35, s35, 0
	v_cmp_ge_i64_e32 vcc, s[34:35], v[2:3]
	s_cbranch_vccnz .LBB53_32
.LBB53_15:                              ; =>This Loop Header: Depth=1
                                        ;     Child Loop BB53_17 Depth 2
	s_mov_b64 s[40:41], s[36:37]
	s_lshl_b64 s[36:37], s[34:35], 3
	s_add_u32 s36, s44, s36
	s_addc_u32 s37, s45, s37
	s_load_dwordx2 s[36:37], s[36:37], 0x0
	v_mov_b32_e32 v5, s41
	v_add_co_u32_e32 v4, vcc, s40, v1
	v_addc_co_u32_e32 v5, vcc, v5, v8, vcc
	s_waitcnt lgkmcnt(0)
	s_sub_u32 s38, s36, s28
	s_subb_u32 s39, s37, 0
	v_cmp_gt_i64_e32 vcc, s[38:39], v[4:5]
	v_mov_b32_e32 v13, 0
	s_and_saveexec_b64 s[40:41], vcc
	s_cbranch_execz .LBB53_19
; %bb.16:                               ;   in Loop: Header=BB53_15 Depth=1
	v_lshlrev_b64 v[6:7], 3, v[4:5]
	v_mov_b32_e32 v13, s15
	v_add_co_u32_e32 v6, vcc, s14, v6
	v_addc_co_u32_e32 v7, vcc, v13, v7, vcc
	s_mov_b64 s[42:43], 0
	v_mov_b32_e32 v13, 0
.LBB53_17:                              ;   Parent Loop BB53_15 Depth=1
                                        ; =>  This Inner Loop Header: Depth=2
	global_load_dwordx2 v[14:15], v[6:7], off
	v_add_co_u32_e32 v18, vcc, s16, v4
	v_addc_co_u32_e32 v19, vcc, v10, v5, vcc
	global_load_sbyte v17, v[18:19], off
	s_waitcnt vmcnt(1)
	v_subrev_co_u32_e32 v14, vcc, s28, v14
	v_subb_co_u32_e32 v15, vcc, v15, v9, vcc
	v_add_co_u32_e32 v14, vcc, s18, v14
	v_addc_co_u32_e32 v15, vcc, v11, v15, vcc
	global_load_sbyte v14, v[14:15], off
	v_add_co_u32_e32 v4, vcc, 0x100, v4
	v_addc_co_u32_e32 v5, vcc, 0, v5, vcc
	v_add_co_u32_e32 v6, vcc, 0x800, v6
	v_addc_co_u32_e32 v7, vcc, 0, v7, vcc
	v_cmp_le_i64_e32 vcc, s[38:39], v[4:5]
	s_or_b64 s[42:43], vcc, s[42:43]
	s_waitcnt vmcnt(0)
	v_mad_i32_i24 v13, v14, v17, v13
	s_andn2_b64 exec, exec, s[42:43]
	s_cbranch_execnz .LBB53_17
; %bb.18:                               ;   in Loop: Header=BB53_15 Depth=1
	s_or_b64 exec, exec, s[42:43]
.LBB53_19:                              ;   in Loop: Header=BB53_15 Depth=1
	s_or_b64 exec, exec, s[40:41]
	ds_write_b32 v16, v13
	s_waitcnt lgkmcnt(0)
	s_barrier
	s_and_saveexec_b64 s[38:39], s[0:1]
	s_cbranch_execz .LBB53_21
; %bb.20:                               ;   in Loop: Header=BB53_15 Depth=1
	ds_read2st64_b32 v[4:5], v16 offset1:4
	ds_read2st64_b32 v[6:7], v16 offset0:8 offset1:12
	s_waitcnt lgkmcnt(0)
	v_add_u32_e32 v5, v6, v5
	v_add3_u32 v4, v5, v7, v4
	ds_write_b32 v16, v4
.LBB53_21:                              ;   in Loop: Header=BB53_15 Depth=1
	s_or_b64 exec, exec, s[38:39]
	s_waitcnt lgkmcnt(0)
	s_barrier
	s_and_saveexec_b64 s[38:39], s[2:3]
	s_cbranch_execz .LBB53_23
; %bb.22:                               ;   in Loop: Header=BB53_15 Depth=1
	ds_read2st64_b32 v[4:5], v16 offset1:1
	ds_read2st64_b32 v[6:7], v16 offset0:2 offset1:3
	s_waitcnt lgkmcnt(0)
	v_add_u32_e32 v5, v6, v5
	v_add3_u32 v4, v5, v7, v4
	ds_write_b32 v16, v4
.LBB53_23:                              ;   in Loop: Header=BB53_15 Depth=1
	s_or_b64 exec, exec, s[38:39]
	s_waitcnt lgkmcnt(0)
	s_barrier
	s_and_saveexec_b64 s[38:39], s[6:7]
	s_cbranch_execz .LBB53_25
; %bb.24:                               ;   in Loop: Header=BB53_15 Depth=1
	ds_read2_b32 v[4:5], v16 offset1:16
	ds_read2_b32 v[6:7], v16 offset0:32 offset1:48
	s_waitcnt lgkmcnt(0)
	v_add_u32_e32 v5, v6, v5
	v_add3_u32 v4, v5, v7, v4
	ds_write_b32 v16, v4
.LBB53_25:                              ;   in Loop: Header=BB53_15 Depth=1
	s_or_b64 exec, exec, s[38:39]
	s_waitcnt lgkmcnt(0)
	s_barrier
	s_and_saveexec_b64 s[38:39], s[8:9]
	s_cbranch_execz .LBB53_27
; %bb.26:                               ;   in Loop: Header=BB53_15 Depth=1
	ds_read2_b32 v[4:5], v16 offset1:4
	ds_read2_b32 v[6:7], v16 offset0:8 offset1:12
	s_waitcnt lgkmcnt(0)
	v_add_u32_e32 v5, v6, v5
	v_add3_u32 v4, v5, v7, v4
	ds_write_b32 v16, v4
.LBB53_27:                              ;   in Loop: Header=BB53_15 Depth=1
	s_or_b64 exec, exec, s[38:39]
	s_waitcnt lgkmcnt(0)
	s_barrier
	s_and_saveexec_b64 s[38:39], s[10:11]
	s_cbranch_execz .LBB53_29
; %bb.28:                               ;   in Loop: Header=BB53_15 Depth=1
	ds_read2_b32 v[4:5], v12 offset0:1 offset1:2
	ds_read_b32 v6, v12 offset:12
	ds_read_b32 v7, v16
	s_waitcnt lgkmcnt(2)
	v_add_u32_e32 v4, v5, v4
	s_waitcnt lgkmcnt(1)
	v_add_u32_e32 v4, v4, v6
	;; [unrolled: 2-line block ×3, first 2 shown]
	ds_write_b32 v16, v4
.LBB53_29:                              ;   in Loop: Header=BB53_15 Depth=1
	s_or_b64 exec, exec, s[38:39]
	s_waitcnt lgkmcnt(0)
	s_barrier
	s_and_saveexec_b64 s[38:39], s[10:11]
	s_cbranch_execz .LBB53_14
; %bb.30:                               ;   in Loop: Header=BB53_15 Depth=1
	s_mov_b64 s[40:41], exec
	v_mbcnt_lo_u32_b32 v4, s40, 0
	v_mbcnt_hi_u32_b32 v4, s41, v4
	v_cmp_eq_u32_e32 vcc, 0, v4
	s_and_b64 s[42:43], exec, vcc
	s_mov_b64 exec, s[42:43]
	s_cbranch_execz .LBB53_14
; %bb.31:                               ;   in Loop: Header=BB53_15 Depth=1
	ds_read_b32 v4, v12
	s_lshl_b64 s[42:43], s[34:35], 2
	s_add_u32 s42, s24, s42
	s_addc_u32 s43, s25, s43
	s_bcnt1_i32_b64 s40, s[40:41]
	s_waitcnt lgkmcnt(0)
	v_mul_lo_u32 v4, v4, s33
	v_mul_lo_u32 v4, v4, s40
	global_atomic_add v12, v4, s[42:43]
	s_branch .LBB53_14
.LBB53_32:
	s_lshl_b64 s[0:1], s[22:23], 3
	s_add_u32 s0, s12, s0
	s_addc_u32 s1, s13, s1
	s_load_dwordx2 s[0:1], s[0:1], 0x0
	s_waitcnt lgkmcnt(0)
	v_mov_b32_e32 v3, s31
	v_add_co_u32_e32 v2, vcc, s30, v1
	v_addc_co_u32_e32 v3, vcc, v3, v8, vcc
	s_sub_u32 s6, s0, s28
	s_subb_u32 s7, s1, 0
	v_cmp_gt_i64_e32 vcc, s[6:7], v[2:3]
	s_and_saveexec_b64 s[8:9], vcc
	s_cbranch_execz .LBB53_41
; %bb.33:
	s_add_u32 s10, s22, -1
	s_addc_u32 s11, s23, -1
	s_add_u32 s0, s22, -2
	s_addc_u32 s1, s23, -1
	v_pk_mov_b32 v[4:5], s[20:21], s[20:21] op_sel:[0,1]
	s_cmp_lg_u64 s[0:1], s[20:21]
	v_cmp_gt_i64_e32 vcc, s[10:11], v[4:5]
	s_cselect_b64 s[0:1], -1, 0
	s_and_b64 s[0:1], vcc, s[0:1]
	v_cndmask_b32_e64 v1, 0, 1, s[0:1]
	s_mov_b64 s[30:31], 0
	v_cmp_ne_u32_e64 s[0:1], 1, v1
	v_mov_b32_e32 v1, s13
	v_mov_b32_e32 v8, s29
	;; [unrolled: 1-line block ×3, first 2 shown]
	s_branch .LBB53_35
.LBB53_34:                              ;   in Loop: Header=BB53_35 Depth=1
	s_or_b64 exec, exec, s[2:3]
	v_add_co_u32_e32 v2, vcc, 0x100, v2
	v_addc_co_u32_e32 v3, vcc, 0, v3, vcc
	v_cmp_le_i64_e32 vcc, s[6:7], v[2:3]
	s_or_b64 s[30:31], vcc, s[30:31]
	s_andn2_b64 exec, exec, s[30:31]
	s_cbranch_execz .LBB53_41
.LBB53_35:                              ; =>This Loop Header: Depth=1
                                        ;     Child Loop BB53_37 Depth 2
	s_and_b64 vcc, exec, s[0:1]
	v_pk_mov_b32 v[4:5], s[20:21], s[20:21] op_sel:[0,1]
	v_pk_mov_b32 v[6:7], s[10:11], s[10:11] op_sel:[0,1]
	s_cbranch_vccnz .LBB53_39
; %bb.36:                               ;   in Loop: Header=BB53_35 Depth=1
	s_mov_b64 s[34:35], 0
	v_pk_mov_b32 v[4:5], s[20:21], s[20:21] op_sel:[0,1]
	v_pk_mov_b32 v[6:7], s[10:11], s[10:11] op_sel:[0,1]
.LBB53_37:                              ;   Parent Loop BB53_35 Depth=1
                                        ; =>  This Inner Loop Header: Depth=2
	v_add_co_u32_e32 v10, vcc, v6, v4
	v_addc_co_u32_e32 v11, vcc, v7, v5, vcc
	v_lshrrev_b32_e32 v12, 31, v11
	v_add_co_u32_e32 v10, vcc, v10, v12
	v_addc_co_u32_e32 v11, vcc, 0, v11, vcc
	v_ashrrev_i64 v[10:11], 1, v[10:11]
	v_lshlrev_b64 v[12:13], 3, v[10:11]
	v_mov_b32_e32 v14, s13
	v_add_co_u32_e32 v12, vcc, s12, v12
	v_addc_co_u32_e32 v13, vcc, v14, v13, vcc
	global_load_dwordx2 v[12:13], v[12:13], off
	v_mov_b32_e32 v14, s29
	s_waitcnt vmcnt(0)
	v_subrev_co_u32_e32 v12, vcc, s28, v12
	v_subb_co_u32_e32 v13, vcc, v13, v14, vcc
	v_cmp_gt_i64_e32 vcc, v[12:13], v[2:3]
	v_cndmask_b32_e32 v6, v6, v10, vcc
	v_cndmask_b32_e32 v7, v7, v11, vcc
	;; [unrolled: 1-line block ×3, first 2 shown]
	v_add_co_u32_e64 v10, s[2:3], -1, v6
	v_cndmask_b32_e32 v5, v11, v5, vcc
	v_addc_co_u32_e64 v11, s[2:3], -1, v7, s[2:3]
	v_cmp_ge_i64_e32 vcc, v[4:5], v[6:7]
	v_cmp_eq_u64_e64 s[2:3], v[4:5], v[10:11]
	s_or_b64 s[2:3], vcc, s[2:3]
	s_and_b64 s[2:3], exec, s[2:3]
	s_or_b64 s[34:35], s[2:3], s[34:35]
	s_andn2_b64 exec, exec, s[34:35]
	s_cbranch_execnz .LBB53_37
; %bb.38:                               ;   in Loop: Header=BB53_35 Depth=1
	s_or_b64 exec, exec, s[34:35]
.LBB53_39:                              ;   in Loop: Header=BB53_35 Depth=1
	v_lshlrev_b64 v[10:11], 3, v[6:7]
	v_add_co_u32_e32 v10, vcc, s12, v10
	v_addc_co_u32_e32 v11, vcc, v1, v11, vcc
	global_load_dwordx2 v[10:11], v[10:11], off
	v_lshlrev_b64 v[12:13], 3, v[2:3]
	v_add_co_u32_e32 v12, vcc, s14, v12
	v_addc_co_u32_e32 v13, vcc, v9, v13, vcc
	global_load_dwordx2 v[12:13], v[12:13], off
	s_waitcnt vmcnt(1)
	v_subrev_co_u32_e32 v10, vcc, s28, v10
	v_subb_co_u32_e32 v11, vcc, v11, v8, vcc
	v_cmp_gt_i64_e32 vcc, v[10:11], v[2:3]
	v_cndmask_b32_e32 v7, v7, v5, vcc
	v_cndmask_b32_e32 v6, v6, v4, vcc
	s_waitcnt vmcnt(0)
	v_subrev_co_u32_e32 v4, vcc, s28, v12
	v_subb_co_u32_e32 v5, vcc, v13, v8, vcc
	v_cmp_ne_u64_e32 vcc, v[4:5], v[6:7]
	s_and_saveexec_b64 s[2:3], vcc
	s_cbranch_execz .LBB53_34
; %bb.40:                               ;   in Loop: Header=BB53_35 Depth=1
	v_mov_b32_e32 v11, s17
	v_add_co_u32_e32 v10, vcc, s16, v2
	v_addc_co_u32_e32 v11, vcc, v11, v3, vcc
	global_load_sbyte v10, v[10:11], off
	v_mov_b32_e32 v11, s19
	v_add_co_u32_e32 v6, vcc, s18, v6
	v_addc_co_u32_e32 v7, vcc, v11, v7, vcc
	global_load_sbyte v6, v[6:7], off
	v_lshlrev_b64 v[4:5], 2, v[4:5]
	v_mov_b32_e32 v7, s25
	v_add_co_u32_e32 v4, vcc, s24, v4
	v_addc_co_u32_e32 v5, vcc, v7, v5, vcc
	s_waitcnt vmcnt(1)
	v_mul_lo_u32 v7, s33, v10
	s_waitcnt vmcnt(0)
	v_mul_lo_u32 v6, v7, v6
	global_atomic_add v[4:5], v6, off
	s_branch .LBB53_34
.LBB53_41:
	s_or_b64 exec, exec, s[8:9]
	s_mov_b64 s[0:1], 0
.LBB53_42:
	s_and_b64 vcc, exec, s[0:1]
	s_cbranch_vccz .LBB53_173
; %bb.43:
	s_load_dword s0, s[4:5], 0x6c
	s_mov_b32 s29, 0
	v_pk_mov_b32 v[2:3], s[26:27], s[26:27] op_sel:[0,1]
	s_mov_b32 s31, s29
	s_mov_b64 s[34:35], 0
	s_waitcnt lgkmcnt(0)
	s_and_b32 s30, s0, 0xffff
	v_cmp_lt_u64_e32 vcc, s[30:31], v[2:3]
	s_cbranch_vccnz .LBB53_45
; %bb.44:
	v_cvt_f32_u32_e32 v1, s26
	s_sub_i32 s0, 0, s26
	v_rcp_iflag_f32_e32 v1, v1
	v_mul_f32_e32 v1, 0x4f7ffffe, v1
	v_cvt_u32_f32_e32 v1, v1
	v_readfirstlane_b32 s1, v1
	s_mul_i32 s0, s0, s1
	s_mul_hi_u32 s0, s1, s0
	s_add_i32 s1, s1, s0
	s_mul_hi_u32 s0, s30, s1
	s_mul_i32 s2, s0, s26
	s_sub_i32 s2, s30, s2
	s_add_i32 s1, s0, 1
	s_sub_i32 s3, s2, s26
	s_cmp_ge_u32 s2, s26
	s_cselect_b32 s0, s1, s0
	s_cselect_b32 s2, s3, s2
	s_add_i32 s1, s0, 1
	s_cmp_ge_u32 s2, s26
	s_cselect_b32 s34, s1, s0
.LBB53_45:
	s_lshl_b64 s[0:1], s[20:21], 3
	s_add_u32 s10, s12, s0
	s_addc_u32 s11, s13, s1
	s_load_dwordx2 s[8:9], s[10:11], 0x0
	v_subrev_co_u32_e32 v2, vcc, s28, v0
	s_load_dwordx4 s[4:7], s[4:5], 0x8
	v_subb_co_u32_e64 v3, s[0:1], 0, 0, vcc
	s_waitcnt lgkmcnt(0)
	v_mov_b32_e32 v4, s9
	v_add_co_u32_e32 v6, vcc, s8, v2
	v_addc_co_u32_e32 v7, vcc, v4, v3, vcc
	v_add_co_u32_e32 v8, vcc, 0x300, v6
	v_addc_co_u32_e32 v9, vcc, 0, v7, vcc
	v_mov_b32_e32 v1, 0
	v_cmp_le_i64_e64 s[0:1], s[4:5], v[8:9]
	s_and_saveexec_b64 s[2:3], s[0:1]
	s_xor_b64 s[4:5], exec, s[2:3]
	s_cbranch_execnz .LBB53_48
; %bb.46:
	s_andn2_saveexec_b64 s[2:3], s[4:5]
	s_cbranch_execnz .LBB53_57
.LBB53_47:
	s_or_b64 exec, exec, s[2:3]
	v_cmp_gt_i64_e32 vcc, s[6:7], v[0:1]
	s_and_saveexec_b64 s[4:5], vcc
	s_cbranch_execnz .LBB53_58
	s_branch .LBB53_65
.LBB53_48:
	s_lshl_b64 s[2:3], s[22:23], 3
	s_add_u32 s2, s12, s2
	s_addc_u32 s3, s13, s3
	s_load_dwordx2 s[2:3], s[2:3], 0x0
	s_waitcnt lgkmcnt(0)
	s_sub_u32 s36, s2, s8
	s_subb_u32 s37, s3, s9
	v_cmp_gt_i64_e32 vcc, s[36:37], v[0:1]
	s_and_saveexec_b64 s[38:39], vcc
	s_cbranch_execz .LBB53_56
; %bb.49:
	s_not_b64 s[40:41], s[8:9]
	s_add_u32 s2, s2, s40
	s_addc_u32 s3, s3, s41
	v_mov_b32_e32 v3, s3
	v_sub_co_u32_e32 v2, vcc, s2, v0
	v_subbrev_co_u32_e32 v3, vcc, 0, v3, vcc
	s_mov_b64 s[2:3], 0xff
	v_cmp_lt_u64_e32 vcc, s[2:3], v[2:3]
	s_mov_b64 s[2:3], -1
	v_pk_mov_b32 v[10:11], 0, 0
	s_and_saveexec_b64 s[40:41], vcc
	s_cbranch_execz .LBB53_53
; %bb.50:
	v_lshrrev_b64 v[2:3], 8, v[2:3]
	v_add_co_u32_e32 v2, vcc, 1, v2
	v_addc_co_u32_e32 v3, vcc, 0, v3, vcc
	v_mov_b32_e32 v12, s9
	v_add_co_u32_e32 v13, vcc, s8, v0
	v_addc_co_u32_e32 v12, vcc, 0, v12, vcc
	v_mov_b32_e32 v14, s29
	v_subrev_co_u32_e32 v13, vcc, s28, v13
	v_subb_co_u32_e32 v12, vcc, v12, v14, vcc
	v_mov_b32_e32 v14, s17
	v_add_co_u32_e32 v13, vcc, s16, v13
	v_addc_co_u32_e32 v14, vcc, v12, v14, vcc
	s_movk_i32 s2, 0x100
	v_and_b32_e32 v4, -2, v2
	v_mov_b32_e32 v5, v3
	v_add_co_u32_e32 v12, vcc, s2, v13
	s_mov_b32 s35, s33
	v_mov_b32_e32 v10, v0
	v_mov_b32_e32 v11, v0
	s_mov_b64 s[42:43], 0x100
	v_addc_co_u32_e32 v13, vcc, 0, v14, vcc
	s_mov_b64 s[44:45], 0
	v_pk_mov_b32 v[14:15], v[4:5], v[4:5] op_sel:[0,1]
	s_mov_b64 s[46:47], 0
.LBB53_51:                              ; =>This Inner Loop Header: Depth=1
	global_load_sbyte v17, v[12:13], off
	global_load_sbyte v18, v[12:13], off offset:-256
	v_add_lshl_u32 v19, v10, s46, 2
	s_add_u32 s46, s46, 0x200
	v_add_co_u32_e32 v12, vcc, 0x200, v12
	v_add_co_u32_e64 v14, s[2:3], -2, v14
	s_addc_u32 s47, s47, 0
	v_add_lshl_u32 v20, v11, s42, 2
	v_addc_co_u32_e64 v15, s[2:3], -1, v15, s[2:3]
	v_addc_co_u32_e32 v13, vcc, 0, v13, vcc
	s_add_u32 s42, s42, 0x200
	v_cmp_eq_u64_e32 vcc, 0, v[14:15]
	s_addc_u32 s43, s43, 0
	s_or_b64 s[44:45], vcc, s[44:45]
	s_waitcnt vmcnt(1)
	v_mul_lo_u32 v17, s35, v17
	s_waitcnt vmcnt(0)
	v_mul_lo_u32 v18, s33, v18
	ds_write_b32 v19, v18
	ds_write_b32 v20, v17
	s_andn2_b64 exec, exec, s[44:45]
	s_cbranch_execnz .LBB53_51
; %bb.52:
	s_or_b64 exec, exec, s[44:45]
	v_cmp_ne_u64_e32 vcc, v[2:3], v[4:5]
	v_lshlrev_b64 v[10:11], 8, v[4:5]
	s_orn2_b64 s[2:3], vcc, exec
.LBB53_53:
	s_or_b64 exec, exec, s[40:41]
	s_and_b64 exec, exec, s[2:3]
	s_cbranch_execz .LBB53_56
; %bb.54:
	s_sub_u32 s2, s8, s28
	s_subb_u32 s3, s9, 0
	s_add_u32 s35, s16, s2
	s_addc_u32 s40, s17, s3
	v_add_co_u32_e32 v2, vcc, v10, v0
	v_lshlrev_b32_e32 v4, 2, v10
	v_addc_co_u32_e32 v3, vcc, 0, v11, vcc
	v_lshl_add_u32 v4, v0, 2, v4
	s_mov_b64 s[2:3], 0
	v_mov_b32_e32 v5, s40
.LBB53_55:                              ; =>This Inner Loop Header: Depth=1
	v_add_co_u32_e32 v10, vcc, s35, v2
	v_addc_co_u32_e32 v11, vcc, v5, v3, vcc
	global_load_sbyte v10, v[10:11], off
	v_add_co_u32_e32 v2, vcc, 0x100, v2
	v_addc_co_u32_e32 v3, vcc, 0, v3, vcc
	v_cmp_le_i64_e32 vcc, s[36:37], v[2:3]
	s_or_b64 s[2:3], vcc, s[2:3]
	s_waitcnt vmcnt(0)
	v_mul_lo_u32 v10, s33, v10
	ds_write_b32 v4, v10
	v_add_u32_e32 v4, 0x400, v4
	s_andn2_b64 exec, exec, s[2:3]
	s_cbranch_execnz .LBB53_55
.LBB53_56:
	s_or_b64 exec, exec, s[38:39]
	s_andn2_saveexec_b64 s[2:3], s[4:5]
	s_cbranch_execz .LBB53_47
.LBB53_57:
	v_mov_b32_e32 v3, s17
	v_add_co_u32_e32 v2, vcc, s16, v6
	v_addc_co_u32_e32 v3, vcc, v3, v7, vcc
	global_load_sbyte v4, v[2:3], off
	global_load_sbyte v5, v[2:3], off offset:256
	global_load_sbyte v10, v[2:3], off offset:512
	;; [unrolled: 1-line block ×3, first 2 shown]
	s_waitcnt vmcnt(3)
	v_mul_lo_u32 v2, s33, v4
	s_waitcnt vmcnt(2)
	v_mul_lo_u32 v3, s33, v5
	s_waitcnt vmcnt(1)
	v_mul_lo_u32 v4, s33, v10
	s_waitcnt vmcnt(0)
	v_mul_lo_u32 v5, s33, v11
	ds_write2st64_b32 v16, v2, v3 offset1:4
	ds_write2st64_b32 v16, v4, v5 offset0:8 offset1:12
	s_or_b64 exec, exec, s[2:3]
	v_cmp_gt_i64_e32 vcc, s[6:7], v[0:1]
	s_and_saveexec_b64 s[4:5], vcc
	s_cbranch_execz .LBB53_65
.LBB53_58:
	v_not_b32_e32 v3, v0
	v_not_b32_e32 v2, 0
	v_mov_b32_e32 v5, s7
	v_add_co_u32_e32 v4, vcc, s6, v3
	v_addc_co_u32_e32 v5, vcc, v2, v5, vcc
	s_mov_b64 s[2:3], 0x2ff
	v_cmp_lt_u64_e32 vcc, s[2:3], v[4:5]
	s_mov_b64 s[2:3], -1
	v_pk_mov_b32 v[2:3], v[0:1], v[0:1] op_sel:[0,1]
	s_and_saveexec_b64 s[16:17], vcc
	s_cbranch_execz .LBB53_62
; %bb.59:
	v_lshrrev_b64 v[2:3], 8, v[4:5]
	v_add_co_u32_e32 v10, vcc, 1, v2
	v_addc_co_u32_e32 v11, vcc, 0, v3, vcc
	v_or_b32_e32 v2, 0x100, v0
	v_mov_b32_e32 v3, v1
	v_and_b32_e32 v12, -4, v10
	v_mov_b32_e32 v13, v11
	v_pk_mov_b32 v[4:5], v[2:3], v[2:3] op_sel:[0,1]
	s_mov_b64 s[36:37], 0
	v_mov_b32_e32 v17, 0x1000
	v_mov_b32_e32 v18, 0
	v_pk_mov_b32 v[14:15], v[12:13], v[12:13] op_sel:[0,1]
	v_pk_mov_b32 v[2:3], v[0:1], v[0:1] op_sel:[0,1]
.LBB53_60:                              ; =>This Inner Loop Header: Depth=1
	v_lshl_add_u32 v20, v4, 2, v17
	v_add_co_u32_e32 v4, vcc, 0x400, v4
	v_add_co_u32_e64 v14, s[2:3], -4, v14
	v_addc_co_u32_e32 v5, vcc, 0, v5, vcc
	v_addc_co_u32_e64 v15, s[2:3], -1, v15, s[2:3]
	v_lshl_add_u32 v19, v2, 2, v17
	v_add_co_u32_e32 v2, vcc, 0x400, v2
	v_cmp_eq_u64_e64 s[2:3], 0, v[14:15]
	s_or_b64 s[36:37], s[2:3], s[36:37]
	v_addc_co_u32_e32 v3, vcc, 0, v3, vcc
	ds_write_b32 v19, v18
	ds_write_b32 v20, v18
	ds_write_b32 v19, v18 offset:2048
	ds_write_b32 v20, v18 offset:2048
	s_andn2_b64 exec, exec, s[36:37]
	s_cbranch_execnz .LBB53_60
; %bb.61:
	s_or_b64 exec, exec, s[36:37]
	v_lshlrev_b64 v[2:3], 8, v[12:13]
	v_cmp_ne_u64_e32 vcc, v[10:11], v[12:13]
	v_or_b32_e32 v3, 0, v3
	v_or_b32_e32 v2, v2, v0
	s_orn2_b64 s[2:3], vcc, exec
.LBB53_62:
	s_or_b64 exec, exec, s[16:17]
	s_and_b64 exec, exec, s[2:3]
	s_cbranch_execz .LBB53_65
; %bb.63:
	v_mov_b32_e32 v4, 0x1000
	v_lshl_add_u32 v4, v2, 2, v4
	s_mov_b64 s[2:3], 0
	v_mov_b32_e32 v5, 0
.LBB53_64:                              ; =>This Inner Loop Header: Depth=1
	v_add_co_u32_e32 v2, vcc, 0x100, v2
	v_addc_co_u32_e32 v3, vcc, 0, v3, vcc
	v_cmp_le_i64_e32 vcc, s[6:7], v[2:3]
	ds_write_b32 v4, v5
	s_or_b64 s[2:3], vcc, s[2:3]
	v_add_u32_e32 v4, 0x400, v4
	s_andn2_b64 exec, exec, s[2:3]
	s_cbranch_execnz .LBB53_64
.LBB53_65:
	s_or_b64 exec, exec, s[4:5]
	s_sub_u32 s4, s22, s6
	v_pk_mov_b32 v[2:3], s[6:7], s[6:7] op_sel:[0,1]
	s_subb_u32 s5, s23, s7
	v_cmp_ge_i64_e32 vcc, s[22:23], v[2:3]
	s_and_b64 s[2:3], vcc, exec
	s_cselect_b32 s5, s5, 0
	s_cselect_b32 s4, s4, 0
	s_waitcnt lgkmcnt(0)
	s_barrier
	s_and_saveexec_b64 s[2:3], s[0:1]
	s_xor_b64 s[16:17], exec, s[2:3]
	s_cbranch_execz .LBB53_82
; %bb.66:
	s_lshl_b64 s[0:1], s[22:23], 3
	s_add_u32 s0, s12, s0
	s_addc_u32 s1, s13, s1
	s_load_dwordx2 s[0:1], s[0:1], 0x0
	s_waitcnt lgkmcnt(0)
	s_sub_u32 s36, s0, s8
	s_subb_u32 s37, s1, s9
	v_cmp_gt_i64_e32 vcc, s[36:37], v[0:1]
	s_and_saveexec_b64 s[38:39], vcc
	s_cbranch_execz .LBB53_81
; %bb.67:
	s_add_u32 s40, s22, -1
	s_addc_u32 s41, s23, -1
	s_add_u32 s2, s22, -2
	s_addc_u32 s3, s23, -1
	v_pk_mov_b32 v[2:3], s[20:21], s[20:21] op_sel:[0,1]
	s_cmp_lg_u64 s[2:3], s[20:21]
	v_cmp_gt_i64_e32 vcc, s[40:41], v[2:3]
	s_cselect_b64 s[2:3], -1, 0
	s_and_b64 s[2:3], vcc, s[2:3]
	s_sub_u32 s42, s0, s28
	v_cndmask_b32_e64 v2, 0, 1, s[2:3]
	s_subb_u32 s43, s1, 0
	s_mov_b64 s[44:45], 0
	v_cmp_ne_u32_e64 s[0:1], 1, v2
	v_mov_b32_e32 v12, s13
	v_mov_b32_e32 v13, s29
	;; [unrolled: 1-line block ×4, first 2 shown]
	s_mov_b64 s[46:47], 0
	s_branch .LBB53_70
.LBB53_68:                              ;   in Loop: Header=BB53_70 Depth=1
	s_or_b64 exec, exec, s[2:3]
.LBB53_69:                              ;   in Loop: Header=BB53_70 Depth=1
	s_or_b64 exec, exec, s[48:49]
	v_mov_b32_e32 v4, s19
	v_add_co_u32_e32 v2, vcc, s18, v2
	v_addc_co_u32_e32 v3, vcc, v4, v3, vcc
	global_load_sbyte v4, v[2:3], off
	s_add_u32 s46, s46, 0x100
	s_addc_u32 s47, s47, 0
	v_mov_b32_e32 v3, s47
	v_add_co_u32_e32 v2, vcc, s46, v0
	v_addc_co_u32_e32 v3, vcc, 0, v3, vcc
	v_cmp_le_i64_e32 vcc, s[36:37], v[2:3]
	v_lshlrev_b32_e32 v5, 2, v17
	s_or_b64 s[44:45], vcc, s[44:45]
	s_waitcnt vmcnt(0) lgkmcnt(0)
	v_mul_lo_u32 v2, v8, v4
	ds_write_b32 v5, v2
	s_andn2_b64 exec, exec, s[44:45]
	s_cbranch_execz .LBB53_81
.LBB53_70:                              ; =>This Loop Header: Depth=1
                                        ;     Child Loop BB53_72 Depth 2
	v_mov_b32_e32 v2, s47
	v_add_co_u32_e32 v4, vcc, s46, v6
	v_addc_co_u32_e32 v5, vcc, v2, v7, vcc
	s_and_b64 vcc, exec, s[0:1]
	v_pk_mov_b32 v[8:9], s[20:21], s[20:21] op_sel:[0,1]
	v_pk_mov_b32 v[10:11], s[40:41], s[40:41] op_sel:[0,1]
	s_cbranch_vccnz .LBB53_74
; %bb.71:                               ;   in Loop: Header=BB53_70 Depth=1
	s_mov_b64 s[48:49], 0
	v_pk_mov_b32 v[8:9], s[20:21], s[20:21] op_sel:[0,1]
	v_pk_mov_b32 v[10:11], s[40:41], s[40:41] op_sel:[0,1]
.LBB53_72:                              ;   Parent Loop BB53_70 Depth=1
                                        ; =>  This Inner Loop Header: Depth=2
	v_add_co_u32_e32 v2, vcc, v10, v8
	v_addc_co_u32_e32 v3, vcc, v11, v9, vcc
	v_lshrrev_b32_e32 v18, 31, v3
	v_add_co_u32_e32 v2, vcc, v2, v18
	v_addc_co_u32_e32 v3, vcc, 0, v3, vcc
	v_ashrrev_i64 v[2:3], 1, v[2:3]
	v_lshlrev_b64 v[18:19], 3, v[2:3]
	v_mov_b32_e32 v17, s13
	v_add_co_u32_e32 v18, vcc, s12, v18
	v_addc_co_u32_e32 v19, vcc, v17, v19, vcc
	global_load_dwordx2 v[18:19], v[18:19], off
	v_mov_b32_e32 v17, s29
	s_waitcnt vmcnt(0)
	v_subrev_co_u32_e32 v18, vcc, s28, v18
	v_subb_co_u32_e32 v19, vcc, v19, v17, vcc
	v_cmp_gt_i64_e32 vcc, v[18:19], v[4:5]
	v_cndmask_b32_e32 v10, v10, v2, vcc
	v_cndmask_b32_e32 v11, v11, v3, vcc
	;; [unrolled: 1-line block ×3, first 2 shown]
	v_add_co_u32_e64 v2, s[2:3], -1, v10
	v_cndmask_b32_e32 v9, v3, v9, vcc
	v_addc_co_u32_e64 v3, s[2:3], -1, v11, s[2:3]
	v_cmp_ge_i64_e32 vcc, v[8:9], v[10:11]
	v_cmp_eq_u64_e64 s[2:3], v[8:9], v[2:3]
	s_or_b64 s[2:3], vcc, s[2:3]
	s_and_b64 s[2:3], exec, s[2:3]
	s_or_b64 s[48:49], s[2:3], s[48:49]
	s_andn2_b64 exec, exec, s[48:49]
	s_cbranch_execnz .LBB53_72
; %bb.73:                               ;   in Loop: Header=BB53_70 Depth=1
	s_or_b64 exec, exec, s[48:49]
.LBB53_74:                              ;   in Loop: Header=BB53_70 Depth=1
	v_lshlrev_b64 v[2:3], 3, v[10:11]
	v_add_co_u32_e32 v2, vcc, s12, v2
	v_addc_co_u32_e32 v3, vcc, v12, v3, vcc
	v_lshlrev_b64 v[18:19], 3, v[4:5]
	global_load_dwordx2 v[2:3], v[2:3], off
	v_add_co_u32_e32 v18, vcc, s14, v18
	v_addc_co_u32_e32 v19, vcc, v14, v19, vcc
	global_load_dwordx2 v[18:19], v[18:19], off
	v_add_co_u32_e32 v17, vcc, s46, v0
	v_cmp_le_i64_e32 vcc, s[42:43], v[4:5]
	s_waitcnt vmcnt(1)
	v_subrev_co_u32_e64 v20, s[2:3], s28, v2
	v_subb_co_u32_e64 v21, s[2:3], v3, v13, s[2:3]
	s_waitcnt vmcnt(0)
	v_subrev_co_u32_e64 v2, s[2:3], s28, v18
	v_subb_co_u32_e64 v3, s[2:3], v19, v13, s[2:3]
	v_cmp_gt_i64_e64 s[2:3], v[20:21], v[4:5]
	v_cndmask_b32_e64 v5, v11, v9, s[2:3]
	v_cndmask_b32_e64 v4, v10, v8, s[2:3]
	v_cmp_eq_u64_e64 s[2:3], v[2:3], v[4:5]
	s_or_b64 s[2:3], s[2:3], vcc
	v_lshlrev_b32_e32 v9, 2, v17
                                        ; implicit-def: $vgpr8
	s_and_saveexec_b64 s[48:49], s[2:3]
	s_xor_b64 s[2:3], exec, s[48:49]
	s_cbranch_execz .LBB53_76
; %bb.75:                               ;   in Loop: Header=BB53_70 Depth=1
	ds_read_b32 v8, v9
                                        ; implicit-def: $vgpr9
                                        ; implicit-def: $vgpr4_vgpr5
.LBB53_76:                              ;   in Loop: Header=BB53_70 Depth=1
	s_andn2_saveexec_b64 s[48:49], s[2:3]
	s_cbranch_execz .LBB53_69
; %bb.77:                               ;   in Loop: Header=BB53_70 Depth=1
	v_cmp_gt_i64_e32 vcc, s[4:5], v[2:3]
	v_cmp_le_i64_e64 s[2:3], s[22:23], v[2:3]
	s_or_b64 s[2:3], vcc, s[2:3]
                                        ; implicit-def: $vgpr8
	s_and_saveexec_b64 s[50:51], s[2:3]
	s_xor_b64 s[2:3], exec, s[50:51]
	s_cbranch_execz .LBB53_79
; %bb.78:                               ;   in Loop: Header=BB53_70 Depth=1
	s_waitcnt lgkmcnt(0)
	v_mov_b32_e32 v8, s19
	v_add_co_u32_e32 v4, vcc, s18, v4
	v_addc_co_u32_e32 v5, vcc, v8, v5, vcc
	global_load_sbyte v10, v[4:5], off
	ds_read_b32 v8, v9
	v_lshlrev_b64 v[4:5], 2, v[2:3]
	v_mov_b32_e32 v11, s25
	v_add_co_u32_e32 v4, vcc, s24, v4
	v_addc_co_u32_e32 v5, vcc, v11, v5, vcc
	s_waitcnt vmcnt(0) lgkmcnt(0)
	v_mul_lo_u32 v9, v8, v10
	global_atomic_add v[4:5], v9, off
                                        ; implicit-def: $vgpr9
                                        ; implicit-def: $vgpr4_vgpr5
.LBB53_79:                              ;   in Loop: Header=BB53_70 Depth=1
	s_andn2_saveexec_b64 s[2:3], s[2:3]
	s_cbranch_execz .LBB53_68
; %bb.80:                               ;   in Loop: Header=BB53_70 Depth=1
	s_waitcnt lgkmcnt(0)
	v_mov_b32_e32 v8, s19
	v_add_co_u32_e32 v4, vcc, s18, v4
	v_addc_co_u32_e32 v5, vcc, v8, v5, vcc
	global_load_sbyte v4, v[4:5], off
	ds_read_b32 v8, v9
	v_subrev_u32_e32 v5, s4, v2
	v_lshl_add_u32 v5, v5, 2, v15
	s_waitcnt vmcnt(0) lgkmcnt(0)
	v_mul_lo_u32 v4, v8, v4
	ds_add_u32 v5, v4
	s_branch .LBB53_68
.LBB53_81:
	s_or_b64 exec, exec, s[38:39]
                                        ; implicit-def: $vgpr8_vgpr9
                                        ; implicit-def: $vgpr6
.LBB53_82:
	s_andn2_saveexec_b64 s[16:17], s[16:17]
	s_cbranch_execz .LBB53_124
; %bb.83:
	s_add_u32 s36, s22, -1
	s_addc_u32 s37, s23, -1
	s_add_u32 s0, s22, -2
	s_addc_u32 s1, s23, -1
	v_pk_mov_b32 v[4:5], s[20:21], s[20:21] op_sel:[0,1]
	s_cmp_eq_u64 s[0:1], s[20:21]
	v_cmp_le_i64_e32 vcc, s[36:37], v[4:5]
	s_cselect_b64 s[0:1], -1, 0
	s_or_b64 s[2:3], vcc, s[0:1]
	s_and_b64 vcc, exec, s[2:3]
	v_pk_mov_b32 v[10:11], s[36:37], s[36:37] op_sel:[0,1]
	s_cbranch_vccnz .LBB53_87
; %bb.84:
	s_mov_b64 s[38:39], 0
	v_pk_mov_b32 v[4:5], s[20:21], s[20:21] op_sel:[0,1]
	v_pk_mov_b32 v[10:11], s[36:37], s[36:37] op_sel:[0,1]
	v_mov_b32_e32 v2, s13
	v_mov_b32_e32 v3, s29
.LBB53_85:                              ; =>This Inner Loop Header: Depth=1
	v_add_co_u32_e32 v12, vcc, v10, v4
	v_addc_co_u32_e32 v13, vcc, v11, v5, vcc
	v_lshrrev_b32_e32 v14, 31, v13
	v_add_co_u32_e32 v12, vcc, v12, v14
	v_addc_co_u32_e32 v13, vcc, 0, v13, vcc
	v_ashrrev_i64 v[12:13], 1, v[12:13]
	v_lshlrev_b64 v[14:15], 3, v[12:13]
	v_add_co_u32_e32 v14, vcc, s12, v14
	v_addc_co_u32_e32 v15, vcc, v2, v15, vcc
	global_load_dwordx2 v[14:15], v[14:15], off
	s_waitcnt vmcnt(0)
	v_subrev_co_u32_e32 v14, vcc, s28, v14
	v_subb_co_u32_e32 v15, vcc, v15, v3, vcc
	v_cmp_gt_i64_e32 vcc, v[14:15], v[6:7]
	v_cndmask_b32_e32 v10, v10, v12, vcc
	v_cndmask_b32_e32 v11, v11, v13, vcc
	v_cndmask_b32_e32 v4, v12, v4, vcc
	v_add_co_u32_e64 v12, s[0:1], -1, v10
	v_cndmask_b32_e32 v5, v13, v5, vcc
	v_addc_co_u32_e64 v13, s[0:1], -1, v11, s[0:1]
	v_cmp_ge_i64_e32 vcc, v[4:5], v[10:11]
	v_cmp_eq_u64_e64 s[0:1], v[4:5], v[12:13]
	s_or_b64 s[0:1], vcc, s[0:1]
	s_and_b64 s[0:1], exec, s[0:1]
	s_or_b64 s[38:39], s[0:1], s[38:39]
	s_andn2_b64 exec, exec, s[38:39]
	s_cbranch_execnz .LBB53_85
; %bb.86:
	s_or_b64 exec, exec, s[38:39]
.LBB53_87:
	v_lshlrev_b64 v[2:3], 3, v[10:11]
	v_mov_b32_e32 v12, s13
	v_add_co_u32_e32 v2, vcc, s12, v2
	v_addc_co_u32_e32 v3, vcc, v12, v3, vcc
	global_load_dwordx2 v[12:13], v[2:3], off
	v_lshlrev_b64 v[2:3], 3, v[6:7]
	v_mov_b32_e32 v14, s15
	v_add_co_u32_e32 v2, vcc, s14, v2
	v_addc_co_u32_e32 v3, vcc, v14, v3, vcc
	global_load_dwordx2 v[14:15], v[2:3], off
	v_mov_b32_e32 v17, s29
	s_xor_b64 s[2:3], s[2:3], -1
	s_lshl_b64 s[0:1], s[22:23], 3
	s_add_u32 s14, s12, s0
	s_addc_u32 s15, s13, s1
	s_waitcnt vmcnt(1)
	v_subrev_co_u32_e32 v12, vcc, s28, v12
	v_subb_co_u32_e32 v13, vcc, v13, v17, vcc
	v_cmp_gt_i64_e32 vcc, v[12:13], v[6:7]
	v_cndmask_b32_e32 v11, v11, v5, vcc
	v_cndmask_b32_e32 v10, v10, v4, vcc
	s_waitcnt vmcnt(0)
	v_subrev_co_u32_e32 v4, vcc, s28, v14
	v_subb_co_u32_e32 v5, vcc, v15, v17, vcc
	v_cmp_ne_u64_e32 vcc, v[4:5], v[10:11]
	s_and_saveexec_b64 s[38:39], vcc
	s_cbranch_execz .LBB53_93
; %bb.88:
	s_load_dwordx2 s[0:1], s[14:15], 0x0
	s_waitcnt lgkmcnt(0)
	s_sub_u32 s0, s0, s28
	s_subb_u32 s1, s1, 0
	v_cmp_gt_i64_e32 vcc, s[0:1], v[6:7]
	s_and_b64 exec, exec, vcc
	s_cbranch_execz .LBB53_93
; %bb.89:
	v_cmp_gt_i64_e32 vcc, s[4:5], v[4:5]
	v_cmp_le_i64_e64 s[0:1], s[22:23], v[4:5]
	s_or_b64 s[0:1], vcc, s[0:1]
	s_and_saveexec_b64 s[40:41], s[0:1]
	s_xor_b64 s[0:1], exec, s[40:41]
	s_cbranch_execz .LBB53_91
; %bb.90:
	v_mov_b32_e32 v12, s19
	v_add_co_u32_e32 v10, vcc, s18, v10
	v_addc_co_u32_e32 v11, vcc, v12, v11, vcc
	global_load_sbyte v12, v[10:11], off
	ds_read_b32 v14, v16
	v_lshlrev_b64 v[10:11], 2, v[4:5]
	v_mov_b32_e32 v13, s25
	v_add_co_u32_e32 v10, vcc, s24, v10
	v_addc_co_u32_e32 v11, vcc, v13, v11, vcc
	s_waitcnt vmcnt(0) lgkmcnt(0)
	v_mul_lo_u32 v12, v14, v12
	global_atomic_add v[10:11], v12, off
                                        ; implicit-def: $vgpr10_vgpr11
.LBB53_91:
	s_andn2_saveexec_b64 s[0:1], s[0:1]
	s_cbranch_execz .LBB53_93
; %bb.92:
	v_mov_b32_e32 v12, s19
	v_add_co_u32_e32 v10, vcc, s18, v10
	v_addc_co_u32_e32 v11, vcc, v12, v11, vcc
	global_load_sbyte v10, v[10:11], off
	ds_read_b32 v11, v16
	v_subrev_u32_e32 v12, s4, v4
	v_mov_b32_e32 v13, 0x1000
	v_lshl_add_u32 v12, v12, 2, v13
	s_waitcnt vmcnt(0) lgkmcnt(0)
	v_mul_lo_u32 v10, v11, v10
	ds_add_u32 v12, v10
.LBB53_93:
	s_or_b64 exec, exec, s[38:39]
	v_mov_b32_e32 v10, s19
	v_add_co_u32_e32 v4, vcc, s18, v4
	v_addc_co_u32_e32 v5, vcc, v10, v5, vcc
	global_load_sbyte v12, v[4:5], off
	ds_read_b32 v13, v16
	v_add_co_u32_e32 v4, vcc, 0x100, v6
	v_cndmask_b32_e64 v14, 0, 1, s[2:3]
	v_addc_co_u32_e32 v5, vcc, 0, v7, vcc
	v_pk_mov_b32 v[10:11], s[20:21], s[20:21] op_sel:[0,1]
	v_cmp_ne_u32_e64 s[0:1], 1, v14
	s_andn2_b64 vcc, exec, s[2:3]
	s_waitcnt vmcnt(0) lgkmcnt(0)
	v_mul_lo_u32 v12, v13, v12
	ds_write_b32 v16, v12
	v_pk_mov_b32 v[12:13], s[36:37], s[36:37] op_sel:[0,1]
	s_cbranch_vccnz .LBB53_97
; %bb.94:
	s_mov_b64 s[38:39], 0
	v_pk_mov_b32 v[10:11], s[20:21], s[20:21] op_sel:[0,1]
	v_pk_mov_b32 v[12:13], s[36:37], s[36:37] op_sel:[0,1]
	v_mov_b32_e32 v14, s13
	v_mov_b32_e32 v15, s29
.LBB53_95:                              ; =>This Inner Loop Header: Depth=1
	v_add_co_u32_e32 v17, vcc, v12, v10
	v_addc_co_u32_e32 v19, vcc, v13, v11, vcc
	v_lshrrev_b32_e32 v18, 31, v19
	v_add_co_u32_e32 v18, vcc, v17, v18
	v_addc_co_u32_e32 v19, vcc, 0, v19, vcc
	v_ashrrev_i64 v[18:19], 1, v[18:19]
	v_lshlrev_b64 v[20:21], 3, v[18:19]
	v_add_co_u32_e32 v20, vcc, s12, v20
	v_addc_co_u32_e32 v21, vcc, v14, v21, vcc
	global_load_dwordx2 v[20:21], v[20:21], off
	s_waitcnt vmcnt(0)
	v_subrev_co_u32_e32 v20, vcc, s28, v20
	v_subb_co_u32_e32 v21, vcc, v21, v15, vcc
	v_cmp_gt_i64_e32 vcc, v[20:21], v[4:5]
	v_cndmask_b32_e32 v12, v12, v18, vcc
	v_cndmask_b32_e32 v13, v13, v19, vcc
	v_cndmask_b32_e32 v10, v18, v10, vcc
	v_add_co_u32_e64 v18, s[2:3], -1, v12
	v_cndmask_b32_e32 v11, v19, v11, vcc
	v_addc_co_u32_e64 v19, s[2:3], -1, v13, s[2:3]
	v_cmp_ge_i64_e32 vcc, v[10:11], v[12:13]
	v_cmp_eq_u64_e64 s[2:3], v[10:11], v[18:19]
	s_or_b64 s[2:3], vcc, s[2:3]
	s_and_b64 s[2:3], exec, s[2:3]
	s_or_b64 s[38:39], s[2:3], s[38:39]
	s_andn2_b64 exec, exec, s[38:39]
	s_cbranch_execnz .LBB53_95
; %bb.96:
	s_or_b64 exec, exec, s[38:39]
.LBB53_97:
	v_lshlrev_b64 v[14:15], 3, v[12:13]
	v_mov_b32_e32 v17, s13
	v_add_co_u32_e32 v14, vcc, s12, v14
	v_addc_co_u32_e32 v15, vcc, v17, v15, vcc
	global_load_dwordx2 v[18:19], v[14:15], off
	global_load_dwordx2 v[20:21], v[2:3], off offset:2048
	v_mov_b32_e32 v17, s29
	s_waitcnt vmcnt(1)
	v_subrev_co_u32_e32 v14, vcc, s28, v18
	v_subb_co_u32_e32 v15, vcc, v19, v17, vcc
	v_cmp_gt_i64_e32 vcc, v[14:15], v[4:5]
	v_cndmask_b32_e32 v13, v13, v11, vcc
	v_cndmask_b32_e32 v12, v12, v10, vcc
	s_waitcnt vmcnt(0)
	v_subrev_co_u32_e32 v10, vcc, s28, v20
	v_subb_co_u32_e32 v11, vcc, v21, v17, vcc
	v_cmp_ne_u64_e32 vcc, v[10:11], v[12:13]
	s_and_saveexec_b64 s[38:39], vcc
	s_cbranch_execz .LBB53_103
; %bb.98:
	s_load_dwordx2 s[2:3], s[14:15], 0x0
	s_waitcnt lgkmcnt(0)
	s_sub_u32 s2, s2, s28
	s_subb_u32 s3, s3, 0
	v_cmp_gt_i64_e32 vcc, s[2:3], v[4:5]
	s_and_b64 exec, exec, vcc
	s_cbranch_execz .LBB53_103
; %bb.99:
	v_cmp_gt_i64_e32 vcc, s[4:5], v[10:11]
	v_cmp_le_i64_e64 s[2:3], s[22:23], v[10:11]
	s_or_b64 s[2:3], vcc, s[2:3]
	s_and_saveexec_b64 s[40:41], s[2:3]
	s_xor_b64 s[2:3], exec, s[40:41]
	s_cbranch_execz .LBB53_101
; %bb.100:
	v_mov_b32_e32 v5, s19
	v_add_co_u32_e32 v4, vcc, s18, v12
	v_addc_co_u32_e32 v5, vcc, v5, v13, vcc
	global_load_sbyte v12, v[4:5], off
	ds_read_b32 v14, v16 offset:1024
	v_lshlrev_b64 v[4:5], 2, v[10:11]
	v_mov_b32_e32 v13, s25
	v_add_co_u32_e32 v4, vcc, s24, v4
	v_addc_co_u32_e32 v5, vcc, v13, v5, vcc
	s_waitcnt vmcnt(0) lgkmcnt(0)
	v_mul_lo_u32 v12, v14, v12
	global_atomic_add v[4:5], v12, off
                                        ; implicit-def: $vgpr12_vgpr13
.LBB53_101:
	s_andn2_saveexec_b64 s[2:3], s[2:3]
	s_cbranch_execz .LBB53_103
; %bb.102:
	v_mov_b32_e32 v5, s19
	v_add_co_u32_e32 v4, vcc, s18, v12
	v_addc_co_u32_e32 v5, vcc, v5, v13, vcc
	global_load_sbyte v4, v[4:5], off
	ds_read_b32 v5, v16 offset:1024
	v_subrev_u32_e32 v12, s4, v10
	v_mov_b32_e32 v13, 0x1000
	v_lshl_add_u32 v12, v12, 2, v13
	s_waitcnt vmcnt(0) lgkmcnt(0)
	v_mul_lo_u32 v4, v5, v4
	ds_add_u32 v12, v4
.LBB53_103:
	s_or_b64 exec, exec, s[38:39]
	v_mov_b32_e32 v5, s19
	v_add_co_u32_e32 v4, vcc, s18, v10
	v_addc_co_u32_e32 v5, vcc, v5, v11, vcc
	global_load_sbyte v12, v[4:5], off
	ds_read_b32 v13, v16 offset:1024
	v_add_co_u32_e32 v4, vcc, 0x200, v6
	v_addc_co_u32_e32 v5, vcc, 0, v7, vcc
	v_pk_mov_b32 v[10:11], s[20:21], s[20:21] op_sel:[0,1]
	s_and_b64 vcc, exec, s[0:1]
	s_waitcnt vmcnt(0) lgkmcnt(0)
	v_mul_lo_u32 v6, v13, v12
	ds_write_b32 v16, v6 offset:1024
	v_pk_mov_b32 v[6:7], s[36:37], s[36:37] op_sel:[0,1]
	s_cbranch_vccnz .LBB53_107
; %bb.104:
	s_mov_b64 s[38:39], 0
	v_pk_mov_b32 v[10:11], s[20:21], s[20:21] op_sel:[0,1]
	v_pk_mov_b32 v[6:7], s[36:37], s[36:37] op_sel:[0,1]
	v_mov_b32_e32 v12, s13
	v_mov_b32_e32 v13, s29
.LBB53_105:                             ; =>This Inner Loop Header: Depth=1
	v_add_co_u32_e32 v14, vcc, v6, v10
	v_addc_co_u32_e32 v15, vcc, v7, v11, vcc
	v_lshrrev_b32_e32 v17, 31, v15
	v_add_co_u32_e32 v14, vcc, v14, v17
	v_addc_co_u32_e32 v15, vcc, 0, v15, vcc
	v_ashrrev_i64 v[14:15], 1, v[14:15]
	v_lshlrev_b64 v[18:19], 3, v[14:15]
	v_add_co_u32_e32 v18, vcc, s12, v18
	v_addc_co_u32_e32 v19, vcc, v12, v19, vcc
	global_load_dwordx2 v[18:19], v[18:19], off
	s_waitcnt vmcnt(0)
	v_subrev_co_u32_e32 v18, vcc, s28, v18
	v_subb_co_u32_e32 v19, vcc, v19, v13, vcc
	v_cmp_gt_i64_e32 vcc, v[18:19], v[4:5]
	v_cndmask_b32_e32 v6, v6, v14, vcc
	v_cndmask_b32_e32 v7, v7, v15, vcc
	;; [unrolled: 1-line block ×3, first 2 shown]
	v_add_co_u32_e64 v14, s[2:3], -1, v6
	v_cndmask_b32_e32 v11, v15, v11, vcc
	v_addc_co_u32_e64 v15, s[2:3], -1, v7, s[2:3]
	v_cmp_ge_i64_e32 vcc, v[10:11], v[6:7]
	v_cmp_eq_u64_e64 s[2:3], v[10:11], v[14:15]
	s_or_b64 s[2:3], vcc, s[2:3]
	s_and_b64 s[2:3], exec, s[2:3]
	s_or_b64 s[38:39], s[2:3], s[38:39]
	s_andn2_b64 exec, exec, s[38:39]
	s_cbranch_execnz .LBB53_105
; %bb.106:
	s_or_b64 exec, exec, s[38:39]
.LBB53_107:
	v_lshlrev_b64 v[12:13], 3, v[6:7]
	v_mov_b32_e32 v14, s13
	v_add_co_u32_e32 v12, vcc, s12, v12
	v_addc_co_u32_e32 v13, vcc, v14, v13, vcc
	global_load_dwordx2 v[12:13], v[12:13], off
	v_add_co_u32_e32 v14, vcc, 0x1000, v2
	v_addc_co_u32_e32 v15, vcc, 0, v3, vcc
	global_load_dwordx2 v[14:15], v[14:15], off
	v_mov_b32_e32 v17, s29
	s_waitcnt vmcnt(1)
	v_subrev_co_u32_e32 v12, vcc, s28, v12
	v_subb_co_u32_e32 v13, vcc, v13, v17, vcc
	v_cmp_gt_i64_e32 vcc, v[12:13], v[4:5]
	v_cndmask_b32_e32 v11, v7, v11, vcc
	v_cndmask_b32_e32 v10, v6, v10, vcc
	s_waitcnt vmcnt(0)
	v_subrev_co_u32_e32 v6, vcc, s28, v14
	v_subb_co_u32_e32 v7, vcc, v15, v17, vcc
	v_cmp_ne_u64_e32 vcc, v[6:7], v[10:11]
	s_and_saveexec_b64 s[38:39], vcc
	s_cbranch_execz .LBB53_113
; %bb.108:
	s_load_dwordx2 s[2:3], s[14:15], 0x0
	s_waitcnt lgkmcnt(0)
	s_sub_u32 s2, s2, s28
	s_subb_u32 s3, s3, 0
	v_cmp_gt_i64_e32 vcc, s[2:3], v[4:5]
	s_and_b64 exec, exec, vcc
	s_cbranch_execz .LBB53_113
; %bb.109:
	v_cmp_gt_i64_e32 vcc, s[4:5], v[6:7]
	v_cmp_le_i64_e64 s[2:3], s[22:23], v[6:7]
	s_or_b64 s[2:3], vcc, s[2:3]
	s_and_saveexec_b64 s[40:41], s[2:3]
	s_xor_b64 s[2:3], exec, s[40:41]
	s_cbranch_execz .LBB53_111
; %bb.110:
	v_mov_b32_e32 v5, s19
	v_add_co_u32_e32 v4, vcc, s18, v10
	v_addc_co_u32_e32 v5, vcc, v5, v11, vcc
	global_load_sbyte v10, v[4:5], off
	ds_read_b32 v12, v16 offset:2048
	v_lshlrev_b64 v[4:5], 2, v[6:7]
	v_mov_b32_e32 v11, s25
	v_add_co_u32_e32 v4, vcc, s24, v4
	v_addc_co_u32_e32 v5, vcc, v11, v5, vcc
	s_waitcnt vmcnt(0) lgkmcnt(0)
	v_mul_lo_u32 v10, v12, v10
	global_atomic_add v[4:5], v10, off
                                        ; implicit-def: $vgpr10_vgpr11
.LBB53_111:
	s_andn2_saveexec_b64 s[2:3], s[2:3]
	s_cbranch_execz .LBB53_113
; %bb.112:
	v_mov_b32_e32 v5, s19
	v_add_co_u32_e32 v4, vcc, s18, v10
	v_addc_co_u32_e32 v5, vcc, v5, v11, vcc
	global_load_sbyte v4, v[4:5], off
	ds_read_b32 v5, v16 offset:2048
	v_subrev_u32_e32 v10, s4, v6
	v_mov_b32_e32 v11, 0x1000
	v_lshl_add_u32 v10, v10, 2, v11
	s_waitcnt vmcnt(0) lgkmcnt(0)
	v_mul_lo_u32 v4, v5, v4
	ds_add_u32 v10, v4
.LBB53_113:
	s_or_b64 exec, exec, s[38:39]
	v_mov_b32_e32 v5, s19
	v_add_co_u32_e32 v4, vcc, s18, v6
	v_addc_co_u32_e32 v5, vcc, v5, v7, vcc
	global_load_sbyte v6, v[4:5], off
	ds_read_b32 v7, v16 offset:2048
	s_and_b64 vcc, exec, s[0:1]
	v_pk_mov_b32 v[4:5], s[20:21], s[20:21] op_sel:[0,1]
	s_waitcnt vmcnt(0) lgkmcnt(0)
	v_mul_lo_u32 v6, v7, v6
	ds_write_b32 v16, v6 offset:2048
	v_pk_mov_b32 v[6:7], s[36:37], s[36:37] op_sel:[0,1]
	s_cbranch_vccnz .LBB53_117
; %bb.114:
	s_mov_b64 s[2:3], 0
	v_pk_mov_b32 v[4:5], s[20:21], s[20:21] op_sel:[0,1]
	v_pk_mov_b32 v[6:7], s[36:37], s[36:37] op_sel:[0,1]
	v_mov_b32_e32 v10, s13
	v_mov_b32_e32 v11, s29
.LBB53_115:                             ; =>This Inner Loop Header: Depth=1
	v_add_co_u32_e32 v12, vcc, v6, v4
	v_addc_co_u32_e32 v13, vcc, v7, v5, vcc
	v_lshrrev_b32_e32 v14, 31, v13
	v_add_co_u32_e32 v12, vcc, v12, v14
	v_addc_co_u32_e32 v13, vcc, 0, v13, vcc
	v_ashrrev_i64 v[12:13], 1, v[12:13]
	v_lshlrev_b64 v[14:15], 3, v[12:13]
	v_add_co_u32_e32 v14, vcc, s12, v14
	v_addc_co_u32_e32 v15, vcc, v10, v15, vcc
	global_load_dwordx2 v[14:15], v[14:15], off
	s_waitcnt vmcnt(0)
	v_subrev_co_u32_e32 v14, vcc, s28, v14
	v_subb_co_u32_e32 v15, vcc, v15, v11, vcc
	v_cmp_gt_i64_e32 vcc, v[14:15], v[8:9]
	v_cndmask_b32_e32 v6, v6, v12, vcc
	v_cndmask_b32_e32 v7, v7, v13, vcc
	;; [unrolled: 1-line block ×3, first 2 shown]
	v_add_co_u32_e64 v12, s[0:1], -1, v6
	v_cndmask_b32_e32 v5, v13, v5, vcc
	v_addc_co_u32_e64 v13, s[0:1], -1, v7, s[0:1]
	v_cmp_ge_i64_e32 vcc, v[4:5], v[6:7]
	v_cmp_eq_u64_e64 s[0:1], v[4:5], v[12:13]
	s_or_b64 s[0:1], vcc, s[0:1]
	s_and_b64 s[0:1], exec, s[0:1]
	s_or_b64 s[2:3], s[0:1], s[2:3]
	s_andn2_b64 exec, exec, s[2:3]
	s_cbranch_execnz .LBB53_115
; %bb.116:
	s_or_b64 exec, exec, s[2:3]
.LBB53_117:
	v_lshlrev_b64 v[10:11], 3, v[6:7]
	v_mov_b32_e32 v12, s13
	v_add_co_u32_e32 v10, vcc, s12, v10
	v_addc_co_u32_e32 v11, vcc, v12, v11, vcc
	global_load_dwordx2 v[10:11], v[10:11], off
	v_add_co_u32_e32 v2, vcc, 0x1000, v2
	v_addc_co_u32_e32 v3, vcc, 0, v3, vcc
	global_load_dwordx2 v[2:3], v[2:3], off offset:2048
	v_mov_b32_e32 v12, s29
	s_waitcnt vmcnt(1)
	v_subrev_co_u32_e32 v10, vcc, s28, v10
	v_subb_co_u32_e32 v11, vcc, v11, v12, vcc
	v_cmp_gt_i64_e32 vcc, v[10:11], v[8:9]
	v_cndmask_b32_e32 v5, v7, v5, vcc
	v_cndmask_b32_e32 v4, v6, v4, vcc
	s_waitcnt vmcnt(0)
	v_subrev_co_u32_e32 v2, vcc, s28, v2
	v_subb_co_u32_e32 v3, vcc, v3, v12, vcc
	v_cmp_ne_u64_e32 vcc, v[2:3], v[4:5]
	s_and_saveexec_b64 s[2:3], vcc
	s_cbranch_execz .LBB53_123
; %bb.118:
	s_load_dwordx2 s[0:1], s[14:15], 0x0
	s_waitcnt lgkmcnt(0)
	s_sub_u32 s0, s0, s28
	s_subb_u32 s1, s1, 0
	v_cmp_gt_i64_e32 vcc, s[0:1], v[8:9]
	s_and_b64 exec, exec, vcc
	s_cbranch_execz .LBB53_123
; %bb.119:
	v_cmp_gt_i64_e32 vcc, s[4:5], v[2:3]
	v_cmp_le_i64_e64 s[0:1], s[22:23], v[2:3]
	s_or_b64 s[0:1], vcc, s[0:1]
	s_and_saveexec_b64 s[14:15], s[0:1]
	s_xor_b64 s[0:1], exec, s[14:15]
	s_cbranch_execz .LBB53_121
; %bb.120:
	v_mov_b32_e32 v6, s19
	v_add_co_u32_e32 v4, vcc, s18, v4
	v_addc_co_u32_e32 v5, vcc, v6, v5, vcc
	global_load_sbyte v6, v[4:5], off
	ds_read_b32 v8, v16 offset:3072
	v_lshlrev_b64 v[4:5], 2, v[2:3]
	v_mov_b32_e32 v7, s25
	v_add_co_u32_e32 v4, vcc, s24, v4
	v_addc_co_u32_e32 v5, vcc, v7, v5, vcc
	s_waitcnt vmcnt(0) lgkmcnt(0)
	v_mul_lo_u32 v6, v8, v6
	global_atomic_add v[4:5], v6, off
                                        ; implicit-def: $vgpr4_vgpr5
.LBB53_121:
	s_andn2_saveexec_b64 s[0:1], s[0:1]
	s_cbranch_execz .LBB53_123
; %bb.122:
	v_mov_b32_e32 v6, s19
	v_add_co_u32_e32 v4, vcc, s18, v4
	v_addc_co_u32_e32 v5, vcc, v6, v5, vcc
	global_load_sbyte v4, v[4:5], off
	ds_read_b32 v5, v16 offset:3072
	v_subrev_u32_e32 v6, s4, v2
	v_mov_b32_e32 v7, 0x1000
	v_lshl_add_u32 v6, v6, 2, v7
	s_waitcnt vmcnt(0) lgkmcnt(0)
	v_mul_lo_u32 v4, v5, v4
	ds_add_u32 v6, v4
.LBB53_123:
	s_or_b64 exec, exec, s[2:3]
	v_mov_b32_e32 v4, s19
	v_add_co_u32_e32 v2, vcc, s18, v2
	v_addc_co_u32_e32 v3, vcc, v4, v3, vcc
	global_load_sbyte v2, v[2:3], off
	ds_read_b32 v3, v16 offset:3072
	s_waitcnt vmcnt(0) lgkmcnt(0)
	v_mul_lo_u32 v2, v3, v2
	ds_write_b32 v16, v2 offset:3072
.LBB53_124:
	s_or_b64 exec, exec, s[16:17]
	v_pk_mov_b32 v[2:3], s[6:7], s[6:7] op_sel:[0,1]
	v_cmp_lt_i64_e32 vcc, s[22:23], v[2:3]
	s_and_b64 s[0:1], vcc, exec
	s_cselect_b32 s14, s22, s6
	s_cselect_b32 s0, s23, s7
	s_sub_u32 s2, s14, s26
	s_subb_u32 s3, s0, s27
	v_cmp_gt_i64_e32 vcc, s[2:3], v[0:1]
	s_waitcnt lgkmcnt(0)
	s_barrier
	s_and_saveexec_b64 s[0:1], vcc
	s_cbranch_execz .LBB53_127
; %bb.125:
	v_pk_mov_b32 v[2:3], s[6:7], s[6:7] op_sel:[0,1]
	v_cmp_gt_i64_e32 vcc, s[22:23], v[2:3]
	s_and_b64 s[4:5], vcc, exec
	s_cselect_b32 s5, s23, s7
	s_cselect_b32 s4, s22, s6
	s_lshl_b64 s[4:5], s[4:5], 2
	v_lshlrev_b32_e32 v2, 2, v0
	v_mov_b32_e32 v3, s5
	v_add_co_u32_e32 v2, vcc, s4, v2
	v_addc_co_u32_e32 v3, vcc, 0, v3, vcc
	s_lshl_b64 s[4:5], s[6:7], 2
	v_mov_b32_e32 v4, s5
	v_subrev_co_u32_e32 v2, vcc, s4, v2
	v_subb_co_u32_e32 v3, vcc, v3, v4, vcc
	v_mov_b32_e32 v4, s25
	v_add_co_u32_e32 v2, vcc, s24, v2
	v_addc_co_u32_e32 v3, vcc, v4, v3, vcc
	v_mov_b32_e32 v4, 0x1000
	v_lshl_add_u32 v6, v0, 2, v4
	s_mov_b64 s[4:5], 0
	v_pk_mov_b32 v[4:5], v[0:1], v[0:1] op_sel:[0,1]
.LBB53_126:                             ; =>This Inner Loop Header: Depth=1
	ds_read_b32 v7, v6
	v_add_co_u32_e32 v4, vcc, 0x100, v4
	v_addc_co_u32_e32 v5, vcc, 0, v5, vcc
	s_waitcnt lgkmcnt(0)
	global_atomic_add v[2:3], v7, off
	v_cmp_le_i64_e32 vcc, s[2:3], v[4:5]
	s_or_b64 s[4:5], vcc, s[4:5]
	v_add_co_u32_e32 v2, vcc, 0x400, v2
	v_add_u32_e32 v6, 0x400, v6
	v_addc_co_u32_e32 v3, vcc, 0, v3, vcc
	s_andn2_b64 exec, exec, s[4:5]
	s_cbranch_execnz .LBB53_126
.LBB53_127:
	s_or_b64 exec, exec, s[0:1]
	s_add_i32 s0, s34, -1
	s_ashr_i32 s1, s0, 1
	s_or_b32 s0, s1, s0
	s_ashr_i32 s1, s0, 2
	s_or_b32 s0, s1, s0
	;; [unrolled: 2-line block ×5, first 2 shown]
	s_add_i32 s0, s0, 1
	s_ashr_i32 s3, s0, 1
	v_mov_b32_e32 v2, s21
	v_add_co_u32_e32 v6, vcc, s20, v0
	v_addc_co_u32_e32 v7, vcc, 0, v2, vcc
	s_cmp_gt_i32 s3, 1
	s_mov_b64 s[0:1], -1
	s_barrier
	s_cbranch_scc1 .LBB53_142
; %bb.128:
	v_cmp_gt_i64_e32 vcc, s[22:23], v[6:7]
	s_and_saveexec_b64 s[0:1], vcc
	s_cbranch_execz .LBB53_141
; %bb.129:
	s_sub_i32 s4, s14, s22
	s_lshl_b32 s4, s4, 2
	s_add_i32 s18, s4, 0x1000
	s_lshl_b32 s4, s8, 2
	s_sub_i32 s19, 0, s4
	s_mov_b64 s[4:5], 0
	v_mov_b32_e32 v17, s13
	v_pk_mov_b32 v[8:9], v[6:7], v[6:7] op_sel:[0,1]
	s_branch .LBB53_132
.LBB53_130:                             ;   in Loop: Header=BB53_132 Depth=1
	s_or_b64 exec, exec, s[14:15]
.LBB53_131:                             ;   in Loop: Header=BB53_132 Depth=1
	s_or_b64 exec, exec, s[6:7]
	v_lshl_add_u32 v2, v8, 2, s18
	ds_read_b32 v4, v2
	v_lshlrev_b64 v[2:3], 2, v[8:9]
	v_mov_b32_e32 v5, s25
	v_add_co_u32_e32 v2, vcc, s24, v2
	s_waitcnt lgkmcnt(0)
	v_add_u32_e32 v4, v4, v18
	v_addc_co_u32_e32 v3, vcc, v5, v3, vcc
	global_atomic_add v[2:3], v4, off
	v_mov_b32_e32 v2, s31
	v_add_co_u32_e32 v8, vcc, s30, v8
	v_addc_co_u32_e32 v9, vcc, v9, v2, vcc
	v_cmp_le_i64_e32 vcc, s[22:23], v[8:9]
	s_or_b64 s[4:5], vcc, s[4:5]
	s_andn2_b64 exec, exec, s[4:5]
	s_cbranch_execz .LBB53_141
.LBB53_132:                             ; =>This Loop Header: Depth=1
                                        ;     Child Loop BB53_135 Depth 2
                                        ;     Child Loop BB53_139 Depth 2
	v_lshlrev_b64 v[2:3], 3, v[8:9]
	v_add_co_u32_e32 v2, vcc, s12, v2
	v_addc_co_u32_e32 v3, vcc, v17, v3, vcc
	global_load_dwordx4 v[2:5], v[2:3], off
	v_mov_b32_e32 v18, 0
	s_waitcnt vmcnt(0)
	v_cmp_lt_i64_e32 vcc, v[2:3], v[4:5]
	s_and_saveexec_b64 s[6:7], vcc
	s_cbranch_execz .LBB53_131
; %bb.133:                              ;   in Loop: Header=BB53_132 Depth=1
	v_mov_b32_e32 v11, s9
	v_subrev_co_u32_e32 v4, vcc, s8, v4
	v_subb_co_u32_e32 v5, vcc, v5, v11, vcc
	v_subrev_co_u32_e32 v10, vcc, s8, v2
	v_subb_co_u32_e32 v11, vcc, v3, v11, vcc
	v_add_co_u32_e32 v12, vcc, 1, v10
	v_addc_co_u32_e32 v13, vcc, 0, v11, vcc
	v_cmp_gt_i64_e32 vcc, v[12:13], v[4:5]
	v_cndmask_b32_e32 v12, v4, v12, vcc
	v_cndmask_b32_e32 v13, v5, v13, vcc
	v_mov_b32_e32 v14, s9
	v_add_co_u32_e32 v12, vcc, s8, v12
	v_addc_co_u32_e32 v13, vcc, v14, v13, vcc
	v_sub_co_u32_e32 v12, vcc, v12, v2
	v_subb_co_u32_e32 v13, vcc, v13, v3, vcc
	v_cmp_lt_u64_e32 vcc, 1, v[12:13]
	s_mov_b64 s[16:17], -1
	v_mov_b32_e32 v18, 0
	s_and_saveexec_b64 s[14:15], vcc
	s_cbranch_execz .LBB53_137
; %bb.134:                              ;   in Loop: Header=BB53_132 Depth=1
	v_and_b32_e32 v14, -2, v12
	v_mov_b32_e32 v15, v13
	v_lshl_add_u32 v19, v2, 2, s19
	s_mov_b64 s[16:17], 0
	v_mov_b32_e32 v18, 0
	v_pk_mov_b32 v[2:3], v[14:15], v[14:15] op_sel:[0,1]
	v_mov_b32_e32 v20, 0
.LBB53_135:                             ;   Parent Loop BB53_132 Depth=1
                                        ; =>  This Inner Loop Header: Depth=2
	ds_read2_b32 v[22:23], v19 offset1:1
	v_add_co_u32_e32 v2, vcc, -2, v2
	v_addc_co_u32_e32 v3, vcc, -1, v3, vcc
	v_cmp_eq_u64_e32 vcc, 0, v[2:3]
	v_add_u32_e32 v19, 8, v19
	s_or_b64 s[16:17], vcc, s[16:17]
	s_waitcnt lgkmcnt(0)
	v_add_u32_e32 v20, v23, v20
	v_add_u32_e32 v18, v22, v18
	s_andn2_b64 exec, exec, s[16:17]
	s_cbranch_execnz .LBB53_135
; %bb.136:                              ;   in Loop: Header=BB53_132 Depth=1
	s_or_b64 exec, exec, s[16:17]
	v_add_co_u32_e32 v10, vcc, v10, v14
	v_addc_co_u32_e32 v11, vcc, v11, v15, vcc
	v_cmp_ne_u64_e32 vcc, v[12:13], v[14:15]
	v_add_u32_e32 v18, v18, v20
	s_orn2_b64 s[16:17], vcc, exec
.LBB53_137:                             ;   in Loop: Header=BB53_132 Depth=1
	s_or_b64 exec, exec, s[14:15]
	s_and_saveexec_b64 s[14:15], s[16:17]
	s_cbranch_execz .LBB53_130
; %bb.138:                              ;   in Loop: Header=BB53_132 Depth=1
	v_lshlrev_b32_e32 v2, 2, v10
	s_mov_b64 s[16:17], 0
.LBB53_139:                             ;   Parent Loop BB53_132 Depth=1
                                        ; =>  This Inner Loop Header: Depth=2
	ds_read_b32 v3, v2
	v_add_co_u32_e32 v10, vcc, 1, v10
	v_addc_co_u32_e32 v11, vcc, 0, v11, vcc
	v_cmp_ge_i64_e32 vcc, v[10:11], v[4:5]
	v_add_u32_e32 v2, 4, v2
	s_or_b64 s[16:17], vcc, s[16:17]
	s_waitcnt lgkmcnt(0)
	v_add_u32_e32 v18, v3, v18
	s_andn2_b64 exec, exec, s[16:17]
	s_cbranch_execnz .LBB53_139
; %bb.140:                              ;   in Loop: Header=BB53_132 Depth=1
	s_or_b64 exec, exec, s[16:17]
	s_branch .LBB53_130
.LBB53_141:
	s_or_b64 exec, exec, s[0:1]
	s_mov_b64 s[0:1], 0
.LBB53_142:
	s_andn2_b64 vcc, exec, s[0:1]
	s_cbranch_vccnz .LBB53_173
; %bb.143:
	v_cvt_f32_u32_e32 v14, s3
	s_sub_i32 s6, 0, s3
	v_mov_b32_e32 v11, 0
	v_mov_b32_e32 v4, s11
	v_rcp_iflag_f32_e32 v2, v14
	v_mov_b32_e32 v12, s9
	v_mul_f32_e32 v2, 0x4f7ffffe, v2
	v_cvt_u32_f32_e32 v2, v2
	v_mul_lo_u32 v3, s6, v2
	v_mul_hi_u32 v3, v2, v3
	v_add_u32_e32 v2, v2, v3
	v_mul_hi_u32 v2, v0, v2
	v_mul_lo_u32 v3, v2, s3
	v_sub_u32_e32 v3, v0, v3
	v_add_u32_e32 v5, 1, v2
	v_cmp_le_u32_e32 vcc, s3, v3
	v_cndmask_b32_e32 v2, v2, v5, vcc
	v_subrev_u32_e32 v5, s3, v3
	v_cndmask_b32_e32 v3, v3, v5, vcc
	v_add_u32_e32 v5, 1, v2
	v_cmp_le_u32_e32 vcc, s3, v3
	v_cndmask_b32_e32 v10, v2, v5, vcc
	v_lshlrev_b64 v[2:3], 3, v[10:11]
	v_add_co_u32_e32 v2, vcc, s10, v2
	v_addc_co_u32_e32 v3, vcc, v4, v3, vcc
	global_load_dwordx4 v[2:5], v[2:3], off
	s_waitcnt vmcnt(0)
	v_subrev_co_u32_e32 v8, vcc, s8, v2
	v_subb_co_u32_e32 v9, vcc, v3, v12, vcc
	v_subrev_co_u32_e32 v17, vcc, s8, v4
	v_subb_co_u32_e32 v18, vcc, v5, v12, vcc
	v_sub_co_u32_e32 v3, vcc, v17, v8
	v_subb_co_u32_e32 v13, vcc, v18, v9, vcc
	v_mov_b32_e32 v12, v11
	v_cmp_ne_u64_e32 vcc, 0, v[12:13]
                                        ; implicit-def: $vgpr4_vgpr5
	s_and_saveexec_b64 s[0:1], vcc
	s_xor_b64 s[4:5], exec, s[0:1]
	s_cbranch_execz .LBB53_145
; %bb.144:
	v_cvt_f32_ubyte0_e32 v4, 0
	v_madmk_f32 v4, v4, 0x4f800000, v14
	v_rcp_f32_e32 v4, v4
	s_sub_u32 s0, 0, s3
	s_subb_u32 s1, 0, 0
	v_mul_f32_e32 v4, 0x5f7ffffc, v4
	v_mul_f32_e32 v5, 0x2f800000, v4
	v_trunc_f32_e32 v5, v5
	v_madmk_f32 v4, v5, 0xcf800000, v4
	v_cvt_u32_f32_e32 v5, v5
	v_cvt_u32_f32_e32 v4, v4
	v_mul_lo_u32 v12, s0, v5
	v_mul_hi_u32 v15, s0, v4
	v_mul_lo_u32 v14, s1, v4
	v_add_u32_e32 v12, v15, v12
	v_add_u32_e32 v12, v12, v14
	v_mul_lo_u32 v19, s0, v4
	v_mul_lo_u32 v15, v4, v12
	v_mul_hi_u32 v20, v4, v19
	v_mul_hi_u32 v14, v4, v12
	v_add_co_u32_e32 v15, vcc, v20, v15
	v_addc_co_u32_e32 v14, vcc, 0, v14, vcc
	v_mul_hi_u32 v21, v5, v19
	v_mul_lo_u32 v19, v5, v19
	v_add_co_u32_e32 v15, vcc, v15, v19
	v_mul_hi_u32 v20, v5, v12
	v_addc_co_u32_e32 v14, vcc, v14, v21, vcc
	v_addc_co_u32_e32 v15, vcc, 0, v20, vcc
	v_mul_lo_u32 v12, v5, v12
	v_add_co_u32_e32 v12, vcc, v14, v12
	v_addc_co_u32_e32 v14, vcc, 0, v15, vcc
	v_add_co_u32_e32 v4, vcc, v4, v12
	v_addc_co_u32_e32 v5, vcc, v5, v14, vcc
	v_mul_lo_u32 v12, s0, v5
	v_mul_hi_u32 v14, s0, v4
	v_add_u32_e32 v12, v14, v12
	v_mul_lo_u32 v14, s1, v4
	v_add_u32_e32 v12, v12, v14
	v_mul_lo_u32 v15, s0, v4
	v_mul_hi_u32 v19, v5, v15
	v_mul_lo_u32 v20, v5, v15
	v_mul_lo_u32 v22, v4, v12
	v_mul_hi_u32 v15, v4, v15
	v_mul_hi_u32 v21, v4, v12
	v_add_co_u32_e32 v15, vcc, v15, v22
	v_addc_co_u32_e32 v21, vcc, 0, v21, vcc
	v_add_co_u32_e32 v15, vcc, v15, v20
	v_mul_hi_u32 v14, v5, v12
	v_addc_co_u32_e32 v15, vcc, v21, v19, vcc
	v_addc_co_u32_e32 v14, vcc, 0, v14, vcc
	v_mul_lo_u32 v12, v5, v12
	v_add_co_u32_e32 v12, vcc, v15, v12
	v_addc_co_u32_e32 v14, vcc, 0, v14, vcc
	v_add_co_u32_e32 v12, vcc, v4, v12
	v_addc_co_u32_e32 v14, vcc, v5, v14, vcc
	v_ashrrev_i32_e32 v15, 31, v13
	v_add_co_u32_e32 v3, vcc, v3, v15
	v_addc_co_u32_e32 v4, vcc, v13, v15, vcc
	v_xor_b32_e32 v3, v3, v15
	v_xor_b32_e32 v19, v4, v15
	v_mad_u64_u32 v[4:5], s[0:1], v3, v14, 0
	v_mul_hi_u32 v13, v3, v12
	v_add_co_u32_e32 v20, vcc, v13, v4
	v_addc_co_u32_e32 v21, vcc, 0, v5, vcc
	v_mad_u64_u32 v[12:13], s[0:1], v19, v12, 0
	v_add_co_u32_e32 v12, vcc, v20, v12
	v_mad_u64_u32 v[4:5], s[0:1], v19, v14, 0
	v_addc_co_u32_e32 v12, vcc, v21, v13, vcc
	v_addc_co_u32_e32 v5, vcc, 0, v5, vcc
	v_add_co_u32_e32 v14, vcc, v12, v4
	v_addc_co_u32_e32 v20, vcc, 0, v5, vcc
	v_mad_u64_u32 v[4:5], s[0:1], s3, v14, 0
	v_mov_b32_e32 v12, v5
	v_mad_u64_u32 v[12:13], s[0:1], s3, v20, v[12:13]
	v_sub_co_u32_e32 v3, vcc, v3, v4
	v_subb_co_u32_e32 v4, vcc, v19, v12, vcc
	v_subrev_co_u32_e32 v5, vcc, s3, v3
	v_subbrev_co_u32_e32 v12, vcc, 0, v4, vcc
	v_cmp_le_u32_e32 vcc, s3, v5
	v_cndmask_b32_e64 v5, 0, -1, vcc
	v_cmp_eq_u32_e32 vcc, 0, v12
	v_cndmask_b32_e32 v5, -1, v5, vcc
	v_add_co_u32_e32 v12, vcc, 2, v14
	v_addc_co_u32_e32 v13, vcc, 0, v20, vcc
	v_add_co_u32_e32 v19, vcc, 1, v14
	v_cmp_le_u32_e64 s[0:1], s3, v3
	v_addc_co_u32_e32 v21, vcc, 0, v20, vcc
	v_cndmask_b32_e64 v3, 0, -1, s[0:1]
	v_cmp_eq_u32_e64 s[0:1], 0, v4
	v_cmp_ne_u32_e32 vcc, 0, v5
	v_cndmask_b32_e64 v3, -1, v3, s[0:1]
	v_cmp_ne_u32_e64 s[0:1], 0, v3
	v_cndmask_b32_e32 v4, v19, v12, vcc
	v_cndmask_b32_e32 v5, v21, v13, vcc
	v_cndmask_b32_e64 v4, v14, v4, s[0:1]
	v_cndmask_b32_e64 v3, v20, v5, s[0:1]
	v_xor_b32_e32 v4, v4, v15
	v_xor_b32_e32 v3, v3, v15
	v_sub_co_u32_e32 v4, vcc, v4, v15
	v_subb_co_u32_e32 v5, vcc, v3, v15, vcc
                                        ; implicit-def: $vgpr3
.LBB53_145:
	s_andn2_saveexec_b64 s[0:1], s[4:5]
	s_cbranch_execz .LBB53_147
; %bb.146:
	v_cvt_f32_u32_e32 v4, s3
	v_rcp_iflag_f32_e32 v4, v4
	v_mul_f32_e32 v4, 0x4f7ffffe, v4
	v_cvt_u32_f32_e32 v4, v4
	v_mul_lo_u32 v5, s6, v4
	v_mul_hi_u32 v5, v4, v5
	v_add_u32_e32 v4, v4, v5
	v_mul_hi_u32 v4, v3, v4
	v_mul_lo_u32 v5, v4, s3
	v_sub_u32_e32 v3, v3, v5
	v_add_u32_e32 v12, 1, v4
	v_subrev_u32_e32 v5, s3, v3
	v_cmp_le_u32_e32 vcc, s3, v3
	v_cndmask_b32_e32 v3, v3, v5, vcc
	v_cndmask_b32_e32 v4, v4, v12, vcc
	v_add_u32_e32 v5, 1, v4
	v_cmp_le_u32_e32 vcc, s3, v3
	v_cndmask_b32_e32 v4, v4, v5, vcc
	v_mov_b32_e32 v5, 0
.LBB53_147:
	s_or_b64 exec, exec, s[0:1]
	v_cmp_gt_i64_e32 vcc, s[26:27], v[10:11]
	v_mov_b32_e32 v19, 0
	s_and_saveexec_b64 s[0:1], vcc
	s_cbranch_execz .LBB53_161
; %bb.148:
	s_add_i32 s4, s3, -1
	v_and_b32_e32 v10, s4, v0
	v_cmp_lt_i64_e32 vcc, 0, v[4:5]
	v_mov_b32_e32 v19, 0
	s_and_saveexec_b64 s[4:5], vcc
	s_cbranch_execz .LBB53_158
; %bb.149:
	v_cmp_lt_u64_e32 vcc, 3, v[4:5]
	v_pk_mov_b32 v[12:13], 0, 0
	v_mov_b32_e32 v19, 0
	s_and_saveexec_b64 s[6:7], vcc
	s_cbranch_execz .LBB53_153
; %bb.150:
	s_lshl_b32 s10, s8, 2
	s_lshl_b32 s11, s3, 3
	;; [unrolled: 1-line block ×3, first 2 shown]
	v_lshlrev_b32_e32 v3, 2, v2
	s_sub_i32 s15, s11, s10
	s_mul_i32 s11, s3, 12
	v_and_b32_e32 v13, 0x7fffffff, v5
	v_and_b32_e32 v12, -4, v4
	s_sub_i32 s9, s9, s10
	v_lshl_add_u32 v3, v10, 2, v3
	s_lshl_b32 s14, s3, 4
	s_sub_i32 s16, s11, s10
	s_sub_i32 s17, 0, s10
	s_mov_b64 s[10:11], 0
	v_mov_b32_e32 v19, 0
	s_mov_b64 s[12:13], 0
.LBB53_151:                             ; =>This Inner Loop Header: Depth=1
	v_add_u32_e32 v11, s17, v3
	v_add_u32_e32 v14, s9, v3
	;; [unrolled: 1-line block ×4, first 2 shown]
	ds_read_b32 v11, v11
	ds_read_b32 v14, v14
	;; [unrolled: 1-line block ×4, first 2 shown]
	s_add_u32 s12, s12, 4
	s_addc_u32 s13, s13, 0
	v_cmp_eq_u64_e32 vcc, s[12:13], v[12:13]
	s_waitcnt lgkmcnt(2)
	v_add3_u32 v11, v11, v19, v14
	v_add_u32_e32 v3, s14, v3
	s_or_b64 s[10:11], vcc, s[10:11]
	s_waitcnt lgkmcnt(0)
	v_add3_u32 v19, v15, v11, v20
	s_andn2_b64 exec, exec, s[10:11]
	s_cbranch_execnz .LBB53_151
; %bb.152:
	s_or_b64 exec, exec, s[10:11]
.LBB53_153:
	s_or_b64 exec, exec, s[6:7]
	v_and_b32_e32 v14, 3, v4
	v_mov_b32_e32 v15, 0
	s_mov_b64 s[10:11], 0
	v_cmp_ne_u64_e32 vcc, 0, v[14:15]
	s_and_saveexec_b64 s[6:7], vcc
	s_cbranch_execz .LBB53_157
; %bb.154:
	v_mul_lo_u32 v3, s3, v12
	v_add3_u32 v2, v10, v3, v2
	v_subrev_u32_e32 v2, s8, v2
	v_lshlrev_b32_e32 v2, 2, v2
	s_lshl_b32 s8, s3, 2
.LBB53_155:                             ; =>This Inner Loop Header: Depth=1
	ds_read_b32 v3, v2
	v_add_co_u32_e32 v14, vcc, -1, v14
	v_addc_co_u32_e32 v15, vcc, -1, v15, vcc
	v_cmp_eq_u64_e32 vcc, 0, v[14:15]
	v_add_u32_e32 v2, s8, v2
	s_or_b64 s[10:11], vcc, s[10:11]
	s_waitcnt lgkmcnt(0)
	v_add_u32_e32 v19, v3, v19
	s_andn2_b64 exec, exec, s[10:11]
	s_cbranch_execnz .LBB53_155
; %bb.156:
	s_or_b64 exec, exec, s[10:11]
.LBB53_157:
	s_or_b64 exec, exec, s[6:7]
.LBB53_158:
	s_or_b64 exec, exec, s[4:5]
	v_mad_u64_u32 v[2:3], s[4:5], v4, s3, v[8:9]
	v_mov_b32_e32 v4, v3
	v_mad_u64_u32 v[4:5], s[4:5], v5, s3, v[4:5]
	v_mov_b32_e32 v3, v4
	v_sub_co_u32_e32 v4, vcc, v17, v2
	v_mov_b32_e32 v11, 0
	v_subb_co_u32_e32 v5, vcc, v18, v3, vcc
	v_cmp_gt_i64_e32 vcc, v[4:5], v[10:11]
	s_and_saveexec_b64 s[4:5], vcc
	s_cbranch_execz .LBB53_160
; %bb.159:
	v_add_lshl_u32 v2, v10, v2, 2
	ds_read_b32 v2, v2
	s_waitcnt lgkmcnt(0)
	v_add_u32_e32 v19, v2, v19
.LBB53_160:
	s_or_b64 exec, exec, s[4:5]
.LBB53_161:
	s_or_b64 exec, exec, s[0:1]
	v_cmp_gt_i64_e32 vcc, s[26:27], v[0:1]
	s_barrier
	ds_write_b32 v16, v19
	s_waitcnt lgkmcnt(0)
	s_barrier
	s_and_saveexec_b64 s[0:1], vcc
	s_cbranch_execz .LBB53_173
; %bb.162:
	s_add_i32 s5, s3, -2
	s_lshr_b32 s4, s5, 1
	s_add_i32 s4, s4, 1
	v_mul_lo_u32 v1, s3, v0
	s_mov_b32 s0, 0
	s_cmp_lt_u32 s5, 14
	s_cbranch_scc1 .LBB53_165
; %bb.163:
	s_and_b32 s1, s4, -8
	v_lshlrev_b32_e32 v4, 2, v1
	v_mov_b32_e32 v2, 0
	v_mov_b32_e32 v3, 0
.LBB53_164:                             ; =>This Inner Loop Header: Depth=1
	ds_read2_b32 v[8:9], v4 offset1:1
	ds_read2_b32 v[10:11], v4 offset0:2 offset1:3
	ds_read2_b32 v[12:13], v4 offset0:4 offset1:5
	;; [unrolled: 1-line block ×7, first 2 shown]
	s_waitcnt lgkmcnt(6)
	v_add3_u32 v2, v8, v2, v10
	v_add3_u32 v3, v9, v3, v11
	s_waitcnt lgkmcnt(4)
	v_add3_u32 v3, v13, v3, v15
	v_add3_u32 v2, v12, v2, v14
	s_add_i32 s0, s0, 16
	s_add_i32 s1, s1, -8
	s_waitcnt lgkmcnt(2)
	v_add3_u32 v2, v16, v2, v18
	v_add3_u32 v3, v17, v3, v19
	v_add_u32_e32 v4, 64, v4
	s_cmp_lg_u32 s1, 0
	s_waitcnt lgkmcnt(0)
	v_add3_u32 v3, v21, v3, v23
	v_add3_u32 v2, v20, v2, v22
	s_cbranch_scc1 .LBB53_164
	s_branch .LBB53_166
.LBB53_165:
	s_mov_b32 s1, s0
	v_pk_mov_b32 v[2:3], s[0:1], s[0:1] op_sel:[0,1]
.LBB53_166:
	s_and_b32 s1, s4, 7
	s_cmp_eq_u32 s1, 0
	s_cbranch_scc1 .LBB53_169
; %bb.167:
	v_add_lshl_u32 v4, s0, v1, 2
.LBB53_168:                             ; =>This Inner Loop Header: Depth=1
	ds_read2_b32 v[8:9], v4 offset1:1
	s_add_i32 s1, s1, -1
	v_add_u32_e32 v4, 8, v4
	s_cmp_lg_u32 s1, 0
	s_waitcnt lgkmcnt(0)
	v_add_u32_e32 v3, v9, v3
	v_add_u32_e32 v2, v8, v2
	s_cbranch_scc1 .LBB53_168
.LBB53_169:
	s_and_b32 s0, s3, 0x7ffffffe
	s_cmp_eq_u32 s3, s0
	v_add_u32_e32 v2, v2, v3
	s_cbranch_scc1 .LBB53_172
; %bb.170:
	s_lshl_b32 s1, s3, 2
	s_and_b32 s1, s1, -8
	s_sub_i32 s0, s3, s0
	v_lshl_add_u32 v1, v1, 2, s1
.LBB53_171:                             ; =>This Inner Loop Header: Depth=1
	ds_read_b32 v3, v1
	s_add_i32 s0, s0, -1
	v_add_u32_e32 v1, 4, v1
	s_cmp_eq_u32 s0, 0
	s_waitcnt lgkmcnt(0)
	v_add_u32_e32 v2, v3, v2
	s_cbranch_scc0 .LBB53_171
.LBB53_172:
	s_lshl_b32 s0, s2, 2
	s_addk_i32 s0, 0x1000
	v_lshl_add_u32 v0, v0, 2, s0
	ds_read_b32 v3, v0
	v_lshlrev_b64 v[0:1], 2, v[6:7]
	v_mov_b32_e32 v4, s25
	v_add_co_u32_e32 v0, vcc, s24, v0
	s_waitcnt lgkmcnt(0)
	v_add_u32_e32 v2, v3, v2
	v_addc_co_u32_e32 v1, vcc, v4, v1, vcc
	global_atomic_add v[0:1], v2, off
.LBB53_173:
	s_endpgm
	.section	.rodata,"a",@progbits
	.p2align	6, 0x0
	.amdhsa_kernel _ZN9rocsparseL27csrmvn_symm_adaptive_kernelIllaaiiEEvbT_S1_PKS1_NS_24const_host_device_scalarIT4_EES3_PKT0_PKT1_PKT2_S6_PT3_21rocsparse_index_base_b
		.amdhsa_group_segment_fixed_size 4096
		.amdhsa_private_segment_fixed_size 0
		.amdhsa_kernarg_size 352
		.amdhsa_user_sgpr_count 6
		.amdhsa_user_sgpr_private_segment_buffer 1
		.amdhsa_user_sgpr_dispatch_ptr 0
		.amdhsa_user_sgpr_queue_ptr 0
		.amdhsa_user_sgpr_kernarg_segment_ptr 1
		.amdhsa_user_sgpr_dispatch_id 0
		.amdhsa_user_sgpr_flat_scratch_init 0
		.amdhsa_user_sgpr_kernarg_preload_length 0
		.amdhsa_user_sgpr_kernarg_preload_offset 0
		.amdhsa_user_sgpr_private_segment_size 0
		.amdhsa_uses_dynamic_stack 0
		.amdhsa_system_sgpr_private_segment_wavefront_offset 0
		.amdhsa_system_sgpr_workgroup_id_x 1
		.amdhsa_system_sgpr_workgroup_id_y 0
		.amdhsa_system_sgpr_workgroup_id_z 0
		.amdhsa_system_sgpr_workgroup_info 0
		.amdhsa_system_vgpr_workitem_id 0
		.amdhsa_next_free_vgpr 24
		.amdhsa_next_free_sgpr 52
		.amdhsa_accum_offset 24
		.amdhsa_reserve_vcc 1
		.amdhsa_reserve_flat_scratch 0
		.amdhsa_float_round_mode_32 0
		.amdhsa_float_round_mode_16_64 0
		.amdhsa_float_denorm_mode_32 3
		.amdhsa_float_denorm_mode_16_64 3
		.amdhsa_dx10_clamp 1
		.amdhsa_ieee_mode 1
		.amdhsa_fp16_overflow 0
		.amdhsa_tg_split 0
		.amdhsa_exception_fp_ieee_invalid_op 0
		.amdhsa_exception_fp_denorm_src 0
		.amdhsa_exception_fp_ieee_div_zero 0
		.amdhsa_exception_fp_ieee_overflow 0
		.amdhsa_exception_fp_ieee_underflow 0
		.amdhsa_exception_fp_ieee_inexact 0
		.amdhsa_exception_int_div_zero 0
	.end_amdhsa_kernel
	.section	.text._ZN9rocsparseL27csrmvn_symm_adaptive_kernelIllaaiiEEvbT_S1_PKS1_NS_24const_host_device_scalarIT4_EES3_PKT0_PKT1_PKT2_S6_PT3_21rocsparse_index_base_b,"axG",@progbits,_ZN9rocsparseL27csrmvn_symm_adaptive_kernelIllaaiiEEvbT_S1_PKS1_NS_24const_host_device_scalarIT4_EES3_PKT0_PKT1_PKT2_S6_PT3_21rocsparse_index_base_b,comdat
.Lfunc_end53:
	.size	_ZN9rocsparseL27csrmvn_symm_adaptive_kernelIllaaiiEEvbT_S1_PKS1_NS_24const_host_device_scalarIT4_EES3_PKT0_PKT1_PKT2_S6_PT3_21rocsparse_index_base_b, .Lfunc_end53-_ZN9rocsparseL27csrmvn_symm_adaptive_kernelIllaaiiEEvbT_S1_PKS1_NS_24const_host_device_scalarIT4_EES3_PKT0_PKT1_PKT2_S6_PT3_21rocsparse_index_base_b
                                        ; -- End function
	.section	.AMDGPU.csdata,"",@progbits
; Kernel info:
; codeLenInByte = 8516
; NumSgprs: 56
; NumVgprs: 24
; NumAgprs: 0
; TotalNumVgprs: 24
; ScratchSize: 0
; MemoryBound: 0
; FloatMode: 240
; IeeeMode: 1
; LDSByteSize: 4096 bytes/workgroup (compile time only)
; SGPRBlocks: 6
; VGPRBlocks: 2
; NumSGPRsForWavesPerEU: 56
; NumVGPRsForWavesPerEU: 24
; AccumOffset: 24
; Occupancy: 8
; WaveLimiterHint : 1
; COMPUTE_PGM_RSRC2:SCRATCH_EN: 0
; COMPUTE_PGM_RSRC2:USER_SGPR: 6
; COMPUTE_PGM_RSRC2:TRAP_HANDLER: 0
; COMPUTE_PGM_RSRC2:TGID_X_EN: 1
; COMPUTE_PGM_RSRC2:TGID_Y_EN: 0
; COMPUTE_PGM_RSRC2:TGID_Z_EN: 0
; COMPUTE_PGM_RSRC2:TIDIG_COMP_CNT: 0
; COMPUTE_PGM_RSRC3_GFX90A:ACCUM_OFFSET: 5
; COMPUTE_PGM_RSRC3_GFX90A:TG_SPLIT: 0
	.section	.text._ZL33csrmvn_symm_large_adaptive_kernelIllaaiiEvbT_PKS0_N9rocsparse24const_host_device_scalarIT4_EES2_PKT0_PKT1_PKT2_S6_PT3_21rocsparse_index_base_b,"axG",@progbits,_ZL33csrmvn_symm_large_adaptive_kernelIllaaiiEvbT_PKS0_N9rocsparse24const_host_device_scalarIT4_EES2_PKT0_PKT1_PKT2_S6_PT3_21rocsparse_index_base_b,comdat
	.globl	_ZL33csrmvn_symm_large_adaptive_kernelIllaaiiEvbT_PKS0_N9rocsparse24const_host_device_scalarIT4_EES2_PKT0_PKT1_PKT2_S6_PT3_21rocsparse_index_base_b ; -- Begin function _ZL33csrmvn_symm_large_adaptive_kernelIllaaiiEvbT_PKS0_N9rocsparse24const_host_device_scalarIT4_EES2_PKT0_PKT1_PKT2_S6_PT3_21rocsparse_index_base_b
	.p2align	8
	.type	_ZL33csrmvn_symm_large_adaptive_kernelIllaaiiEvbT_PKS0_N9rocsparse24const_host_device_scalarIT4_EES2_PKT0_PKT1_PKT2_S6_PT3_21rocsparse_index_base_b,@function
_ZL33csrmvn_symm_large_adaptive_kernelIllaaiiEvbT_PKS0_N9rocsparse24const_host_device_scalarIT4_EES2_PKT0_PKT1_PKT2_S6_PT3_21rocsparse_index_base_b: ; @_ZL33csrmvn_symm_large_adaptive_kernelIllaaiiEvbT_PKS0_N9rocsparse24const_host_device_scalarIT4_EES2_PKT0_PKT1_PKT2_S6_PT3_21rocsparse_index_base_b
; %bb.0:
	s_load_dwordx2 s[10:11], s[4:5], 0x50
	s_load_dwordx2 s[8:9], s[4:5], 0x18
	s_mov_b64 s[12:13], -1
	s_waitcnt lgkmcnt(0)
	s_bitcmp1_b32 s11, 0
	s_cselect_b64 s[0:1], -1, 0
	s_xor_b64 s[2:3], s[0:1], -1
	s_and_b64 vcc, exec, s[2:3]
                                        ; implicit-def: $sgpr11
	s_cbranch_vccnz .LBB54_4
; %bb.1:
	s_load_dwordx2 s[0:1], s[4:5], 0x40
	s_andn2_b64 vcc, exec, s[12:13]
	s_cbranch_vccz .LBB54_5
.LBB54_2:
	s_and_b64 vcc, exec, s[2:3]
	s_cbranch_vccz .LBB54_6
.LBB54_3:
	s_waitcnt lgkmcnt(0)
	s_load_dword s1, s[0:1], 0x0
	s_cbranch_execz .LBB54_7
	s_branch .LBB54_8
.LBB54_4:
	s_load_dword s11, s[8:9], 0x0
	s_load_dwordx2 s[0:1], s[4:5], 0x40
	s_cbranch_execnz .LBB54_2
.LBB54_5:
	s_waitcnt lgkmcnt(0)
	s_mov_b32 s11, s8
	s_and_b64 vcc, exec, s[2:3]
	s_cbranch_vccnz .LBB54_3
.LBB54_6:
                                        ; implicit-def: $sgpr1
.LBB54_7:
	s_waitcnt lgkmcnt(0)
	s_mov_b32 s1, s0
.LBB54_8:
	s_waitcnt lgkmcnt(0)
	s_cmp_lg_u32 s11, 0
	s_cselect_b64 s[2:3], -1, 0
	s_cmp_lg_u32 s1, 1
	s_cselect_b64 s[0:1], -1, 0
	s_or_b64 s[0:1], s[2:3], s[0:1]
	s_andn2_b64 vcc, exec, s[0:1]
	s_mov_b32 s33, 0
	s_cbranch_vccnz .LBB54_40
; %bb.9:
	s_load_dwordx2 s[0:1], s[4:5], 0x10
	s_ashr_i32 s7, s6, 31
	s_lshl_b64 s[2:3], s[6:7], 3
	v_lshlrev_b32_e32 v6, 2, v0
	v_mov_b32_e32 v1, 0
	s_waitcnt lgkmcnt(0)
	s_add_u32 s0, s0, s2
	s_addc_u32 s1, s1, s3
	ds_write2st64_b32 v6, v1, v1 offset1:4
	ds_write2st64_b32 v6, v1, v1 offset0:8 offset1:12
	s_waitcnt lgkmcnt(0)
	s_barrier
	s_load_dwordx4 s[20:23], s[0:1], 0x0
	s_load_dwordx8 s[12:19], s[4:5], 0x20
	s_load_dwordx2 s[24:25], s[4:5], 0x48
	v_subrev_co_u32_e64 v7, s[0:1], s10, v0
	s_waitcnt lgkmcnt(0)
	v_pk_mov_b32 v[2:3], s[22:23], s[22:23] op_sel:[0,1]
	v_cmp_lt_i64_e32 vcc, s[20:21], v[2:3]
	v_subb_co_u32_e64 v8, s[0:1], 0, 0, s[0:1]
	s_cbranch_vccnz .LBB54_11
; %bb.10:
	s_lshl_b64 s[0:1], s[20:21], 3
	s_add_u32 s0, s12, s0
	s_addc_u32 s1, s13, s1
	s_load_dwordx2 s[26:27], s[0:1], 0x0
	s_cbranch_execz .LBB54_12
	s_branch .LBB54_31
.LBB54_11:
                                        ; implicit-def: $sgpr26_sgpr27
.LBB54_12:
	s_waitcnt lgkmcnt(0)
	s_lshl_b64 s[26:27], s[20:21], 3
	s_add_u32 s26, s12, s26
	s_addc_u32 s27, s13, s27
	s_load_dwordx2 s[26:27], s[26:27], 0x0
	s_movk_i32 s0, 0x100
	s_add_u32 s40, s12, 8
	v_cmp_gt_u32_e64 s[0:1], s0, v0
	v_cmp_gt_u32_e64 s[2:3], 64, v0
	;; [unrolled: 1-line block ×4, first 2 shown]
	v_cmp_eq_u32_e64 s[8:9], 0, v0
	s_addc_u32 s41, s13, 0
	v_mov_b32_e32 v9, s33
	v_mov_b32_e32 v10, s17
	;; [unrolled: 1-line block ×4, first 2 shown]
	v_pk_mov_b32 v[0:1], s[22:23], s[22:23] op_sel:[0,1]
	s_waitcnt lgkmcnt(0)
	s_mov_b64 s[30:31], s[26:27]
	s_mov_b64 s[28:29], s[20:21]
	s_branch .LBB54_14
.LBB54_13:                              ;   in Loop: Header=BB54_14 Depth=1
	s_or_b64 exec, exec, s[34:35]
	s_add_u32 s28, s28, 1
	s_addc_u32 s29, s29, 0
	v_cmp_ge_i64_e32 vcc, s[28:29], v[0:1]
	s_cbranch_vccnz .LBB54_31
.LBB54_14:                              ; =>This Loop Header: Depth=1
                                        ;     Child Loop BB54_16 Depth 2
	s_mov_b64 s[36:37], s[30:31]
	s_lshl_b64 s[30:31], s[28:29], 3
	s_add_u32 s30, s40, s30
	s_addc_u32 s31, s41, s31
	s_load_dwordx2 s[30:31], s[30:31], 0x0
	v_mov_b32_e32 v3, s37
	v_add_co_u32_e32 v2, vcc, s36, v7
	v_addc_co_u32_e32 v3, vcc, v3, v8, vcc
	s_waitcnt lgkmcnt(0)
	s_sub_u32 s34, s30, s10
	s_subb_u32 s35, s31, 0
	v_cmp_gt_i64_e32 vcc, s[34:35], v[2:3]
	v_mov_b32_e32 v13, 0
	s_and_saveexec_b64 s[36:37], vcc
	s_cbranch_execz .LBB54_18
; %bb.15:                               ;   in Loop: Header=BB54_14 Depth=1
	v_lshlrev_b64 v[4:5], 3, v[2:3]
	v_mov_b32_e32 v13, s15
	v_add_co_u32_e32 v4, vcc, s14, v4
	v_addc_co_u32_e32 v5, vcc, v13, v5, vcc
	s_mov_b64 s[38:39], 0
	v_mov_b32_e32 v13, 0
.LBB54_16:                              ;   Parent Loop BB54_14 Depth=1
                                        ; =>  This Inner Loop Header: Depth=2
	global_load_dwordx2 v[14:15], v[4:5], off
	v_add_co_u32_e32 v16, vcc, s16, v2
	v_addc_co_u32_e32 v17, vcc, v10, v3, vcc
	global_load_sbyte v16, v[16:17], off
	s_waitcnt vmcnt(1)
	v_subrev_co_u32_e32 v14, vcc, s10, v14
	v_subb_co_u32_e32 v15, vcc, v15, v9, vcc
	v_add_co_u32_e32 v14, vcc, s18, v14
	v_addc_co_u32_e32 v15, vcc, v11, v15, vcc
	global_load_sbyte v14, v[14:15], off
	v_add_co_u32_e32 v2, vcc, 0x100, v2
	v_addc_co_u32_e32 v3, vcc, 0, v3, vcc
	v_add_co_u32_e32 v4, vcc, 0x800, v4
	v_addc_co_u32_e32 v5, vcc, 0, v5, vcc
	v_cmp_le_i64_e32 vcc, s[34:35], v[2:3]
	s_or_b64 s[38:39], vcc, s[38:39]
	s_waitcnt vmcnt(0)
	v_mad_i32_i24 v13, v14, v16, v13
	s_andn2_b64 exec, exec, s[38:39]
	s_cbranch_execnz .LBB54_16
; %bb.17:                               ;   in Loop: Header=BB54_14 Depth=1
	s_or_b64 exec, exec, s[38:39]
.LBB54_18:                              ;   in Loop: Header=BB54_14 Depth=1
	s_or_b64 exec, exec, s[36:37]
	ds_write_b32 v6, v13
	s_waitcnt lgkmcnt(0)
	s_barrier
	s_and_saveexec_b64 s[34:35], s[0:1]
	s_cbranch_execz .LBB54_20
; %bb.19:                               ;   in Loop: Header=BB54_14 Depth=1
	ds_read2st64_b32 v[2:3], v6 offset1:4
	ds_read2st64_b32 v[4:5], v6 offset0:8 offset1:12
	s_waitcnt lgkmcnt(0)
	v_add_u32_e32 v3, v4, v3
	v_add3_u32 v2, v3, v5, v2
	ds_write_b32 v6, v2
.LBB54_20:                              ;   in Loop: Header=BB54_14 Depth=1
	s_or_b64 exec, exec, s[34:35]
	s_waitcnt lgkmcnt(0)
	s_barrier
	s_and_saveexec_b64 s[34:35], s[2:3]
	s_cbranch_execz .LBB54_22
; %bb.21:                               ;   in Loop: Header=BB54_14 Depth=1
	ds_read2st64_b32 v[2:3], v6 offset1:1
	ds_read2st64_b32 v[4:5], v6 offset0:2 offset1:3
	s_waitcnt lgkmcnt(0)
	v_add_u32_e32 v3, v4, v3
	v_add3_u32 v2, v3, v5, v2
	ds_write_b32 v6, v2
.LBB54_22:                              ;   in Loop: Header=BB54_14 Depth=1
	s_or_b64 exec, exec, s[34:35]
	s_waitcnt lgkmcnt(0)
	s_barrier
	s_and_saveexec_b64 s[34:35], s[4:5]
	s_cbranch_execz .LBB54_24
; %bb.23:                               ;   in Loop: Header=BB54_14 Depth=1
	ds_read2_b32 v[2:3], v6 offset1:16
	ds_read2_b32 v[4:5], v6 offset0:32 offset1:48
	s_waitcnt lgkmcnt(0)
	v_add_u32_e32 v3, v4, v3
	v_add3_u32 v2, v3, v5, v2
	ds_write_b32 v6, v2
.LBB54_24:                              ;   in Loop: Header=BB54_14 Depth=1
	s_or_b64 exec, exec, s[34:35]
	s_waitcnt lgkmcnt(0)
	s_barrier
	s_and_saveexec_b64 s[34:35], s[6:7]
	s_cbranch_execz .LBB54_26
; %bb.25:                               ;   in Loop: Header=BB54_14 Depth=1
	ds_read2_b32 v[2:3], v6 offset1:4
	ds_read2_b32 v[4:5], v6 offset0:8 offset1:12
	s_waitcnt lgkmcnt(0)
	v_add_u32_e32 v3, v4, v3
	v_add3_u32 v2, v3, v5, v2
	ds_write_b32 v6, v2
.LBB54_26:                              ;   in Loop: Header=BB54_14 Depth=1
	s_or_b64 exec, exec, s[34:35]
	s_waitcnt lgkmcnt(0)
	s_barrier
	s_and_saveexec_b64 s[34:35], s[8:9]
	s_cbranch_execz .LBB54_28
; %bb.27:                               ;   in Loop: Header=BB54_14 Depth=1
	ds_read2_b32 v[2:3], v12 offset0:1 offset1:2
	ds_read_b32 v4, v12 offset:12
	ds_read_b32 v5, v6
	s_waitcnt lgkmcnt(2)
	v_add_u32_e32 v2, v3, v2
	s_waitcnt lgkmcnt(1)
	v_add_u32_e32 v2, v2, v4
	;; [unrolled: 2-line block ×3, first 2 shown]
	ds_write_b32 v6, v2
.LBB54_28:                              ;   in Loop: Header=BB54_14 Depth=1
	s_or_b64 exec, exec, s[34:35]
	s_waitcnt lgkmcnt(0)
	s_barrier
	s_and_saveexec_b64 s[34:35], s[8:9]
	s_cbranch_execz .LBB54_13
; %bb.29:                               ;   in Loop: Header=BB54_14 Depth=1
	s_mov_b64 s[36:37], exec
	v_mbcnt_lo_u32_b32 v2, s36, 0
	v_mbcnt_hi_u32_b32 v2, s37, v2
	v_cmp_eq_u32_e32 vcc, 0, v2
	s_and_b64 s[38:39], exec, vcc
	s_mov_b64 exec, s[38:39]
	s_cbranch_execz .LBB54_13
; %bb.30:                               ;   in Loop: Header=BB54_14 Depth=1
	ds_read_b32 v2, v12
	s_lshl_b64 s[38:39], s[28:29], 2
	s_add_u32 s38, s24, s38
	s_addc_u32 s39, s25, s39
	s_bcnt1_i32_b64 s36, s[36:37]
	s_waitcnt lgkmcnt(0)
	v_mul_lo_u32 v2, v2, s11
	v_mul_lo_u32 v2, v2, s36
	global_atomic_add v12, v2, s[38:39]
	s_branch .LBB54_13
.LBB54_31:
	s_lshl_b64 s[0:1], s[22:23], 3
	s_add_u32 s0, s12, s0
	s_addc_u32 s1, s13, s1
	s_load_dwordx2 s[0:1], s[0:1], 0x0
	s_waitcnt lgkmcnt(0)
	v_mov_b32_e32 v1, s27
	v_add_co_u32_e32 v0, vcc, s26, v7
	v_addc_co_u32_e32 v1, vcc, v1, v8, vcc
	s_sub_u32 s4, s0, s10
	s_subb_u32 s5, s1, 0
	v_cmp_gt_i64_e32 vcc, s[4:5], v[0:1]
	s_and_saveexec_b64 s[0:1], vcc
	s_cbranch_execz .LBB54_40
; %bb.32:
	s_add_u32 s6, s22, -1
	s_addc_u32 s7, s23, -1
	s_add_u32 s0, s22, -2
	s_addc_u32 s1, s23, -1
	v_pk_mov_b32 v[2:3], s[20:21], s[20:21] op_sel:[0,1]
	s_cmp_lg_u64 s[0:1], s[20:21]
	v_cmp_gt_i64_e32 vcc, s[6:7], v[2:3]
	s_cselect_b64 s[0:1], -1, 0
	s_and_b64 s[0:1], vcc, s[0:1]
	v_cndmask_b32_e64 v2, 0, 1, s[0:1]
	s_mov_b64 s[8:9], 0
	v_cmp_ne_u32_e64 s[0:1], 1, v2
	v_mov_b32_e32 v6, s13
	v_mov_b32_e32 v7, s33
	;; [unrolled: 1-line block ×3, first 2 shown]
	s_branch .LBB54_34
.LBB54_33:                              ;   in Loop: Header=BB54_34 Depth=1
	s_or_b64 exec, exec, s[2:3]
	v_add_co_u32_e32 v0, vcc, 0x100, v0
	v_addc_co_u32_e32 v1, vcc, 0, v1, vcc
	v_cmp_le_i64_e32 vcc, s[4:5], v[0:1]
	s_or_b64 s[8:9], vcc, s[8:9]
	s_andn2_b64 exec, exec, s[8:9]
	s_cbranch_execz .LBB54_40
.LBB54_34:                              ; =>This Loop Header: Depth=1
                                        ;     Child Loop BB54_36 Depth 2
	s_and_b64 vcc, exec, s[0:1]
	v_pk_mov_b32 v[2:3], s[20:21], s[20:21] op_sel:[0,1]
	v_pk_mov_b32 v[4:5], s[6:7], s[6:7] op_sel:[0,1]
	s_cbranch_vccnz .LBB54_38
; %bb.35:                               ;   in Loop: Header=BB54_34 Depth=1
	s_mov_b64 s[22:23], 0
	v_pk_mov_b32 v[2:3], s[20:21], s[20:21] op_sel:[0,1]
	v_pk_mov_b32 v[4:5], s[6:7], s[6:7] op_sel:[0,1]
.LBB54_36:                              ;   Parent Loop BB54_34 Depth=1
                                        ; =>  This Inner Loop Header: Depth=2
	v_add_co_u32_e32 v9, vcc, v4, v2
	v_addc_co_u32_e32 v11, vcc, v5, v3, vcc
	v_lshrrev_b32_e32 v10, 31, v11
	v_add_co_u32_e32 v10, vcc, v9, v10
	v_addc_co_u32_e32 v11, vcc, 0, v11, vcc
	v_ashrrev_i64 v[10:11], 1, v[10:11]
	v_lshlrev_b64 v[12:13], 3, v[10:11]
	v_mov_b32_e32 v14, s13
	v_add_co_u32_e32 v12, vcc, s12, v12
	v_addc_co_u32_e32 v13, vcc, v14, v13, vcc
	global_load_dwordx2 v[12:13], v[12:13], off
	v_mov_b32_e32 v9, s33
	s_waitcnt vmcnt(0)
	v_subrev_co_u32_e32 v12, vcc, s10, v12
	v_subb_co_u32_e32 v13, vcc, v13, v9, vcc
	v_cmp_gt_i64_e32 vcc, v[12:13], v[0:1]
	v_cndmask_b32_e32 v4, v4, v10, vcc
	v_cndmask_b32_e32 v5, v5, v11, vcc
	v_cndmask_b32_e32 v2, v10, v2, vcc
	v_add_co_u32_e64 v10, s[2:3], -1, v4
	v_cndmask_b32_e32 v3, v11, v3, vcc
	v_addc_co_u32_e64 v11, s[2:3], -1, v5, s[2:3]
	v_cmp_ge_i64_e32 vcc, v[2:3], v[4:5]
	v_cmp_eq_u64_e64 s[2:3], v[2:3], v[10:11]
	s_or_b64 s[2:3], vcc, s[2:3]
	s_and_b64 s[2:3], exec, s[2:3]
	s_or_b64 s[22:23], s[2:3], s[22:23]
	s_andn2_b64 exec, exec, s[22:23]
	s_cbranch_execnz .LBB54_36
; %bb.37:                               ;   in Loop: Header=BB54_34 Depth=1
	s_or_b64 exec, exec, s[22:23]
.LBB54_38:                              ;   in Loop: Header=BB54_34 Depth=1
	v_lshlrev_b64 v[10:11], 3, v[4:5]
	v_add_co_u32_e32 v10, vcc, s12, v10
	v_addc_co_u32_e32 v11, vcc, v6, v11, vcc
	global_load_dwordx2 v[10:11], v[10:11], off
	v_lshlrev_b64 v[12:13], 3, v[0:1]
	v_add_co_u32_e32 v12, vcc, s14, v12
	v_addc_co_u32_e32 v13, vcc, v8, v13, vcc
	global_load_dwordx2 v[12:13], v[12:13], off
	s_waitcnt vmcnt(1)
	v_subrev_co_u32_e32 v10, vcc, s10, v10
	v_subb_co_u32_e32 v11, vcc, v11, v7, vcc
	v_cmp_gt_i64_e32 vcc, v[10:11], v[0:1]
	v_cndmask_b32_e32 v5, v5, v3, vcc
	v_cndmask_b32_e32 v4, v4, v2, vcc
	s_waitcnt vmcnt(0)
	v_subrev_co_u32_e32 v2, vcc, s10, v12
	v_subb_co_u32_e32 v3, vcc, v13, v7, vcc
	v_cmp_ne_u64_e32 vcc, v[2:3], v[4:5]
	s_and_saveexec_b64 s[2:3], vcc
	s_cbranch_execz .LBB54_33
; %bb.39:                               ;   in Loop: Header=BB54_34 Depth=1
	v_mov_b32_e32 v9, s17
	v_add_co_u32_e32 v10, vcc, s16, v0
	v_addc_co_u32_e32 v11, vcc, v9, v1, vcc
	global_load_sbyte v9, v[10:11], off
	v_mov_b32_e32 v10, s19
	v_add_co_u32_e32 v4, vcc, s18, v4
	v_addc_co_u32_e32 v5, vcc, v10, v5, vcc
	global_load_sbyte v4, v[4:5], off
	v_lshlrev_b64 v[2:3], 2, v[2:3]
	v_mov_b32_e32 v5, s25
	v_add_co_u32_e32 v2, vcc, s24, v2
	v_addc_co_u32_e32 v3, vcc, v5, v3, vcc
	s_waitcnt vmcnt(1)
	v_mul_lo_u32 v5, s11, v9
	s_waitcnt vmcnt(0)
	v_mul_lo_u32 v4, v5, v4
	global_atomic_add v[2:3], v4, off
	s_branch .LBB54_33
.LBB54_40:
	s_endpgm
	.section	.rodata,"a",@progbits
	.p2align	6, 0x0
	.amdhsa_kernel _ZL33csrmvn_symm_large_adaptive_kernelIllaaiiEvbT_PKS0_N9rocsparse24const_host_device_scalarIT4_EES2_PKT0_PKT1_PKT2_S6_PT3_21rocsparse_index_base_b
		.amdhsa_group_segment_fixed_size 4096
		.amdhsa_private_segment_fixed_size 0
		.amdhsa_kernarg_size 88
		.amdhsa_user_sgpr_count 6
		.amdhsa_user_sgpr_private_segment_buffer 1
		.amdhsa_user_sgpr_dispatch_ptr 0
		.amdhsa_user_sgpr_queue_ptr 0
		.amdhsa_user_sgpr_kernarg_segment_ptr 1
		.amdhsa_user_sgpr_dispatch_id 0
		.amdhsa_user_sgpr_flat_scratch_init 0
		.amdhsa_user_sgpr_kernarg_preload_length 0
		.amdhsa_user_sgpr_kernarg_preload_offset 0
		.amdhsa_user_sgpr_private_segment_size 0
		.amdhsa_uses_dynamic_stack 0
		.amdhsa_system_sgpr_private_segment_wavefront_offset 0
		.amdhsa_system_sgpr_workgroup_id_x 1
		.amdhsa_system_sgpr_workgroup_id_y 0
		.amdhsa_system_sgpr_workgroup_id_z 0
		.amdhsa_system_sgpr_workgroup_info 0
		.amdhsa_system_vgpr_workitem_id 0
		.amdhsa_next_free_vgpr 18
		.amdhsa_next_free_sgpr 42
		.amdhsa_accum_offset 20
		.amdhsa_reserve_vcc 1
		.amdhsa_reserve_flat_scratch 0
		.amdhsa_float_round_mode_32 0
		.amdhsa_float_round_mode_16_64 0
		.amdhsa_float_denorm_mode_32 3
		.amdhsa_float_denorm_mode_16_64 3
		.amdhsa_dx10_clamp 1
		.amdhsa_ieee_mode 1
		.amdhsa_fp16_overflow 0
		.amdhsa_tg_split 0
		.amdhsa_exception_fp_ieee_invalid_op 0
		.amdhsa_exception_fp_denorm_src 0
		.amdhsa_exception_fp_ieee_div_zero 0
		.amdhsa_exception_fp_ieee_overflow 0
		.amdhsa_exception_fp_ieee_underflow 0
		.amdhsa_exception_fp_ieee_inexact 0
		.amdhsa_exception_int_div_zero 0
	.end_amdhsa_kernel
	.section	.text._ZL33csrmvn_symm_large_adaptive_kernelIllaaiiEvbT_PKS0_N9rocsparse24const_host_device_scalarIT4_EES2_PKT0_PKT1_PKT2_S6_PT3_21rocsparse_index_base_b,"axG",@progbits,_ZL33csrmvn_symm_large_adaptive_kernelIllaaiiEvbT_PKS0_N9rocsparse24const_host_device_scalarIT4_EES2_PKT0_PKT1_PKT2_S6_PT3_21rocsparse_index_base_b,comdat
.Lfunc_end54:
	.size	_ZL33csrmvn_symm_large_adaptive_kernelIllaaiiEvbT_PKS0_N9rocsparse24const_host_device_scalarIT4_EES2_PKT0_PKT1_PKT2_S6_PT3_21rocsparse_index_base_b, .Lfunc_end54-_ZL33csrmvn_symm_large_adaptive_kernelIllaaiiEvbT_PKS0_N9rocsparse24const_host_device_scalarIT4_EES2_PKT0_PKT1_PKT2_S6_PT3_21rocsparse_index_base_b
                                        ; -- End function
	.section	.AMDGPU.csdata,"",@progbits
; Kernel info:
; codeLenInByte = 1636
; NumSgprs: 46
; NumVgprs: 18
; NumAgprs: 0
; TotalNumVgprs: 18
; ScratchSize: 0
; MemoryBound: 0
; FloatMode: 240
; IeeeMode: 1
; LDSByteSize: 4096 bytes/workgroup (compile time only)
; SGPRBlocks: 5
; VGPRBlocks: 2
; NumSGPRsForWavesPerEU: 46
; NumVGPRsForWavesPerEU: 18
; AccumOffset: 20
; Occupancy: 8
; WaveLimiterHint : 1
; COMPUTE_PGM_RSRC2:SCRATCH_EN: 0
; COMPUTE_PGM_RSRC2:USER_SGPR: 6
; COMPUTE_PGM_RSRC2:TRAP_HANDLER: 0
; COMPUTE_PGM_RSRC2:TGID_X_EN: 1
; COMPUTE_PGM_RSRC2:TGID_Y_EN: 0
; COMPUTE_PGM_RSRC2:TGID_Z_EN: 0
; COMPUTE_PGM_RSRC2:TIDIG_COMP_CNT: 0
; COMPUTE_PGM_RSRC3_GFX90A:ACCUM_OFFSET: 4
; COMPUTE_PGM_RSRC3_GFX90A:TG_SPLIT: 0
	.section	.text._ZN9rocsparseL22csrmvn_adaptive_kernelIiiaaffEEvbT_PKS1_PjPKT0_NS_24const_host_device_scalarIT4_EES3_S7_PKT1_PKT2_SA_PT3_21rocsparse_index_base_b,"axG",@progbits,_ZN9rocsparseL22csrmvn_adaptive_kernelIiiaaffEEvbT_PKS1_PjPKT0_NS_24const_host_device_scalarIT4_EES3_S7_PKT1_PKT2_SA_PT3_21rocsparse_index_base_b,comdat
	.globl	_ZN9rocsparseL22csrmvn_adaptive_kernelIiiaaffEEvbT_PKS1_PjPKT0_NS_24const_host_device_scalarIT4_EES3_S7_PKT1_PKT2_SA_PT3_21rocsparse_index_base_b ; -- Begin function _ZN9rocsparseL22csrmvn_adaptive_kernelIiiaaffEEvbT_PKS1_PjPKT0_NS_24const_host_device_scalarIT4_EES3_S7_PKT1_PKT2_SA_PT3_21rocsparse_index_base_b
	.p2align	8
	.type	_ZN9rocsparseL22csrmvn_adaptive_kernelIiiaaffEEvbT_PKS1_PjPKT0_NS_24const_host_device_scalarIT4_EES3_S7_PKT1_PKT2_SA_PT3_21rocsparse_index_base_b,@function
_ZN9rocsparseL22csrmvn_adaptive_kernelIiiaaffEEvbT_PKS1_PjPKT0_NS_24const_host_device_scalarIT4_EES3_S7_PKT1_PKT2_SA_PT3_21rocsparse_index_base_b: ; @_ZN9rocsparseL22csrmvn_adaptive_kernelIiiaaffEEvbT_PKS1_PjPKT0_NS_24const_host_device_scalarIT4_EES3_S7_PKT1_PKT2_SA_PT3_21rocsparse_index_base_b
; %bb.0:
	s_load_dwordx2 s[44:45], s[4:5], 0x58
	s_load_dwordx2 s[42:43], s[4:5], 0x20
	;; [unrolled: 1-line block ×3, first 2 shown]
	s_waitcnt lgkmcnt(0)
	s_bitcmp1_b32 s45, 0
	s_cselect_b64 s[2:3], -1, 0
	s_xor_b64 s[0:1], s[2:3], -1
	s_and_b64 vcc, exec, s[2:3]
	s_cbranch_vccnz .LBB55_2
; %bb.1:
	s_load_dword s42, s[42:43], 0x0
.LBB55_2:
	s_andn2_b64 vcc, exec, s[0:1]
	s_cbranch_vccnz .LBB55_4
; %bb.3:
	s_load_dword s34, s[34:35], 0x0
.LBB55_4:
	s_waitcnt lgkmcnt(0)
	v_cmp_neq_f32_e64 s[0:1], s42, 0
	v_cmp_neq_f32_e64 s[2:3], s34, 1.0
	s_or_b64 s[0:1], s[0:1], s[2:3]
	s_andn2_b64 vcc, exec, s[0:1]
	s_cbranch_vccnz .LBB55_127
; %bb.5:
	s_load_dwordx2 s[0:1], s[4:5], 0x8
	s_load_dwordx2 s[8:9], s[4:5], 0x18
	s_ashr_i32 s7, s6, 31
	s_lshl_b64 s[48:49], s[6:7], 2
	s_waitcnt lgkmcnt(0)
	s_add_u32 s0, s0, s48
	s_addc_u32 s1, s1, s49
	s_load_dwordx2 s[38:39], s[0:1], 0x0
	s_load_dwordx2 s[36:37], s[4:5], 0x50
	s_load_dwordx8 s[24:31], s[4:5], 0x28
	s_waitcnt lgkmcnt(0)
	s_sub_i32 s2, s39, s38
	s_add_u32 s8, s8, s48
	s_mov_b32 s0, s38
	s_addc_u32 s9, s9, s49
	s_ashr_i32 s1, s38, 31
	s_lshl_b64 s[46:47], s[0:1], 2
	s_add_u32 s40, s24, s46
	s_addc_u32 s41, s25, s47
	s_load_dword s33, s[8:9], 0x0
	s_load_dword s35, s[40:41], 0x0
	s_cmp_lt_i32 s2, 2
	s_mov_b64 s[0:1], -1
	s_cbranch_scc0 .LBB55_72
; %bb.6:
	s_cmp_lg_u32 s2, 1
	s_cselect_b64 s[0:1], -1, 0
	s_waitcnt lgkmcnt(0)
	s_cmp_lg_u32 s33, 0
	s_cselect_b64 s[2:3], -1, 0
	s_or_b64 s[2:3], s[0:1], s[2:3]
	s_mov_b64 s[0:1], -1
	s_and_b64 vcc, exec, s[2:3]
	s_cbranch_vccnz .LBB55_35
; %bb.7:
	s_cmp_le_i32 s39, s38
	s_cbranch_scc1 .LBB55_34
; %bb.8:
	v_cmp_neq_f32_e64 s[20:21], s34, 0
	s_movk_i32 s0, 0x80
	s_add_u32 s7, s24, 4
	v_cndmask_b32_e64 v2, 0, 1, s[20:21]
	v_subrev_u32_e32 v1, s44, v0
	v_lshlrev_b32_e32 v8, 2, v0
	v_cmp_gt_u32_e64 s[0:1], s0, v0
	v_cmp_gt_u32_e64 s[2:3], 64, v0
	;; [unrolled: 1-line block ×7, first 2 shown]
	v_cmp_eq_u32_e64 s[18:19], 0, v0
	s_addc_u32 s43, s25, 0
	v_mov_b32_e32 v9, s31
	v_mov_b32_e32 v10, 0
	v_cmp_ne_u32_e64 s[20:21], 1, v2
	s_mov_b32 s45, s35
	s_mov_b32 s50, s38
	s_branch .LBB55_11
.LBB55_9:                               ;   in Loop: Header=BB55_11 Depth=1
	s_add_u32 s52, s36, s52
	s_addc_u32 s53, s37, s53
	s_waitcnt lgkmcnt(0)
	global_store_dword v10, v2, s[52:53]
.LBB55_10:                              ;   in Loop: Header=BB55_11 Depth=1
	s_or_b64 exec, exec, s[22:23]
	s_add_i32 s50, s50, 1
	s_cmp_ge_i32 s50, s39
	s_cbranch_scc1 .LBB55_34
.LBB55_11:                              ; =>This Loop Header: Depth=1
                                        ;     Child Loop BB55_13 Depth 2
	s_ashr_i32 s51, s50, 31
	s_lshl_b64 s[52:53], s[50:51], 2
	s_add_u32 s22, s7, s52
	s_addc_u32 s23, s43, s53
	s_mov_b32 s54, s45
	s_load_dword s45, s[22:23], 0x0
	v_add_u32_e32 v2, s54, v1
	v_mov_b32_e32 v3, 0
	s_waitcnt lgkmcnt(0)
	s_sub_i32 s51, s45, s44
	v_cmp_gt_i32_e32 vcc, s51, v2
	s_and_saveexec_b64 s[54:55], vcc
	s_cbranch_execz .LBB55_15
; %bb.12:                               ;   in Loop: Header=BB55_11 Depth=1
	v_ashrrev_i32_e32 v3, 31, v2
	v_mov_b32_e32 v5, s29
	v_add_co_u32_e32 v4, vcc, s28, v2
	v_addc_co_u32_e32 v5, vcc, v5, v3, vcc
	v_lshlrev_b64 v[6:7], 2, v[2:3]
	v_mov_b32_e32 v3, s27
	v_add_co_u32_e32 v6, vcc, s26, v6
	v_addc_co_u32_e32 v7, vcc, v3, v7, vcc
	s_mov_b64 s[56:57], 0
	v_mov_b32_e32 v3, 0
.LBB55_13:                              ;   Parent Loop BB55_11 Depth=1
                                        ; =>  This Inner Loop Header: Depth=2
	global_load_dword v11, v[6:7], off
	global_load_sbyte v14, v[4:5], off
	v_add_u32_e32 v2, 0x100, v2
	v_cmp_le_i32_e64 s[22:23], s51, v2
	s_or_b64 s[56:57], s[22:23], s[56:57]
	s_waitcnt vmcnt(1)
	v_subrev_u32_e32 v11, s44, v11
	v_ashrrev_i32_e32 v13, 31, v11
	v_add_co_u32_e32 v12, vcc, s30, v11
	v_addc_co_u32_e32 v13, vcc, v9, v13, vcc
	global_load_sbyte v11, v[12:13], off
	s_waitcnt vmcnt(1)
	v_cvt_f32_i32_e32 v12, v14
	v_add_co_u32_e32 v4, vcc, 0x100, v4
	v_addc_co_u32_e32 v5, vcc, 0, v5, vcc
	v_add_co_u32_e32 v6, vcc, 0x400, v6
	v_mul_f32_e32 v12, s42, v12
	v_addc_co_u32_e32 v7, vcc, 0, v7, vcc
	s_waitcnt vmcnt(0)
	v_cvt_f32_i32_e32 v11, v11
	v_fmac_f32_e32 v3, v12, v11
	s_andn2_b64 exec, exec, s[56:57]
	s_cbranch_execnz .LBB55_13
; %bb.14:                               ;   in Loop: Header=BB55_11 Depth=1
	s_or_b64 exec, exec, s[56:57]
.LBB55_15:                              ;   in Loop: Header=BB55_11 Depth=1
	s_or_b64 exec, exec, s[54:55]
	ds_write_b32 v8, v3
	s_waitcnt lgkmcnt(0)
	s_barrier
	s_and_saveexec_b64 s[22:23], s[0:1]
	s_cbranch_execz .LBB55_17
; %bb.16:                               ;   in Loop: Header=BB55_11 Depth=1
	ds_read2st64_b32 v[2:3], v8 offset1:2
	s_waitcnt lgkmcnt(0)
	v_add_f32_e32 v2, v2, v3
	ds_write_b32 v8, v2
.LBB55_17:                              ;   in Loop: Header=BB55_11 Depth=1
	s_or_b64 exec, exec, s[22:23]
	s_waitcnt lgkmcnt(0)
	s_barrier
	s_and_saveexec_b64 s[22:23], s[2:3]
	s_cbranch_execz .LBB55_19
; %bb.18:                               ;   in Loop: Header=BB55_11 Depth=1
	ds_read2st64_b32 v[2:3], v8 offset1:1
	s_waitcnt lgkmcnt(0)
	v_add_f32_e32 v2, v2, v3
	ds_write_b32 v8, v2
.LBB55_19:                              ;   in Loop: Header=BB55_11 Depth=1
	s_or_b64 exec, exec, s[22:23]
	s_waitcnt lgkmcnt(0)
	s_barrier
	s_and_saveexec_b64 s[22:23], s[8:9]
	s_cbranch_execz .LBB55_21
; %bb.20:                               ;   in Loop: Header=BB55_11 Depth=1
	ds_read2_b32 v[2:3], v8 offset1:32
	s_waitcnt lgkmcnt(0)
	v_add_f32_e32 v2, v2, v3
	ds_write_b32 v8, v2
.LBB55_21:                              ;   in Loop: Header=BB55_11 Depth=1
	s_or_b64 exec, exec, s[22:23]
	s_waitcnt lgkmcnt(0)
	s_barrier
	s_and_saveexec_b64 s[22:23], s[10:11]
	s_cbranch_execz .LBB55_23
; %bb.22:                               ;   in Loop: Header=BB55_11 Depth=1
	ds_read2_b32 v[2:3], v8 offset1:16
	s_waitcnt lgkmcnt(0)
	v_add_f32_e32 v2, v2, v3
	ds_write_b32 v8, v2
.LBB55_23:                              ;   in Loop: Header=BB55_11 Depth=1
	;; [unrolled: 11-line block ×5, first 2 shown]
	s_or_b64 exec, exec, s[22:23]
	s_waitcnt lgkmcnt(0)
	s_barrier
	s_and_saveexec_b64 s[22:23], s[18:19]
	s_cbranch_execz .LBB55_31
; %bb.30:                               ;   in Loop: Header=BB55_11 Depth=1
	ds_read_b64 v[2:3], v10
	s_waitcnt lgkmcnt(0)
	v_add_f32_e32 v2, v2, v3
	ds_write_b32 v10, v2
.LBB55_31:                              ;   in Loop: Header=BB55_11 Depth=1
	s_or_b64 exec, exec, s[22:23]
	s_waitcnt lgkmcnt(0)
	s_barrier
	s_and_saveexec_b64 s[22:23], s[18:19]
	s_cbranch_execz .LBB55_10
; %bb.32:                               ;   in Loop: Header=BB55_11 Depth=1
	ds_read_b32 v2, v10
	s_and_b64 vcc, exec, s[20:21]
	s_cbranch_vccnz .LBB55_9
; %bb.33:                               ;   in Loop: Header=BB55_11 Depth=1
	s_add_u32 s54, s36, s52
	s_addc_u32 s55, s37, s53
	global_load_dword v3, v10, s[54:55]
	s_waitcnt vmcnt(0) lgkmcnt(0)
	v_fmac_f32_e32 v2, s34, v3
	s_branch .LBB55_9
.LBB55_34:
	s_mov_b64 s[0:1], 0
.LBB55_35:
	s_andn2_b64 vcc, exec, s[0:1]
	s_cbranch_vccnz .LBB55_71
; %bb.36:
	s_load_dwordx2 s[8:9], s[4:5], 0x10
	s_sub_i32 s6, s6, s33
	v_or_b32_e32 v1, s33, v0
	v_cmp_eq_u32_e32 vcc, 0, v1
	v_mov_b32_e32 v1, 0
	s_waitcnt lgkmcnt(0)
	s_add_u32 s2, s8, s48
	s_addc_u32 s3, s9, s49
	s_load_dword s14, s[2:3], 0x0
	s_and_saveexec_b64 s[0:1], vcc
	s_cbranch_execz .LBB55_40
; %bb.37:
	s_add_u32 s12, s36, s46
	s_addc_u32 s13, s37, s47
	s_load_dword s15, s[12:13], 0x0
	s_mov_b64 s[10:11], exec
	v_mbcnt_lo_u32_b32 v2, s10, 0
	v_mbcnt_hi_u32_b32 v2, s11, v2
	v_add_f32_e64 v1, s34, -1.0
	v_cmp_eq_u32_e32 vcc, 0, v2
	s_waitcnt vmcnt(0) expcnt(0) lgkmcnt(0)
	s_and_saveexec_b64 s[12:13], vcc
	s_cbranch_execz .LBB55_39
; %bb.38:
	s_ashr_i32 s7, s6, 31
	s_lshl_b64 s[16:17], s[6:7], 2
	s_add_u32 s16, s8, s16
	s_addc_u32 s17, s9, s17
	s_bcnt1_i32_b64 s7, s[10:11]
	s_and_b32 s7, s7, 1
	v_mov_b32_e32 v2, 0
	v_mov_b32_e32 v3, s7
	global_atomic_xor v2, v3, s[16:17]
.LBB55_39:
	s_or_b64 exec, exec, s[12:13]
	v_mul_f32_e32 v1, s15, v1
.LBB55_40:
	s_or_b64 exec, exec, s[0:1]
	s_load_dword s1, s[40:41], 0x4
	s_mul_i32 s0, s33, 0xc00
	s_sub_i32 s7, s35, s44
	s_add_i32 s0, s7, s0
	v_add_u32_e32 v2, s0, v0
	s_waitcnt lgkmcnt(0)
	s_sub_i32 s1, s1, s44
	v_cmp_gt_i32_e32 vcc, s1, v2
	s_and_saveexec_b64 s[10:11], vcc
	s_cbranch_execz .LBB55_44
; %bb.41:
	v_ashrrev_i32_e32 v3, 31, v2
	v_mov_b32_e32 v5, s29
	v_add_co_u32_e32 v4, vcc, s28, v2
	v_addc_co_u32_e32 v5, vcc, v5, v3, vcc
	v_lshlrev_b64 v[6:7], 2, v[2:3]
	s_addk_i32 s0, 0xc00
	v_mov_b32_e32 v3, s27
	v_add_co_u32_e32 v6, vcc, s26, v6
	s_min_i32 s7, s0, s1
	v_addc_co_u32_e32 v7, vcc, v3, v7, vcc
	s_mov_b64 s[12:13], 0
	v_mov_b32_e32 v3, s31
.LBB55_42:                              ; =>This Inner Loop Header: Depth=1
	global_load_dword v8, v[6:7], off
	global_load_sbyte v10, v[4:5], off
	v_add_u32_e32 v2, 0x100, v2
	v_cmp_le_i32_e64 s[0:1], s7, v2
	s_or_b64 s[12:13], s[0:1], s[12:13]
	s_waitcnt vmcnt(1)
	v_subrev_u32_e32 v8, s44, v8
	v_ashrrev_i32_e32 v9, 31, v8
	v_add_co_u32_e32 v8, vcc, s30, v8
	v_addc_co_u32_e32 v9, vcc, v3, v9, vcc
	global_load_sbyte v8, v[8:9], off
	s_waitcnt vmcnt(1)
	v_cvt_f32_i32_e32 v9, v10
	v_add_co_u32_e32 v4, vcc, 0x100, v4
	v_addc_co_u32_e32 v5, vcc, 0, v5, vcc
	v_add_co_u32_e32 v6, vcc, 0x400, v6
	v_mul_f32_e32 v9, s42, v9
	v_addc_co_u32_e32 v7, vcc, 0, v7, vcc
	s_waitcnt vmcnt(0)
	v_cvt_f32_i32_e32 v8, v8
	v_fmac_f32_e32 v1, v9, v8
	s_andn2_b64 exec, exec, s[12:13]
	s_cbranch_execnz .LBB55_42
; %bb.43:
	s_or_b64 exec, exec, s[12:13]
.LBB55_44:
	s_or_b64 exec, exec, s[10:11]
	s_movk_i32 s0, 0x80
	v_lshlrev_b32_e32 v2, 2, v0
	v_cmp_gt_u32_e32 vcc, s0, v0
	ds_write_b32 v2, v1
	s_waitcnt lgkmcnt(0)
	s_barrier
	s_and_saveexec_b64 s[0:1], vcc
	s_cbranch_execz .LBB55_46
; %bb.45:
	ds_read2st64_b32 v[4:5], v2 offset1:2
	s_waitcnt lgkmcnt(0)
	v_add_f32_e32 v1, v4, v5
	ds_write_b32 v2, v1
.LBB55_46:
	s_or_b64 exec, exec, s[0:1]
	v_cmp_gt_u32_e32 vcc, 64, v0
	s_waitcnt lgkmcnt(0)
	s_barrier
	s_and_saveexec_b64 s[0:1], vcc
	s_cbranch_execz .LBB55_48
; %bb.47:
	ds_read2st64_b32 v[4:5], v2 offset1:1
	s_waitcnt lgkmcnt(0)
	v_add_f32_e32 v1, v4, v5
	ds_write_b32 v2, v1
.LBB55_48:
	s_or_b64 exec, exec, s[0:1]
	v_cmp_gt_u32_e32 vcc, 32, v0
	s_waitcnt lgkmcnt(0)
	s_barrier
	s_and_saveexec_b64 s[0:1], vcc
	s_cbranch_execz .LBB55_50
; %bb.49:
	ds_read2_b32 v[4:5], v2 offset1:32
	s_waitcnt lgkmcnt(0)
	v_add_f32_e32 v1, v4, v5
	ds_write_b32 v2, v1
.LBB55_50:
	s_or_b64 exec, exec, s[0:1]
	v_cmp_gt_u32_e32 vcc, 16, v0
	s_waitcnt lgkmcnt(0)
	s_barrier
	s_and_saveexec_b64 s[0:1], vcc
	s_cbranch_execz .LBB55_52
; %bb.51:
	ds_read2_b32 v[4:5], v2 offset1:16
	s_waitcnt lgkmcnt(0)
	v_add_f32_e32 v1, v4, v5
	ds_write_b32 v2, v1
.LBB55_52:
	;; [unrolled: 12-line block ×5, first 2 shown]
	s_or_b64 exec, exec, s[0:1]
	v_cmp_eq_u32_e32 vcc, 0, v0
	s_waitcnt lgkmcnt(0)
	s_barrier
	s_and_saveexec_b64 s[0:1], vcc
	s_cbranch_execz .LBB55_60
; %bb.59:
	v_mov_b32_e32 v1, 0
	ds_read_b64 v[2:3], v1
	s_waitcnt lgkmcnt(0)
	v_add_f32_e32 v2, v2, v3
	ds_write_b32 v1, v2
.LBB55_60:
	s_or_b64 exec, exec, s[0:1]
	s_waitcnt lgkmcnt(0)
	s_barrier
	s_and_saveexec_b64 s[0:1], vcc
	s_cbranch_execz .LBB55_70
; %bb.61:
	s_cmp_eq_u32 s33, 0
	s_cbranch_scc1 .LBB55_67
; %bb.62:
	s_ashr_i32 s7, s6, 31
	s_lshl_b64 s[6:7], s[6:7], 2
	s_add_u32 s6, s8, s6
	s_addc_u32 s7, s9, s7
	v_mov_b32_e32 v1, 0
	s_branch .LBB55_64
.LBB55_63:                              ;   in Loop: Header=BB55_64 Depth=1
	s_or_b64 exec, exec, s[8:9]
	s_waitcnt vmcnt(0)
	v_readfirstlane_b32 s8, v2
	s_cmp_eq_u32 s8, s14
	s_cbranch_scc0 .LBB55_66
.LBB55_64:                              ; =>This Inner Loop Header: Depth=1
	v_mbcnt_lo_u32_b32 v2, exec_lo, 0
	v_mbcnt_hi_u32_b32 v2, exec_hi, v2
	v_cmp_eq_u32_e32 vcc, 0, v2
                                        ; implicit-def: $vgpr2
	s_and_saveexec_b64 s[8:9], vcc
	s_cbranch_execz .LBB55_63
; %bb.65:                               ;   in Loop: Header=BB55_64 Depth=1
	global_load_dword v2, v1, s[6:7] glc
	s_branch .LBB55_63
.LBB55_66:
	v_mov_b32_e32 v1, 0
	global_load_dword v2, v1, s[2:3]
	s_waitcnt vmcnt(0)
	v_xor_b32_e32 v2, 1, v2
	global_store_dword v1, v2, s[2:3]
.LBB55_67:
	s_mov_b64 s[6:7], exec
	v_mbcnt_lo_u32_b32 v1, s6, 0
	v_mbcnt_hi_u32_b32 v1, s7, v1
	v_cmp_eq_u32_e32 vcc, 0, v1
	s_and_b64 s[2:3], exec, vcc
	s_mov_b64 exec, s[2:3]
	s_cbranch_execz .LBB55_70
; %bb.68:
	s_add_u32 s2, s36, s46
	s_addc_u32 s3, s37, s47
	v_mov_b32_e32 v1, 0
	global_load_dword v3, v1, s[2:3]
	ds_read_b32 v2, v1
	s_bcnt1_i32_b64 s6, s[6:7]
	v_cvt_f32_ubyte0_e32 v4, s6
	s_mov_b64 s[6:7], 0
	s_waitcnt lgkmcnt(0)
	v_mul_f32_e32 v4, v2, v4
.LBB55_69:                              ; =>This Inner Loop Header: Depth=1
	s_waitcnt vmcnt(0)
	v_add_f32_e32 v2, v3, v4
	global_atomic_cmpswap v2, v1, v[2:3], s[2:3] glc
	s_waitcnt vmcnt(0)
	v_cmp_eq_u32_e32 vcc, v2, v3
	s_or_b64 s[6:7], vcc, s[6:7]
	v_mov_b32_e32 v3, v2
	s_andn2_b64 exec, exec, s[6:7]
	s_cbranch_execnz .LBB55_69
.LBB55_70:
	s_or_b64 exec, exec, s[0:1]
.LBB55_71:
	s_mov_b64 s[0:1], 0
.LBB55_72:
	s_andn2_b64 vcc, exec, s[0:1]
	s_cbranch_vccnz .LBB55_127
; %bb.73:
	s_load_dword s0, s[4:5], 0x4
	v_subrev_u32_e32 v1, s44, v0
	s_waitcnt lgkmcnt(0)
	v_add_u32_e32 v2, s35, v1
	v_add_u32_e32 v1, 0x300, v2
	v_cmp_le_i32_e32 vcc, s0, v1
	s_and_saveexec_b64 s[0:1], vcc
	s_xor_b64 s[2:3], exec, s[0:1]
	s_cbranch_execz .LBB55_89
; %bb.74:
	s_ashr_i32 s1, s39, 31
	s_mov_b32 s0, s39
	s_lshl_b64 s[0:1], s[0:1], 2
	s_add_u32 s0, s24, s0
	s_addc_u32 s1, s25, s1
	s_load_dword s0, s[0:1], 0x0
	s_waitcnt lgkmcnt(0)
	s_sub_i32 s16, s0, s44
	v_cmp_gt_i32_e32 vcc, s16, v2
	s_and_saveexec_b64 s[4:5], vcc
	s_cbranch_execz .LBB55_88
; %bb.75:
	v_add_u32_e32 v1, s35, v0
	v_subrev_u32_e32 v1, s44, v1
	v_add_u32_e32 v1, 0x100, v1
	v_max_i32_e32 v1, s16, v1
	v_not_b32_e32 v3, v0
	v_add3_u32 v1, v1, s44, v3
	v_subrev_u32_e32 v3, s35, v1
	s_movk_i32 s0, 0xf00
	v_cmp_gt_u32_e64 s[6:7], s0, v3
	s_movk_i32 s0, 0xeff
	v_cmp_lt_u32_e32 vcc, s0, v3
	v_mov_b32_e32 v1, 0
	s_and_saveexec_b64 s[8:9], vcc
	s_cbranch_execz .LBB55_85
; %bb.76:
	v_and_b32_e32 v1, 0xffffff00, v3
	v_add_u32_e32 v1, v2, v1
	v_cmp_ge_i32_e32 vcc, v1, v2
	s_mov_b64 s[0:1], -1
	v_mov_b32_e32 v1, 0
	s_and_saveexec_b64 s[10:11], vcc
	s_cbranch_execz .LBB55_84
; %bb.77:
	v_lshrrev_b32_e32 v1, 8, v3
	v_add_u32_e32 v3, -1, v1
	s_mov_b32 s43, s42
	s_mov_b32 s17, s44
	v_cmp_lt_u32_e32 vcc, 1, v3
	v_mov_b32_e32 v8, 0x100
	v_mov_b32_e32 v9, 0
	s_and_saveexec_b64 s[12:13], vcc
	s_cbranch_execz .LBB55_81
; %bb.78:
	v_lshrrev_b32_e32 v4, 1, v3
	v_add_u32_e32 v4, 1, v4
	v_and_b32_e32 v4, -2, v4
	s_movk_i32 s18, 0x100
	s_mov_b32 s19, 0
	s_mov_b64 s[14:15], 0
	v_mov_b32_e32 v5, s29
	v_mov_b32_e32 v6, s27
	;; [unrolled: 1-line block ×3, first 2 shown]
.LBB55_79:                              ; =>This Inner Loop Header: Depth=1
	v_add_u32_e32 v8, s19, v2
	v_ashrrev_i32_e32 v9, 31, v8
	v_add_u32_e32 v10, s18, v2
	v_lshlrev_b64 v[16:17], 2, v[8:9]
	s_add_i32 s21, s19, 0x200
	v_ashrrev_i32_e32 v11, 31, v10
	v_add_co_u32_e32 v16, vcc, s26, v16
	v_add_u32_e32 v12, s21, v2
	v_lshlrev_b64 v[18:19], 2, v[10:11]
	v_addc_co_u32_e32 v17, vcc, v6, v17, vcc
	s_add_i32 s20, s18, 0x200
	v_ashrrev_i32_e32 v13, 31, v12
	v_add_co_u32_e32 v18, vcc, s26, v18
	v_add_u32_e32 v14, s20, v2
	v_addc_co_u32_e32 v19, vcc, v6, v19, vcc
	v_lshlrev_b64 v[20:21], 2, v[12:13]
	v_ashrrev_i32_e32 v15, 31, v14
	global_load_dword v24, v[16:17], off
	global_load_dword v25, v[18:19], off
	v_add_co_u32_e32 v16, vcc, s26, v20
	v_lshlrev_b64 v[22:23], 2, v[14:15]
	v_addc_co_u32_e32 v17, vcc, v6, v21, vcc
	v_add_co_u32_e32 v18, vcc, s26, v22
	v_addc_co_u32_e32 v19, vcc, v6, v23, vcc
	global_load_dword v20, v[16:17], off
	global_load_dword v21, v[18:19], off
	v_add_co_u32_e32 v10, vcc, s28, v10
	v_add_co_u32_e64 v8, s[0:1], s28, v8
	v_addc_co_u32_e64 v9, s[0:1], v5, v9, s[0:1]
	v_addc_co_u32_e32 v11, vcc, v5, v11, vcc
	v_add_co_u32_e32 v12, vcc, s28, v12
	v_add_co_u32_e64 v14, s[0:1], s28, v14
	global_load_sbyte v16, v[8:9], off
	global_load_sbyte v17, v[10:11], off
	v_addc_co_u32_e32 v13, vcc, v5, v13, vcc
	v_addc_co_u32_e64 v15, vcc, v5, v15, s[0:1]
	global_load_sbyte v18, v[12:13], off
	global_load_sbyte v19, v[14:15], off
	v_add_u32_e32 v4, -2, v4
	v_add_lshl_u32 v26, s21, v0, 2
	v_add_lshl_u32 v27, s20, v0, 2
	s_waitcnt vmcnt(7)
	v_subrev_u32_e32 v9, s44, v24
	s_waitcnt vmcnt(6)
	v_subrev_u32_e32 v8, s17, v25
	v_ashrrev_i32_e32 v12, 31, v8
	v_ashrrev_i32_e32 v11, 31, v9
	v_add_co_u32_e32 v8, vcc, s30, v8
	v_add_co_u32_e64 v10, s[0:1], s30, v9
	v_addc_co_u32_e64 v11, s[0:1], v7, v11, s[0:1]
	s_waitcnt vmcnt(5)
	v_subrev_u32_e32 v13, s44, v20
	s_waitcnt vmcnt(4)
	v_subrev_u32_e32 v14, s17, v21
	v_addc_co_u32_e32 v9, vcc, v7, v12, vcc
	v_ashrrev_i32_e32 v15, 31, v14
	v_ashrrev_i32_e32 v20, 31, v13
	v_add_co_u32_e32 v12, vcc, s30, v13
	v_add_co_u32_e64 v14, s[0:1], s30, v14
	global_load_sbyte v21, v[10:11], off
	global_load_sbyte v22, v[8:9], off
	v_addc_co_u32_e32 v13, vcc, v7, v20, vcc
	v_addc_co_u32_e64 v15, vcc, v7, v15, s[0:1]
	global_load_sbyte v20, v[14:15], off
	global_load_sbyte v23, v[12:13], off
	s_waitcnt vmcnt(6)
	v_cvt_f32_i32_e32 v11, v17
	v_cvt_f32_i32_e32 v10, v16
	s_waitcnt vmcnt(5)
	v_cvt_f32_i32_e32 v12, v18
	s_waitcnt vmcnt(4)
	v_cvt_f32_i32_e32 v13, v19
	v_add_lshl_u32 v24, s19, v0, 2
	v_pk_mul_f32 v[10:11], s[42:43], v[10:11]
	v_add_lshl_u32 v25, s18, v0, 2
	s_addk_i32 s19, 0x400
	s_addk_i32 s18, 0x400
	v_cmp_eq_u32_e32 vcc, 0, v4
	v_pk_mul_f32 v[12:13], s[42:43], v[12:13]
	v_mov_b32_e32 v9, s19
	v_mov_b32_e32 v8, s18
	s_or_b64 s[14:15], vcc, s[14:15]
	s_waitcnt vmcnt(3)
	v_cvt_f32_i32_e32 v14, v21
	s_waitcnt vmcnt(2)
	v_cvt_f32_i32_e32 v15, v22
	;; [unrolled: 2-line block ×4, first 2 shown]
	v_pk_mul_f32 v[10:11], v[10:11], v[14:15]
	ds_write_b32 v24, v10
	ds_write_b32 v25, v11
	v_pk_mul_f32 v[10:11], v[12:13], v[16:17]
	ds_write_b32 v26, v10
	ds_write_b32 v27, v11
	s_andn2_b64 exec, exec, s[14:15]
	s_cbranch_execnz .LBB55_79
; %bb.80:
	s_or_b64 exec, exec, s[14:15]
.LBB55_81:
	s_or_b64 exec, exec, s[12:13]
	v_and_b32_e32 v3, 2, v3
	v_cmp_eq_u32_e32 vcc, 0, v3
	s_and_saveexec_b64 s[0:1], vcc
	s_cbranch_execz .LBB55_83
; %bb.82:
	v_add_u32_e32 v4, v9, v2
	v_ashrrev_i32_e32 v5, 31, v4
	v_add_u32_e32 v2, v8, v2
	v_lshlrev_b64 v[6:7], 2, v[4:5]
	v_ashrrev_i32_e32 v3, 31, v2
	v_mov_b32_e32 v12, s27
	v_add_co_u32_e32 v6, vcc, s26, v6
	v_addc_co_u32_e32 v7, vcc, v12, v7, vcc
	v_lshlrev_b64 v[10:11], 2, v[2:3]
	v_add_co_u32_e32 v10, vcc, s26, v10
	v_addc_co_u32_e32 v11, vcc, v12, v11, vcc
	global_load_dword v12, v[6:7], off
	global_load_dword v13, v[10:11], off
	v_mov_b32_e32 v6, s29
	v_add_co_u32_e32 v4, vcc, s28, v4
	v_addc_co_u32_e32 v5, vcc, v6, v5, vcc
	v_add_co_u32_e32 v2, vcc, s28, v2
	v_addc_co_u32_e32 v3, vcc, v6, v3, vcc
	global_load_sbyte v6, v[4:5], off
	global_load_sbyte v10, v[2:3], off
	v_mov_b32_e32 v7, s31
	s_waitcnt vmcnt(3)
	v_subrev_u32_e32 v2, s44, v12
	v_ashrrev_i32_e32 v3, 31, v2
	v_add_co_u32_e32 v2, vcc, s30, v2
	s_waitcnt vmcnt(2)
	v_subrev_u32_e32 v4, s17, v13
	v_addc_co_u32_e32 v3, vcc, v7, v3, vcc
	v_ashrrev_i32_e32 v5, 31, v4
	v_add_co_u32_e32 v4, vcc, s30, v4
	v_addc_co_u32_e32 v5, vcc, v7, v5, vcc
	global_load_sbyte v7, v[4:5], off
	global_load_sbyte v11, v[2:3], off
	s_waitcnt vmcnt(2)
	v_cvt_f32_i32_e32 v3, v10
	v_cvt_f32_i32_e32 v2, v6
	v_add_lshl_u32 v6, v9, v0, 2
	v_pk_mul_f32 v[2:3], s[42:43], v[2:3]
	s_waitcnt vmcnt(1)
	v_cvt_f32_i32_e32 v5, v7
	s_waitcnt vmcnt(0)
	v_cvt_f32_i32_e32 v4, v11
	v_add_lshl_u32 v7, v8, v0, 2
	v_pk_mul_f32 v[2:3], v[2:3], v[4:5]
	ds_write_b32 v6, v2
	ds_write_b32 v7, v3
.LBB55_83:
	s_or_b64 exec, exec, s[0:1]
	v_add_u32_e32 v2, 1, v1
	v_and_b32_e32 v3, 0x1fffffe, v2
	v_cmp_ne_u32_e32 vcc, v2, v3
	v_lshlrev_b32_e32 v1, 8, v3
	s_orn2_b64 s[0:1], vcc, exec
.LBB55_84:
	s_or_b64 exec, exec, s[10:11]
	s_andn2_b64 s[6:7], s[6:7], exec
	s_and_b64 s[0:1], s[0:1], exec
	s_or_b64 s[6:7], s[6:7], s[0:1]
.LBB55_85:
	s_or_b64 exec, exec, s[8:9]
	s_and_b64 exec, exec, s[6:7]
	s_cbranch_execz .LBB55_88
; %bb.86:
	v_add_u32_e32 v1, v0, v1
	v_add_u32_e32 v2, s35, v1
	v_subrev_u32_e32 v2, s44, v2
	v_lshlrev_b32_e32 v1, 2, v1
	s_mov_b64 s[0:1], 0
	v_mov_b32_e32 v4, s29
	v_mov_b32_e32 v5, s27
	;; [unrolled: 1-line block ×3, first 2 shown]
.LBB55_87:                              ; =>This Inner Loop Header: Depth=1
	v_ashrrev_i32_e32 v3, 31, v2
	v_lshlrev_b64 v[8:9], 2, v[2:3]
	v_add_co_u32_e32 v8, vcc, s26, v8
	v_addc_co_u32_e32 v9, vcc, v5, v9, vcc
	global_load_dword v7, v[8:9], off
	v_add_co_u32_e32 v8, vcc, s28, v2
	v_addc_co_u32_e32 v9, vcc, v4, v3, vcc
	global_load_sbyte v3, v[8:9], off
	v_add_u32_e32 v2, 0x100, v2
	s_waitcnt vmcnt(1)
	v_subrev_u32_e32 v7, s44, v7
	v_ashrrev_i32_e32 v9, 31, v7
	v_add_co_u32_e32 v8, vcc, s30, v7
	v_addc_co_u32_e32 v9, vcc, v6, v9, vcc
	global_load_sbyte v7, v[8:9], off
	s_waitcnt vmcnt(1)
	v_cvt_f32_i32_e32 v3, v3
	v_cmp_le_i32_e32 vcc, s16, v2
	s_or_b64 s[0:1], vcc, s[0:1]
	v_mul_f32_e32 v3, s42, v3
	s_waitcnt vmcnt(0)
	v_cvt_f32_i32_e32 v7, v7
	v_mul_f32_e32 v3, v3, v7
	ds_write_b32 v1, v3
	v_add_u32_e32 v1, 0x400, v1
	s_andn2_b64 exec, exec, s[0:1]
	s_cbranch_execnz .LBB55_87
.LBB55_88:
	s_or_b64 exec, exec, s[4:5]
                                        ; implicit-def: $vgpr2
.LBB55_89:
	s_or_saveexec_b64 s[0:1], s[2:3]
	v_lshlrev_b32_e32 v1, 2, v0
	s_xor_b64 exec, exec, s[0:1]
	s_cbranch_execz .LBB55_91
; %bb.90:
	v_ashrrev_i32_e32 v3, 31, v2
	v_lshlrev_b64 v[4:5], 2, v[2:3]
	v_mov_b32_e32 v6, s27
	v_add_co_u32_e32 v4, vcc, s26, v4
	v_addc_co_u32_e32 v5, vcc, v6, v5, vcc
	global_load_dword v6, v[4:5], off
	global_load_dword v7, v[4:5], off offset:1024
	global_load_dword v8, v[4:5], off offset:2048
	;; [unrolled: 1-line block ×3, first 2 shown]
	v_mov_b32_e32 v4, s29
	v_add_co_u32_e32 v2, vcc, s28, v2
	v_addc_co_u32_e32 v3, vcc, v4, v3, vcc
	global_load_sbyte v11, v[2:3], off
	global_load_sbyte v12, v[2:3], off offset:256
	global_load_sbyte v13, v[2:3], off offset:512
	;; [unrolled: 1-line block ×3, first 2 shown]
	v_mov_b32_e32 v10, s31
	s_waitcnt vmcnt(7)
	v_subrev_u32_e32 v2, s44, v6
	v_ashrrev_i32_e32 v3, 31, v2
	v_add_co_u32_e32 v2, vcc, s30, v2
	s_waitcnt vmcnt(6)
	v_subrev_u32_e32 v4, s44, v7
	v_addc_co_u32_e32 v3, vcc, v10, v3, vcc
	v_ashrrev_i32_e32 v5, 31, v4
	v_add_co_u32_e32 v4, vcc, s30, v4
	s_waitcnt vmcnt(5)
	v_subrev_u32_e32 v6, s44, v8
	v_addc_co_u32_e32 v5, vcc, v10, v5, vcc
	;; [unrolled: 5-line block ×3, first 2 shown]
	v_ashrrev_i32_e32 v9, 31, v8
	v_add_co_u32_e32 v8, vcc, s30, v8
	v_addc_co_u32_e32 v9, vcc, v10, v9, vcc
	global_load_sbyte v10, v[2:3], off
	global_load_sbyte v15, v[4:5], off
	;; [unrolled: 1-line block ×4, first 2 shown]
	s_waitcnt vmcnt(7)
	v_cvt_f32_i32_e32 v2, v11
	s_waitcnt vmcnt(6)
	v_cvt_f32_i32_e32 v3, v12
	;; [unrolled: 2-line block ×4, first 2 shown]
	v_mul_f32_e32 v2, s42, v2
	v_mul_f32_e32 v3, s42, v3
	;; [unrolled: 1-line block ×4, first 2 shown]
	s_waitcnt vmcnt(3)
	v_cvt_f32_i32_e32 v6, v10
	s_waitcnt vmcnt(2)
	v_cvt_f32_i32_e32 v7, v15
	s_waitcnt vmcnt(1)
	v_cvt_f32_i32_e32 v8, v16
	s_waitcnt vmcnt(0)
	v_cvt_f32_i32_e32 v9, v17
	v_mul_f32_e32 v2, v2, v6
	v_mul_f32_e32 v3, v3, v7
	;; [unrolled: 1-line block ×4, first 2 shown]
	ds_write2st64_b32 v1, v2, v3 offset1:4
	ds_write2st64_b32 v1, v4, v5 offset0:8 offset1:12
.LBB55_91:
	s_or_b64 exec, exec, s[0:1]
	s_cmp_lt_i32 s33, 2
	s_mov_b64 s[0:1], -1
	s_waitcnt lgkmcnt(0)
	s_barrier
	s_cbranch_scc0 .LBB55_102
; %bb.92:
	v_add_u32_e32 v2, s38, v0
	v_cmp_gt_i32_e32 vcc, s39, v2
	s_and_saveexec_b64 s[0:1], vcc
	s_cbranch_execz .LBB55_101
; %bb.93:
	s_lshl_b32 s4, s35, 2
	v_cmp_neq_f32_e64 s[2:3], s34, 0
	s_sub_i32 s10, 0, s4
	s_mov_b64 s[4:5], 0
	v_mov_b32_e32 v8, s25
	v_mov_b32_e32 v9, s37
	s_branch .LBB55_95
.LBB55_94:                              ;   in Loop: Header=BB55_95 Depth=1
	v_add_co_u32_e32 v4, vcc, s36, v4
	v_addc_co_u32_e32 v5, vcc, v9, v5, vcc
	v_add_u32_e32 v2, 0x100, v2
	v_cmp_le_i32_e32 vcc, s39, v2
	s_or_b64 s[4:5], vcc, s[4:5]
	global_store_dword v[4:5], v3, off
	s_andn2_b64 exec, exec, s[4:5]
	s_cbranch_execz .LBB55_101
.LBB55_95:                              ; =>This Loop Header: Depth=1
                                        ;     Child Loop BB55_97 Depth 2
	v_ashrrev_i32_e32 v3, 31, v2
	v_lshlrev_b64 v[4:5], 2, v[2:3]
	v_add_co_u32_e32 v6, vcc, s24, v4
	v_addc_co_u32_e32 v7, vcc, v8, v5, vcc
	global_load_dwordx2 v[6:7], v[6:7], off
	v_mov_b32_e32 v3, 0
	s_waitcnt vmcnt(0)
	v_cmp_lt_i32_e32 vcc, v6, v7
	s_and_saveexec_b64 s[6:7], vcc
	s_cbranch_execz .LBB55_99
; %bb.96:                               ;   in Loop: Header=BB55_95 Depth=1
	v_subrev_u32_e32 v7, s35, v7
	v_subrev_u32_e32 v10, s35, v6
	v_lshl_add_u32 v6, v6, 2, s10
	s_mov_b64 s[8:9], 0
	v_mov_b32_e32 v3, 0
.LBB55_97:                              ;   Parent Loop BB55_95 Depth=1
                                        ; =>  This Inner Loop Header: Depth=2
	ds_read_b32 v11, v6
	v_add_u32_e32 v10, 1, v10
	v_cmp_ge_i32_e32 vcc, v10, v7
	v_add_u32_e32 v6, 4, v6
	s_or_b64 s[8:9], vcc, s[8:9]
	s_waitcnt lgkmcnt(0)
	v_add_f32_e32 v3, v3, v11
	s_andn2_b64 exec, exec, s[8:9]
	s_cbranch_execnz .LBB55_97
; %bb.98:                               ;   in Loop: Header=BB55_95 Depth=1
	s_or_b64 exec, exec, s[8:9]
.LBB55_99:                              ;   in Loop: Header=BB55_95 Depth=1
	s_or_b64 exec, exec, s[6:7]
	s_and_b64 vcc, exec, s[2:3]
	s_cbranch_vccz .LBB55_94
; %bb.100:                              ;   in Loop: Header=BB55_95 Depth=1
	v_mov_b32_e32 v7, s37
	v_add_co_u32_e32 v6, vcc, s36, v4
	v_addc_co_u32_e32 v7, vcc, v7, v5, vcc
	global_load_dword v6, v[6:7], off
	s_waitcnt vmcnt(0)
	v_fmac_f32_e32 v3, s34, v6
	s_branch .LBB55_94
.LBB55_101:
	s_or_b64 exec, exec, s[0:1]
	s_mov_b64 s[0:1], 0
.LBB55_102:
	s_andn2_b64 vcc, exec, s[0:1]
	s_cbranch_vccnz .LBB55_127
; %bb.103:
	s_flbit_i32_b32 s0, s33
	s_xor_b32 s0, s0, 31
	v_lshrrev_b32_e32 v4, s0, v0
	v_add_u32_e32 v2, s38, v4
	s_add_i32 s0, s33, -1
	v_and_b32_e32 v0, s0, v0
	v_cmp_le_i32_e32 vcc, s39, v2
	v_cmp_gt_i32_e64 s[0:1], s39, v2
	v_mov_b32_e32 v3, 0
	s_and_saveexec_b64 s[2:3], s[0:1]
	s_cbranch_execz .LBB55_109
; %bb.104:
	v_lshlrev_b32_e32 v3, 2, v4
	global_load_dwordx2 v[6:7], v3, s[40:41]
	v_subrev_u32_e32 v3, s35, v0
	s_waitcnt vmcnt(0)
	v_subrev_u32_e32 v4, s35, v7
	v_add_u32_e32 v5, v6, v3
	v_cmp_lt_i32_e64 s[0:1], v5, v4
	v_mov_b32_e32 v3, 0
	s_and_saveexec_b64 s[4:5], s[0:1]
	s_cbranch_execz .LBB55_108
; %bb.105:
	v_lshlrev_b32_e32 v6, 2, v5
	s_lshl_b32 s8, s33, 2
	s_mov_b64 s[6:7], 0
	v_mov_b32_e32 v3, 0
.LBB55_106:                             ; =>This Inner Loop Header: Depth=1
	ds_read_b32 v7, v6
	v_add_u32_e32 v5, s33, v5
	v_cmp_ge_i32_e64 s[0:1], v5, v4
	v_add_u32_e32 v6, s8, v6
	s_or_b64 s[6:7], s[0:1], s[6:7]
	s_waitcnt lgkmcnt(0)
	v_add_f32_e32 v3, v3, v7
	s_andn2_b64 exec, exec, s[6:7]
	s_cbranch_execnz .LBB55_106
; %bb.107:
	s_or_b64 exec, exec, s[6:7]
.LBB55_108:
	s_or_b64 exec, exec, s[4:5]
.LBB55_109:
	s_or_b64 exec, exec, s[2:3]
	s_cmpk_lt_i32 s33, 0x81
	s_barrier
	ds_write_b32 v1, v3
	s_waitcnt lgkmcnt(0)
	s_barrier
	s_cbranch_scc1 .LBB55_111
; %bb.110:
	ds_read_b32 v4, v1 offset:512
	s_waitcnt lgkmcnt(0)
	s_barrier
	v_add_f32_e32 v3, v3, v4
	ds_write_b32 v1, v3
.LBB55_111:
	s_cmpk_lt_i32 s33, 0x41
	s_waitcnt lgkmcnt(0)
	s_barrier
	s_cbranch_scc1 .LBB55_113
; %bb.112:
	ds_read_b32 v4, v1 offset:256
	s_waitcnt lgkmcnt(0)
	s_barrier
	v_add_f32_e32 v3, v3, v4
	ds_write_b32 v1, v3
.LBB55_113:
	s_cmp_lt_i32 s33, 33
	s_waitcnt lgkmcnt(0)
	s_barrier
	s_cbranch_scc1 .LBB55_115
; %bb.114:
	ds_read_b32 v4, v1 offset:128
	s_waitcnt lgkmcnt(0)
	s_barrier
	v_add_f32_e32 v3, v3, v4
	ds_write_b32 v1, v3
.LBB55_115:
	s_cmp_lt_i32 s33, 17
	;; [unrolled: 11-line block ×4, first 2 shown]
	s_waitcnt lgkmcnt(0)
	s_barrier
	s_cbranch_scc1 .LBB55_121
; %bb.120:
	ds_read_b32 v4, v1 offset:16
	s_waitcnt lgkmcnt(0)
	s_barrier
	v_add_f32_e32 v3, v3, v4
	ds_write_b32 v1, v3
.LBB55_121:
	s_cmp_eq_u32 s33, 2
	s_waitcnt lgkmcnt(0)
	s_barrier
	s_cbranch_scc1 .LBB55_123
; %bb.122:
	ds_read_b32 v4, v1 offset:8
	s_waitcnt lgkmcnt(0)
	s_barrier
	v_add_f32_e32 v3, v3, v4
	ds_write_b32 v1, v3
.LBB55_123:
	s_waitcnt lgkmcnt(0)
	s_barrier
	ds_read_b32 v4, v1 offset:4
	v_cmp_eq_u32_e64 s[0:1], 0, v0
	s_xor_b64 s[2:3], vcc, -1
	s_and_b64 s[0:1], s[0:1], s[2:3]
	s_waitcnt lgkmcnt(0)
	v_add_f32_e32 v4, v3, v4
	s_barrier
	ds_write_b32 v1, v4
	s_and_saveexec_b64 s[2:3], s[0:1]
	s_cbranch_execz .LBB55_127
; %bb.124:
	v_ashrrev_i32_e32 v3, 31, v2
	v_cmp_eq_f32_e64 s[0:1], s34, 0
	s_and_b64 vcc, exec, s[0:1]
	v_lshlrev_b64 v[0:1], 2, v[2:3]
	s_cbranch_vccnz .LBB55_126
; %bb.125:
	v_mov_b32_e32 v3, s37
	v_add_co_u32_e32 v2, vcc, s36, v0
	v_addc_co_u32_e32 v3, vcc, v3, v1, vcc
	global_load_dword v2, v[2:3], off
	s_waitcnt vmcnt(0)
	v_fmac_f32_e32 v4, s34, v2
.LBB55_126:
	v_mov_b32_e32 v2, s37
	v_add_co_u32_e32 v0, vcc, s36, v0
	v_addc_co_u32_e32 v1, vcc, v2, v1, vcc
	global_store_dword v[0:1], v4, off
.LBB55_127:
	s_endpgm
	.section	.rodata,"a",@progbits
	.p2align	6, 0x0
	.amdhsa_kernel _ZN9rocsparseL22csrmvn_adaptive_kernelIiiaaffEEvbT_PKS1_PjPKT0_NS_24const_host_device_scalarIT4_EES3_S7_PKT1_PKT2_SA_PT3_21rocsparse_index_base_b
		.amdhsa_group_segment_fixed_size 4096
		.amdhsa_private_segment_fixed_size 0
		.amdhsa_kernarg_size 96
		.amdhsa_user_sgpr_count 6
		.amdhsa_user_sgpr_private_segment_buffer 1
		.amdhsa_user_sgpr_dispatch_ptr 0
		.amdhsa_user_sgpr_queue_ptr 0
		.amdhsa_user_sgpr_kernarg_segment_ptr 1
		.amdhsa_user_sgpr_dispatch_id 0
		.amdhsa_user_sgpr_flat_scratch_init 0
		.amdhsa_user_sgpr_kernarg_preload_length 0
		.amdhsa_user_sgpr_kernarg_preload_offset 0
		.amdhsa_user_sgpr_private_segment_size 0
		.amdhsa_uses_dynamic_stack 0
		.amdhsa_system_sgpr_private_segment_wavefront_offset 0
		.amdhsa_system_sgpr_workgroup_id_x 1
		.amdhsa_system_sgpr_workgroup_id_y 0
		.amdhsa_system_sgpr_workgroup_id_z 0
		.amdhsa_system_sgpr_workgroup_info 0
		.amdhsa_system_vgpr_workitem_id 0
		.amdhsa_next_free_vgpr 28
		.amdhsa_next_free_sgpr 58
		.amdhsa_accum_offset 28
		.amdhsa_reserve_vcc 1
		.amdhsa_reserve_flat_scratch 0
		.amdhsa_float_round_mode_32 0
		.amdhsa_float_round_mode_16_64 0
		.amdhsa_float_denorm_mode_32 3
		.amdhsa_float_denorm_mode_16_64 3
		.amdhsa_dx10_clamp 1
		.amdhsa_ieee_mode 1
		.amdhsa_fp16_overflow 0
		.amdhsa_tg_split 0
		.amdhsa_exception_fp_ieee_invalid_op 0
		.amdhsa_exception_fp_denorm_src 0
		.amdhsa_exception_fp_ieee_div_zero 0
		.amdhsa_exception_fp_ieee_overflow 0
		.amdhsa_exception_fp_ieee_underflow 0
		.amdhsa_exception_fp_ieee_inexact 0
		.amdhsa_exception_int_div_zero 0
	.end_amdhsa_kernel
	.section	.text._ZN9rocsparseL22csrmvn_adaptive_kernelIiiaaffEEvbT_PKS1_PjPKT0_NS_24const_host_device_scalarIT4_EES3_S7_PKT1_PKT2_SA_PT3_21rocsparse_index_base_b,"axG",@progbits,_ZN9rocsparseL22csrmvn_adaptive_kernelIiiaaffEEvbT_PKS1_PjPKT0_NS_24const_host_device_scalarIT4_EES3_S7_PKT1_PKT2_SA_PT3_21rocsparse_index_base_b,comdat
.Lfunc_end55:
	.size	_ZN9rocsparseL22csrmvn_adaptive_kernelIiiaaffEEvbT_PKS1_PjPKT0_NS_24const_host_device_scalarIT4_EES3_S7_PKT1_PKT2_SA_PT3_21rocsparse_index_base_b, .Lfunc_end55-_ZN9rocsparseL22csrmvn_adaptive_kernelIiiaaffEEvbT_PKS1_PjPKT0_NS_24const_host_device_scalarIT4_EES3_S7_PKT1_PKT2_SA_PT3_21rocsparse_index_base_b
                                        ; -- End function
	.section	.AMDGPU.csdata,"",@progbits
; Kernel info:
; codeLenInByte = 4732
; NumSgprs: 62
; NumVgprs: 28
; NumAgprs: 0
; TotalNumVgprs: 28
; ScratchSize: 0
; MemoryBound: 0
; FloatMode: 240
; IeeeMode: 1
; LDSByteSize: 4096 bytes/workgroup (compile time only)
; SGPRBlocks: 7
; VGPRBlocks: 3
; NumSGPRsForWavesPerEU: 62
; NumVGPRsForWavesPerEU: 28
; AccumOffset: 28
; Occupancy: 8
; WaveLimiterHint : 1
; COMPUTE_PGM_RSRC2:SCRATCH_EN: 0
; COMPUTE_PGM_RSRC2:USER_SGPR: 6
; COMPUTE_PGM_RSRC2:TRAP_HANDLER: 0
; COMPUTE_PGM_RSRC2:TGID_X_EN: 1
; COMPUTE_PGM_RSRC2:TGID_Y_EN: 0
; COMPUTE_PGM_RSRC2:TGID_Z_EN: 0
; COMPUTE_PGM_RSRC2:TIDIG_COMP_CNT: 0
; COMPUTE_PGM_RSRC3_GFX90A:ACCUM_OFFSET: 6
; COMPUTE_PGM_RSRC3_GFX90A:TG_SPLIT: 0
	.section	.text._ZN9rocsparseL27csrmvn_symm_adaptive_kernelIiiaaffEEvbT_S1_PKS1_NS_24const_host_device_scalarIT4_EES3_PKT0_PKT1_PKT2_S6_PT3_21rocsparse_index_base_b,"axG",@progbits,_ZN9rocsparseL27csrmvn_symm_adaptive_kernelIiiaaffEEvbT_S1_PKS1_NS_24const_host_device_scalarIT4_EES3_PKT0_PKT1_PKT2_S6_PT3_21rocsparse_index_base_b,comdat
	.globl	_ZN9rocsparseL27csrmvn_symm_adaptive_kernelIiiaaffEEvbT_S1_PKS1_NS_24const_host_device_scalarIT4_EES3_PKT0_PKT1_PKT2_S6_PT3_21rocsparse_index_base_b ; -- Begin function _ZN9rocsparseL27csrmvn_symm_adaptive_kernelIiiaaffEEvbT_S1_PKS1_NS_24const_host_device_scalarIT4_EES3_PKT0_PKT1_PKT2_S6_PT3_21rocsparse_index_base_b
	.p2align	8
	.type	_ZN9rocsparseL27csrmvn_symm_adaptive_kernelIiiaaffEEvbT_S1_PKS1_NS_24const_host_device_scalarIT4_EES3_PKT0_PKT1_PKT2_S6_PT3_21rocsparse_index_base_b,@function
_ZN9rocsparseL27csrmvn_symm_adaptive_kernelIiiaaffEEvbT_S1_PKS1_NS_24const_host_device_scalarIT4_EES3_PKT0_PKT1_PKT2_S6_PT3_21rocsparse_index_base_b: ; @_ZN9rocsparseL27csrmvn_symm_adaptive_kernelIiiaaffEEvbT_S1_PKS1_NS_24const_host_device_scalarIT4_EES3_PKT0_PKT1_PKT2_S6_PT3_21rocsparse_index_base_b
; %bb.0:
	s_load_dwordx2 s[26:27], s[4:5], 0x50
	s_load_dwordx2 s[30:31], s[4:5], 0x18
	;; [unrolled: 1-line block ×3, first 2 shown]
	s_waitcnt lgkmcnt(0)
	s_bitcmp1_b32 s27, 0
	s_cselect_b64 s[8:9], -1, 0
	s_xor_b64 s[2:3], s[8:9], -1
	s_and_b64 vcc, exec, s[8:9]
	s_cbranch_vccnz .LBB56_2
; %bb.1:
	s_load_dword s30, s[30:31], 0x0
.LBB56_2:
	s_andn2_b64 vcc, exec, s[2:3]
	s_cbranch_vccnz .LBB56_4
; %bb.3:
	s_load_dword s0, s[0:1], 0x0
.LBB56_4:
	s_waitcnt lgkmcnt(0)
	v_cmp_neq_f32_e64 s[2:3], s30, 0
	v_cmp_neq_f32_e64 s[0:1], s0, 1.0
	s_or_b64 s[0:1], s[2:3], s[0:1]
	s_andn2_b64 vcc, exec, s[0:1]
	s_cbranch_vccnz .LBB56_189
; %bb.5:
	s_load_dwordx2 s[0:1], s[4:5], 0x10
	s_ashr_i32 s7, s6, 31
	s_lshl_b64 s[2:3], s[6:7], 2
	v_lshlrev_b32_e32 v1, 2, v0
	v_mov_b32_e32 v2, 0
	s_waitcnt lgkmcnt(0)
	s_add_u32 s0, s0, s2
	s_addc_u32 s1, s1, s3
	ds_write2st64_b32 v1, v2, v2 offset1:4
	ds_write2st64_b32 v1, v2, v2 offset0:8 offset1:12
	s_waitcnt lgkmcnt(0)
	s_barrier
	s_load_dwordx2 s[24:25], s[0:1], 0x0
	s_load_dwordx8 s[16:23], s[4:5], 0x20
	s_load_dwordx2 s[14:15], s[4:5], 0x48
	s_mov_b64 s[0:1], -1
	v_subrev_u32_e32 v8, s26, v0
	s_waitcnt lgkmcnt(0)
	s_sub_i32 s27, s25, s24
	s_cmp_gt_i32 s27, 2
	s_cbranch_scc1 .LBB56_40
; %bb.6:
	s_cmp_gt_i32 s25, s24
	s_cbranch_scc1 .LBB56_8
; %bb.7:
	s_ashr_i32 s1, s24, 31
	s_mov_b32 s0, s24
	s_lshl_b64 s[0:1], s[0:1], 2
	s_add_u32 s0, s16, s0
	s_addc_u32 s1, s17, s1
	s_load_dword s31, s[0:1], 0x0
	s_cbranch_execz .LBB56_9
	s_branch .LBB56_29
.LBB56_8:
                                        ; implicit-def: $sgpr31
	s_andn2_b64 vcc, exec, s[0:1]
	s_cbranch_vccnz .LBB56_29
.LBB56_9:
	s_ashr_i32 s13, s24, 31
	s_mov_b32 s12, s24
	s_lshl_b64 s[12:13], s[12:13], 2
	s_add_u32 s12, s16, s12
	s_addc_u32 s13, s17, s13
	s_waitcnt lgkmcnt(0)
	s_load_dword s31, s[12:13], 0x0
	s_movk_i32 s0, 0x100
	s_add_u32 s33, s16, 4
	v_cmp_gt_u32_e64 s[0:1], s0, v0
	v_cmp_gt_u32_e64 s[2:3], 64, v0
	;; [unrolled: 1-line block ×4, first 2 shown]
	v_cmp_eq_u32_e64 s[10:11], 0, v0
	s_addc_u32 s40, s17, 0
	v_mov_b32_e32 v9, s23
	v_mov_b32_e32 v10, 0
	s_waitcnt lgkmcnt(0)
	s_mov_b32 s29, s31
	s_mov_b32 s28, s24
	s_branch .LBB56_11
.LBB56_10:                              ;   in Loop: Header=BB56_11 Depth=1
	s_or_b64 exec, exec, s[12:13]
	s_add_i32 s28, s28, 1
	s_cmp_ge_i32 s28, s25
	s_cbranch_scc1 .LBB56_29
.LBB56_11:                              ; =>This Loop Header: Depth=1
                                        ;     Child Loop BB56_13 Depth 2
                                        ;     Child Loop BB56_28 Depth 2
	s_mov_b32 s36, s29
	s_ashr_i32 s29, s28, 31
	s_lshl_b64 s[34:35], s[28:29], 2
	s_add_u32 s12, s33, s34
	s_addc_u32 s13, s40, s35
	s_load_dword s29, s[12:13], 0x0
	v_add_u32_e32 v2, s36, v8
	v_mov_b32_e32 v3, 0
	s_waitcnt lgkmcnt(0)
	s_sub_i32 s41, s29, s26
	v_cmp_gt_i32_e32 vcc, s41, v2
	s_and_saveexec_b64 s[36:37], vcc
	s_cbranch_execz .LBB56_15
; %bb.12:                               ;   in Loop: Header=BB56_11 Depth=1
	v_ashrrev_i32_e32 v3, 31, v2
	v_lshlrev_b64 v[4:5], 2, v[2:3]
	v_mov_b32_e32 v6, s19
	v_add_co_u32_e32 v4, vcc, s18, v4
	v_addc_co_u32_e32 v5, vcc, v6, v5, vcc
	v_mov_b32_e32 v7, s21
	v_add_co_u32_e32 v6, vcc, s20, v2
	v_addc_co_u32_e32 v7, vcc, v7, v3, vcc
	s_mov_b64 s[38:39], 0
	v_mov_b32_e32 v3, 0
.LBB56_13:                              ;   Parent Loop BB56_11 Depth=1
                                        ; =>  This Inner Loop Header: Depth=2
	global_load_dword v11, v[4:5], off
	global_load_sbyte v14, v[6:7], off
	v_add_u32_e32 v2, 0x100, v2
	v_cmp_le_i32_e64 s[12:13], s41, v2
	s_or_b64 s[38:39], s[12:13], s[38:39]
	s_waitcnt vmcnt(1)
	v_subrev_u32_e32 v11, s26, v11
	v_ashrrev_i32_e32 v13, 31, v11
	v_add_co_u32_e32 v12, vcc, s22, v11
	v_addc_co_u32_e32 v13, vcc, v9, v13, vcc
	global_load_sbyte v11, v[12:13], off
	s_waitcnt vmcnt(1)
	v_cvt_f32_i32_e32 v12, v14
	v_add_co_u32_e32 v4, vcc, 0x400, v4
	v_addc_co_u32_e32 v5, vcc, 0, v5, vcc
	v_add_co_u32_e32 v6, vcc, 0x100, v6
	v_addc_co_u32_e32 v7, vcc, 0, v7, vcc
	s_waitcnt vmcnt(0)
	v_cvt_f32_i32_e32 v11, v11
	v_fmac_f32_e32 v3, v12, v11
	s_andn2_b64 exec, exec, s[38:39]
	s_cbranch_execnz .LBB56_13
; %bb.14:                               ;   in Loop: Header=BB56_11 Depth=1
	s_or_b64 exec, exec, s[38:39]
.LBB56_15:                              ;   in Loop: Header=BB56_11 Depth=1
	s_or_b64 exec, exec, s[36:37]
	ds_write_b32 v1, v3
	s_waitcnt lgkmcnt(0)
	s_barrier
	s_and_saveexec_b64 s[12:13], s[0:1]
	s_cbranch_execz .LBB56_17
; %bb.16:                               ;   in Loop: Header=BB56_11 Depth=1
	ds_read2st64_b32 v[2:3], v1 offset1:4
	ds_read2st64_b32 v[4:5], v1 offset0:8 offset1:12
	s_waitcnt lgkmcnt(0)
	v_add_f32_e32 v3, v3, v4
	v_add_f32_e32 v3, v3, v5
	;; [unrolled: 1-line block ×3, first 2 shown]
	ds_write_b32 v1, v2
.LBB56_17:                              ;   in Loop: Header=BB56_11 Depth=1
	s_or_b64 exec, exec, s[12:13]
	s_waitcnt lgkmcnt(0)
	s_barrier
	s_and_saveexec_b64 s[12:13], s[2:3]
	s_cbranch_execz .LBB56_19
; %bb.18:                               ;   in Loop: Header=BB56_11 Depth=1
	ds_read2st64_b32 v[2:3], v1 offset1:1
	ds_read2st64_b32 v[4:5], v1 offset0:2 offset1:3
	s_waitcnt lgkmcnt(0)
	v_add_f32_e32 v3, v3, v4
	v_add_f32_e32 v3, v3, v5
	;; [unrolled: 1-line block ×3, first 2 shown]
	ds_write_b32 v1, v2
.LBB56_19:                              ;   in Loop: Header=BB56_11 Depth=1
	s_or_b64 exec, exec, s[12:13]
	s_waitcnt lgkmcnt(0)
	s_barrier
	s_and_saveexec_b64 s[12:13], s[6:7]
	s_cbranch_execz .LBB56_21
; %bb.20:                               ;   in Loop: Header=BB56_11 Depth=1
	ds_read2_b32 v[2:3], v1 offset1:16
	ds_read2_b32 v[4:5], v1 offset0:32 offset1:48
	s_waitcnt lgkmcnt(0)
	v_add_f32_e32 v3, v3, v4
	v_add_f32_e32 v3, v3, v5
	;; [unrolled: 1-line block ×3, first 2 shown]
	ds_write_b32 v1, v2
.LBB56_21:                              ;   in Loop: Header=BB56_11 Depth=1
	s_or_b64 exec, exec, s[12:13]
	s_waitcnt lgkmcnt(0)
	s_barrier
	s_and_saveexec_b64 s[12:13], s[8:9]
	s_cbranch_execz .LBB56_23
; %bb.22:                               ;   in Loop: Header=BB56_11 Depth=1
	ds_read2_b32 v[2:3], v1 offset1:4
	ds_read2_b32 v[4:5], v1 offset0:8 offset1:12
	s_waitcnt lgkmcnt(0)
	v_add_f32_e32 v3, v3, v4
	v_add_f32_e32 v3, v3, v5
	;; [unrolled: 1-line block ×3, first 2 shown]
	ds_write_b32 v1, v2
.LBB56_23:                              ;   in Loop: Header=BB56_11 Depth=1
	s_or_b64 exec, exec, s[12:13]
	s_waitcnt lgkmcnt(0)
	s_barrier
	s_and_saveexec_b64 s[12:13], s[10:11]
	s_cbranch_execz .LBB56_25
; %bb.24:                               ;   in Loop: Header=BB56_11 Depth=1
	ds_read2_b32 v[2:3], v10 offset0:1 offset1:2
	ds_read_b32 v4, v10 offset:12
	ds_read_b32 v5, v1
	s_waitcnt lgkmcnt(2)
	v_add_f32_e32 v2, v2, v3
	s_waitcnt lgkmcnt(1)
	v_add_f32_e32 v2, v2, v4
	;; [unrolled: 2-line block ×3, first 2 shown]
	ds_write_b32 v1, v2
.LBB56_25:                              ;   in Loop: Header=BB56_11 Depth=1
	s_or_b64 exec, exec, s[12:13]
	s_waitcnt lgkmcnt(0)
	s_barrier
	s_and_saveexec_b64 s[12:13], s[10:11]
	s_cbranch_execz .LBB56_10
; %bb.26:                               ;   in Loop: Header=BB56_11 Depth=1
	s_mov_b64 s[36:37], exec
	v_mbcnt_lo_u32_b32 v2, s36, 0
	v_mbcnt_hi_u32_b32 v2, s37, v2
	v_cmp_eq_u32_e32 vcc, 0, v2
	s_and_b64 s[38:39], exec, vcc
	s_mov_b64 exec, s[38:39]
	s_cbranch_execz .LBB56_10
; %bb.27:                               ;   in Loop: Header=BB56_11 Depth=1
	s_add_u32 s34, s14, s34
	s_addc_u32 s35, s15, s35
	global_load_dword v3, v10, s[34:35]
	ds_read_b32 v2, v10
	s_bcnt1_i32_b64 s36, s[36:37]
	v_cvt_f32_ubyte0_e32 v4, s36
	s_mov_b64 s[36:37], 0
	s_waitcnt lgkmcnt(0)
	v_mul_f32_e32 v2, s30, v2
	v_mul_f32_e32 v4, v2, v4
.LBB56_28:                              ;   Parent Loop BB56_11 Depth=1
                                        ; =>  This Inner Loop Header: Depth=2
	s_waitcnt vmcnt(0)
	v_add_f32_e32 v2, v3, v4
	global_atomic_cmpswap v2, v10, v[2:3], s[34:35] glc
	s_waitcnt vmcnt(0)
	v_cmp_eq_u32_e32 vcc, v2, v3
	s_or_b64 s[36:37], vcc, s[36:37]
	v_mov_b32_e32 v3, v2
	s_andn2_b64 exec, exec, s[36:37]
	s_cbranch_execnz .LBB56_28
	s_branch .LBB56_10
.LBB56_29:
	s_ashr_i32 s1, s25, 31
	s_mov_b32 s0, s25
	s_lshl_b64 s[0:1], s[0:1], 2
	s_add_u32 s0, s16, s0
	s_addc_u32 s1, s17, s1
	s_load_dword s0, s[0:1], 0x0
	s_waitcnt lgkmcnt(0)
	v_add_u32_e32 v2, s31, v8
	s_sub_i32 s12, s0, s26
	v_cmp_gt_i32_e32 vcc, s12, v2
	s_and_saveexec_b64 s[6:7], vcc
	s_cbranch_execz .LBB56_39
; %bb.30:
	s_add_i32 s13, s25, -1
	s_cmp_gt_i32 s13, s24
	s_cselect_b64 s[0:1], -1, 0
	s_add_i32 s2, s25, -2
	s_cmp_lg_u32 s2, s24
	s_cselect_b64 s[2:3], -1, 0
	s_and_b64 s[0:1], s[0:1], s[2:3]
	v_cndmask_b32_e64 v3, 0, 1, s[0:1]
	s_mov_b64 s[8:9], 0
	v_cmp_ne_u32_e64 s[0:1], 1, v3
	v_mov_b32_e32 v9, s17
	v_mov_b32_e32 v10, s19
	s_branch .LBB56_32
.LBB56_31:                              ;   in Loop: Header=BB56_32 Depth=1
	s_or_b64 exec, exec, s[2:3]
	v_add_u32_e32 v2, 0x100, v2
	v_cmp_le_i32_e32 vcc, s12, v2
	s_or_b64 s[8:9], vcc, s[8:9]
	s_andn2_b64 exec, exec, s[8:9]
	s_cbranch_execz .LBB56_39
.LBB56_32:                              ; =>This Loop Header: Depth=1
                                        ;     Child Loop BB56_34 Depth 2
                                        ;     Child Loop BB56_38 Depth 2
	s_and_b64 vcc, exec, s[0:1]
	v_mov_b32_e32 v6, s24
	v_mov_b32_e32 v4, s13
	s_cbranch_vccnz .LBB56_36
; %bb.33:                               ;   in Loop: Header=BB56_32 Depth=1
	s_mov_b64 s[10:11], 0
	v_mov_b32_e32 v6, s24
	v_mov_b32_e32 v4, s13
.LBB56_34:                              ;   Parent Loop BB56_32 Depth=1
                                        ; =>  This Inner Loop Header: Depth=2
	v_add_u32_e32 v3, v4, v6
	v_lshrrev_b32_e32 v7, 31, v3
	v_add_u32_e32 v3, v3, v7
	v_ashrrev_i32_e32 v12, 1, v3
	v_ashrrev_i32_e32 v13, 31, v12
	v_lshlrev_b64 v[14:15], 2, v[12:13]
	v_mov_b32_e32 v5, s17
	v_add_co_u32_e32 v14, vcc, s16, v14
	v_addc_co_u32_e32 v15, vcc, v5, v15, vcc
	global_load_dword v3, v[14:15], off
	s_waitcnt vmcnt(0)
	v_subrev_u32_e32 v3, s26, v3
	v_cmp_gt_i32_e32 vcc, v3, v2
	v_cndmask_b32_e32 v4, v4, v12, vcc
	v_cndmask_b32_e32 v6, v12, v6, vcc
	v_add_u32_e32 v3, -1, v4
	v_cmp_ge_i32_e32 vcc, v6, v4
	v_cmp_eq_u32_e64 s[2:3], v6, v3
	s_or_b64 s[2:3], vcc, s[2:3]
	s_and_b64 s[2:3], exec, s[2:3]
	s_or_b64 s[10:11], s[2:3], s[10:11]
	s_andn2_b64 exec, exec, s[10:11]
	s_cbranch_execnz .LBB56_34
; %bb.35:                               ;   in Loop: Header=BB56_32 Depth=1
	s_or_b64 exec, exec, s[10:11]
.LBB56_36:                              ;   in Loop: Header=BB56_32 Depth=1
	v_ashrrev_i32_e32 v5, 31, v4
	v_lshlrev_b64 v[12:13], 2, v[4:5]
	v_add_co_u32_e32 v12, vcc, s16, v12
	v_addc_co_u32_e32 v13, vcc, v9, v13, vcc
	v_ashrrev_i32_e32 v3, 31, v2
	global_load_dword v5, v[12:13], off
	v_lshlrev_b64 v[12:13], 2, v[2:3]
	v_add_co_u32_e32 v12, vcc, s18, v12
	v_addc_co_u32_e32 v13, vcc, v10, v13, vcc
	global_load_dword v7, v[12:13], off
	s_waitcnt vmcnt(1)
	v_subrev_u32_e32 v5, s26, v5
	v_cmp_gt_i32_e32 vcc, v5, v2
	v_cndmask_b32_e32 v6, v4, v6, vcc
	s_waitcnt vmcnt(0)
	v_subrev_u32_e32 v4, s26, v7
	v_cmp_ne_u32_e32 vcc, v4, v6
	s_and_saveexec_b64 s[2:3], vcc
	s_cbranch_execz .LBB56_31
; %bb.37:                               ;   in Loop: Header=BB56_32 Depth=1
	v_mov_b32_e32 v7, s21
	v_add_co_u32_e32 v12, vcc, s20, v2
	v_addc_co_u32_e32 v13, vcc, v7, v3, vcc
	v_ashrrev_i32_e32 v7, 31, v6
	v_mov_b32_e32 v11, s23
	v_add_co_u32_e32 v6, vcc, s22, v6
	global_load_sbyte v3, v[12:13], off
	v_addc_co_u32_e32 v7, vcc, v11, v7, vcc
	global_load_sbyte v6, v[6:7], off
	v_ashrrev_i32_e32 v5, 31, v4
	v_lshlrev_b64 v[4:5], 2, v[4:5]
	v_mov_b32_e32 v7, s15
	v_add_co_u32_e32 v4, vcc, s14, v4
	v_addc_co_u32_e32 v5, vcc, v7, v5, vcc
	global_load_dword v7, v[4:5], off
	s_mov_b64 s[10:11], 0
	s_waitcnt vmcnt(2)
	v_cvt_f32_i32_e32 v3, v3
	s_waitcnt vmcnt(1)
	v_cvt_f32_i32_e32 v6, v6
	v_mul_f32_e32 v3, s30, v3
	v_mul_f32_e32 v3, v3, v6
.LBB56_38:                              ;   Parent Loop BB56_32 Depth=1
                                        ; =>  This Inner Loop Header: Depth=2
	s_waitcnt vmcnt(0)
	v_add_f32_e32 v6, v7, v3
	global_atomic_cmpswap v6, v[4:5], v[6:7], off glc
	s_waitcnt vmcnt(0)
	v_cmp_eq_u32_e32 vcc, v6, v7
	s_or_b64 s[10:11], vcc, s[10:11]
	v_mov_b32_e32 v7, v6
	s_andn2_b64 exec, exec, s[10:11]
	s_cbranch_execnz .LBB56_38
	s_branch .LBB56_31
.LBB56_39:
	s_or_b64 exec, exec, s[6:7]
	s_mov_b64 s[0:1], 0
.LBB56_40:
	s_and_b64 vcc, exec, s[0:1]
	s_cbranch_vccz .LBB56_189
; %bb.41:
	v_cvt_f32_u32_e32 v2, s27
	s_ashr_i32 s1, s24, 31
	s_mov_b32 s0, s24
	s_sub_i32 s2, 0, s27
	v_rcp_iflag_f32_e32 v2, v2
	s_lshl_b64 s[0:1], s[0:1], 2
	s_add_u32 s12, s16, s0
	s_addc_u32 s13, s17, s1
	v_mul_f32_e32 v2, 0x4f7ffffe, v2
	v_cvt_u32_f32_e32 v2, v2
	s_load_dword s33, s[12:13], 0x0
	s_load_dwordx2 s[28:29], s[4:5], 0x4
	s_load_dword s50, s[4:5], 0x64
	v_readfirstlane_b32 s51, v2
	s_waitcnt lgkmcnt(0)
	v_add_u32_e32 v2, s33, v8
	s_mul_i32 s2, s2, s51
	v_add_u32_e32 v12, 0x300, v2
	s_mul_hi_u32 s52, s51, s2
	v_cmp_le_i32_e32 vcc, s28, v12
	s_and_saveexec_b64 s[0:1], vcc
	s_xor_b64 s[34:35], exec, s[0:1]
	s_cbranch_execz .LBB56_58
; %bb.42:
	s_ashr_i32 s1, s25, 31
	s_mov_b32 s0, s25
	s_lshl_b64 s[0:1], s[0:1], 2
	s_add_u32 s0, s16, s0
	s_addc_u32 s1, s17, s1
	s_load_dword s2, s[0:1], 0x0
	s_waitcnt lgkmcnt(0)
	s_sub_i32 s28, s2, s33
	v_cmp_gt_i32_e64 s[0:1], s28, v0
	s_and_saveexec_b64 s[36:37], s[0:1]
	s_cbranch_execz .LBB56_57
; %bb.43:
	v_xad_u32 v3, v0, -1, s2
	v_subrev_u32_e32 v4, s33, v3
	s_movk_i32 s0, 0x1100
	v_cmp_gt_u32_e64 s[38:39], s0, v4
	s_movk_i32 s0, 0x10ff
	v_cmp_lt_u32_e64 s[0:1], s0, v4
	v_mov_b32_e32 v3, 0
	s_and_saveexec_b64 s[40:41], s[0:1]
	s_cbranch_execz .LBB56_54
; %bb.44:
	v_and_b32_e32 v3, 0xffffff00, v4
	v_add_u32_e32 v3, v2, v3
	v_cmp_ge_i32_e64 s[0:1], v3, v2
	s_mov_b64 s[2:3], -1
	v_mov_b32_e32 v3, 0
	s_and_saveexec_b64 s[42:43], s[0:1]
	s_cbranch_execz .LBB56_53
; %bb.45:
	v_lshrrev_b32_e32 v3, 8, v4
	v_add_u32_e32 v4, -1, v3
	v_lshrrev_b32_e32 v5, 1, v4
	s_movk_i32 s45, 0x100
	s_mov_b32 s44, 0
	s_mov_b32 s31, s30
	v_add_u32_e32 v6, 1, v5
	v_cmp_lt_u32_e64 s[0:1], 5, v4
	v_pk_mov_b32 v[4:5], s[44:45], s[44:45] op_sel:[0,1]
	s_and_saveexec_b64 s[46:47], s[0:1]
	s_cbranch_execz .LBB56_49
; %bb.46:
	v_and_b32_e32 v7, -4, v6
	s_mov_b64 s[48:49], 0
	v_mov_b32_e32 v8, s21
.LBB56_47:                              ; =>This Inner Loop Header: Depth=1
	v_add_u32_e32 v5, s44, v2
	v_add_u32_e32 v4, s45, v2
	s_add_i32 s53, s45, 0x200
	s_add_i32 s54, s44, 0x200
	;; [unrolled: 1-line block ×3, first 2 shown]
	v_ashrrev_i32_e32 v9, 31, v4
	v_ashrrev_i32_e32 v11, 31, v5
	v_add_co_u32_e64 v4, s[0:1], s20, v4
	v_add_co_u32_e64 v10, s[2:3], s20, v5
	s_add_i32 s55, s45, 0x400
	s_add_i32 s57, s45, 0x600
	;; [unrolled: 1-line block ×3, first 2 shown]
	v_add_u32_e32 v13, s54, v2
	v_add_u32_e32 v15, s53, v2
	;; [unrolled: 1-line block ×3, first 2 shown]
	v_addc_co_u32_e64 v11, s[2:3], v8, v11, s[2:3]
	v_addc_co_u32_e64 v5, s[0:1], v8, v9, s[0:1]
	v_add_u32_e32 v19, s55, v2
	v_add_u32_e32 v21, s58, v2
	v_add_u32_e32 v23, s57, v2
	v_ashrrev_i32_e32 v9, 31, v15
	v_ashrrev_i32_e32 v25, 31, v13
	v_add_co_u32_e64 v14, s[0:1], s20, v13
	v_add_co_u32_e64 v16, s[2:3], s20, v15
	v_ashrrev_i32_e32 v26, 31, v17
	v_add_co_u32_e64 v18, s[4:5], s20, v17
	global_load_sbyte v10, v[10:11], off
	s_nop 0
	global_load_sbyte v11, v[4:5], off
	v_ashrrev_i32_e32 v13, 31, v19
	v_add_co_u32_e64 v20, s[6:7], s20, v19
	v_ashrrev_i32_e32 v27, 31, v23
	v_ashrrev_i32_e32 v28, 31, v21
	v_add_co_u32_e64 v22, s[8:9], s20, v21
	v_add_co_u32_e64 v24, s[10:11], s20, v23
	v_addc_co_u32_e64 v15, s[0:1], v8, v25, s[0:1]
	v_addc_co_u32_e64 v17, s[0:1], v8, v9, s[2:3]
	;; [unrolled: 1-line block ×6, first 2 shown]
	global_load_sbyte v9, v[16:17], off
	global_load_sbyte v13, v[14:15], off
	s_nop 0
	global_load_sbyte v16, v[20:21], off
	s_nop 0
	;; [unrolled: 2-line block ×3, first 2 shown]
	global_load_sbyte v19, v[24:25], off
	global_load_sbyte v20, v[22:23], off
	v_add_u32_e32 v7, -4, v7
	v_add_lshl_u32 v21, s44, v0, 2
	v_add_lshl_u32 v22, s45, v0, 2
	s_addk_i32 s45, 0x800
	s_addk_i32 s44, 0x800
	v_cmp_eq_u32_e64 s[0:1], 0, v7
	v_add_lshl_u32 v23, s54, v0, 2
	v_pk_mov_b32 v[4:5], s[44:45], s[44:45] op_sel:[0,1]
	s_or_b64 s[48:49], s[0:1], s[48:49]
	v_add_lshl_u32 v24, s53, v0, 2
	v_add_lshl_u32 v25, s56, v0, 2
	;; [unrolled: 1-line block ×5, first 2 shown]
	s_waitcnt vmcnt(7)
	v_cvt_f32_i32_e32 v10, v10
	s_waitcnt vmcnt(6)
	v_cvt_f32_i32_e32 v11, v11
	v_pk_mul_f32 v[10:11], s[30:31], v[10:11]
	ds_write_b32 v21, v10
	ds_write_b32 v22, v11
	s_waitcnt vmcnt(5)
	v_cvt_f32_i32_e32 v15, v9
	s_waitcnt vmcnt(4)
	v_cvt_f32_i32_e32 v14, v13
	;; [unrolled: 2-line block ×6, first 2 shown]
	v_pk_mul_f32 v[10:11], s[30:31], v[14:15]
	v_pk_mul_f32 v[14:15], s[30:31], v[16:17]
	;; [unrolled: 1-line block ×3, first 2 shown]
	ds_write_b32 v23, v10
	ds_write_b32 v24, v11
	ds_write_b32 v25, v14
	ds_write_b32 v26, v15
	ds_write_b32 v27, v16
	ds_write_b32 v28, v17
	s_andn2_b64 exec, exec, s[48:49]
	s_cbranch_execnz .LBB56_47
; %bb.48:
	s_or_b64 exec, exec, s[48:49]
.LBB56_49:
	s_or_b64 exec, exec, s[46:47]
	v_and_b32_e32 v6, 3, v6
	v_cmp_ne_u32_e64 s[0:1], 0, v6
	s_and_saveexec_b64 s[4:5], s[0:1]
	s_cbranch_execz .LBB56_52
; %bb.50:
	s_mov_b64 s[6:7], 0
	v_mov_b32_e32 v7, s21
.LBB56_51:                              ; =>This Inner Loop Header: Depth=1
	v_add_u32_e32 v8, v5, v2
	v_add_u32_e32 v9, v4, v2
	v_ashrrev_i32_e32 v13, 31, v8
	v_add_co_u32_e64 v8, s[0:1], s20, v8
	v_ashrrev_i32_e32 v11, 31, v9
	v_add_co_u32_e64 v10, s[2:3], s20, v9
	v_addc_co_u32_e64 v9, s[0:1], v7, v13, s[0:1]
	v_addc_co_u32_e64 v11, s[2:3], v7, v11, s[2:3]
	global_load_sbyte v13, v[8:9], off
	global_load_sbyte v14, v[10:11], off
	v_add_u32_e32 v6, -1, v6
	v_cmp_eq_u32_e64 s[0:1], 0, v6
	v_add_lshl_u32 v10, v4, v0, 2
	v_add_lshl_u32 v11, v5, v0, 2
	v_add_u32_e32 v5, 0x200, v5
	v_add_u32_e32 v4, 0x200, v4
	s_or_b64 s[6:7], s[0:1], s[6:7]
	s_waitcnt vmcnt(1)
	v_cvt_f32_i32_e32 v9, v13
	s_waitcnt vmcnt(0)
	v_cvt_f32_i32_e32 v8, v14
	v_pk_mul_f32 v[8:9], s[30:31], v[8:9]
	ds_write_b32 v10, v8
	ds_write_b32 v11, v9
	s_andn2_b64 exec, exec, s[6:7]
	s_cbranch_execnz .LBB56_51
.LBB56_52:
	s_or_b64 exec, exec, s[4:5]
	v_add_u32_e32 v4, 1, v3
	v_and_b32_e32 v5, 0x1fffffe, v4
	v_cmp_ne_u32_e64 s[0:1], v4, v5
	v_lshlrev_b32_e32 v3, 8, v5
	s_orn2_b64 s[2:3], s[0:1], exec
.LBB56_53:
	s_or_b64 exec, exec, s[42:43]
	s_andn2_b64 s[0:1], s[38:39], exec
	s_and_b64 s[2:3], s[2:3], exec
	s_or_b64 s[38:39], s[0:1], s[2:3]
.LBB56_54:
	s_or_b64 exec, exec, s[40:41]
	s_and_b64 exec, exec, s[38:39]
	s_cbranch_execz .LBB56_57
; %bb.55:
	v_lshlrev_b32_e32 v4, 2, v3
	v_lshl_add_u32 v4, v0, 2, v4
	v_add_u32_e32 v3, v0, v3
	s_sub_i32 s4, s33, s26
	s_mov_b64 s[2:3], 0
	v_mov_b32_e32 v5, s21
.LBB56_56:                              ; =>This Inner Loop Header: Depth=1
	v_add_u32_e32 v6, s4, v3
	v_ashrrev_i32_e32 v7, 31, v6
	v_add_co_u32_e64 v6, s[0:1], s20, v6
	v_addc_co_u32_e64 v7, s[0:1], v5, v7, s[0:1]
	global_load_sbyte v6, v[6:7], off
	v_add_u32_e32 v3, 0x100, v3
	v_cmp_le_i32_e64 s[0:1], s28, v3
	s_or_b64 s[2:3], s[0:1], s[2:3]
	s_waitcnt vmcnt(0)
	v_cvt_f32_i32_e32 v6, v6
	v_mul_f32_e32 v6, s30, v6
	ds_write_b32 v4, v6
	v_add_u32_e32 v4, 0x400, v4
	s_andn2_b64 exec, exec, s[2:3]
	s_cbranch_execnz .LBB56_56
.LBB56_57:
	s_or_b64 exec, exec, s[36:37]
.LBB56_58:
	s_or_saveexec_b64 s[2:3], s[34:35]
	s_and_b32 s28, s50, 0xffff
	s_add_i32 s51, s51, s52
	v_ashrrev_i32_e32 v3, 31, v2
	s_xor_b64 exec, exec, s[2:3]
	s_cbranch_execz .LBB56_60
; %bb.59:
	v_mov_b32_e32 v5, s21
	v_add_co_u32_e64 v4, s[0:1], s20, v2
	v_addc_co_u32_e64 v5, s[0:1], v5, v3, s[0:1]
	global_load_sbyte v6, v[4:5], off
	global_load_sbyte v7, v[4:5], off offset:256
	global_load_sbyte v8, v[4:5], off offset:512
	;; [unrolled: 1-line block ×3, first 2 shown]
	s_waitcnt vmcnt(3)
	v_cvt_f32_i32_e32 v4, v6
	s_waitcnt vmcnt(2)
	v_cvt_f32_i32_e32 v5, v7
	s_waitcnt vmcnt(1)
	v_cvt_f32_i32_e32 v6, v8
	s_waitcnt vmcnt(0)
	v_cvt_f32_i32_e32 v7, v9
	v_mul_f32_e32 v4, s30, v4
	v_mul_f32_e32 v5, s30, v5
	;; [unrolled: 1-line block ×4, first 2 shown]
	ds_write2st64_b32 v1, v4, v5 offset1:4
	ds_write2st64_b32 v1, v6, v7 offset0:8 offset1:12
.LBB56_60:
	s_or_b64 exec, exec, s[2:3]
	s_mul_hi_u32 s30, s28, s51
	v_cmp_gt_i32_e64 s[0:1], s29, v0
	s_and_saveexec_b64 s[2:3], s[0:1]
	s_cbranch_execz .LBB56_63
; %bb.61:
	v_mov_b32_e32 v4, 0x1000
	v_lshl_add_u32 v4, v0, 2, v4
	s_mov_b64 s[4:5], 0
	v_mov_b32_e32 v5, 0
	v_mov_b32_e32 v6, v0
.LBB56_62:                              ; =>This Inner Loop Header: Depth=1
	v_add_u32_e32 v6, 0x100, v6
	v_cmp_le_i32_e64 s[0:1], s29, v6
	ds_write_b32 v4, v5
	s_or_b64 s[4:5], s[0:1], s[4:5]
	v_add_u32_e32 v4, 0x400, v4
	s_andn2_b64 exec, exec, s[4:5]
	s_cbranch_execnz .LBB56_62
.LBB56_63:
	s_or_b64 exec, exec, s[2:3]
	s_sub_i32 s0, s25, s29
	s_cmp_ge_i32 s25, s29
	s_cselect_b32 s31, s0, 0
	s_waitcnt lgkmcnt(0)
	s_barrier
	s_and_saveexec_b64 s[0:1], vcc
	s_xor_b64 s[4:5], exec, s[0:1]
	s_cbranch_execz .LBB56_82
; %bb.64:
	s_ashr_i32 s1, s25, 31
	s_mov_b32 s0, s25
	s_lshl_b64 s[0:1], s[0:1], 2
	s_add_u32 s0, s16, s0
	s_addc_u32 s1, s17, s1
	s_load_dword s0, s[0:1], 0x0
	s_waitcnt lgkmcnt(0)
	s_sub_i32 s34, s0, s33
	v_cmp_gt_i32_e32 vcc, s34, v0
	s_and_saveexec_b64 s[6:7], vcc
	s_cbranch_execz .LBB56_81
; %bb.65:
	s_add_i32 s35, s25, -1
	s_cmp_gt_i32 s35, s24
	s_cselect_b64 s[2:3], -1, 0
	s_add_i32 s1, s25, -2
	s_cmp_lg_u32 s1, s24
	s_cselect_b64 s[10:11], -1, 0
	s_sub_i32 s36, s0, s26
	s_and_b64 s[0:1], s[2:3], s[10:11]
	v_cndmask_b32_e64 v3, 0, 1, s[0:1]
	s_mov_b32 s37, 0
	s_mov_b64 s[8:9], 0
	v_cmp_ne_u32_e64 s[0:1], 1, v3
	v_mov_b32_e32 v3, s17
	v_mov_b32_e32 v10, s19
	;; [unrolled: 1-line block ×4, first 2 shown]
	s_branch .LBB56_68
.LBB56_66:                              ;   in Loop: Header=BB56_68 Depth=1
	s_or_b64 exec, exec, s[2:3]
.LBB56_67:                              ;   in Loop: Header=BB56_68 Depth=1
	s_or_b64 exec, exec, s[10:11]
	v_ashrrev_i32_e32 v5, 31, v4
	v_add_co_u32_e32 v4, vcc, s22, v4
	v_addc_co_u32_e32 v5, vcc, v11, v5, vcc
	global_load_sbyte v4, v[4:5], off
	s_addk_i32 s37, 0x100
	v_add_u32_e32 v5, s37, v0
	v_cmp_le_i32_e32 vcc, s34, v5
	s_or_b64 s[8:9], vcc, s[8:9]
	s_waitcnt vmcnt(0)
	v_cvt_f32_i32_e32 v4, v4
	s_waitcnt lgkmcnt(0)
	v_mul_f32_e32 v4, v14, v4
	ds_write_b32 v13, v4
	s_andn2_b64 exec, exec, s[8:9]
	s_cbranch_execz .LBB56_81
.LBB56_68:                              ; =>This Loop Header: Depth=1
                                        ;     Child Loop BB56_70 Depth 2
                                        ;     Child Loop BB56_77 Depth 2
	v_add_u32_e32 v6, s37, v2
	s_and_b64 vcc, exec, s[0:1]
	v_mov_b32_e32 v5, s24
	v_mov_b32_e32 v8, s35
	s_cbranch_vccnz .LBB56_72
; %bb.69:                               ;   in Loop: Header=BB56_68 Depth=1
	s_mov_b64 s[10:11], 0
	v_mov_b32_e32 v5, s24
	v_mov_b32_e32 v8, s35
.LBB56_70:                              ;   Parent Loop BB56_68 Depth=1
                                        ; =>  This Inner Loop Header: Depth=2
	v_add_u32_e32 v4, v8, v5
	v_lshrrev_b32_e32 v9, 31, v4
	v_add_u32_e32 v4, v4, v9
	v_ashrrev_i32_e32 v14, 1, v4
	v_ashrrev_i32_e32 v15, 31, v14
	v_lshlrev_b64 v[16:17], 2, v[14:15]
	v_mov_b32_e32 v7, s17
	v_add_co_u32_e32 v16, vcc, s16, v16
	v_addc_co_u32_e32 v17, vcc, v7, v17, vcc
	global_load_dword v4, v[16:17], off
	s_waitcnt vmcnt(0)
	v_subrev_u32_e32 v4, s26, v4
	v_cmp_gt_i32_e32 vcc, v4, v6
	v_cndmask_b32_e32 v8, v8, v14, vcc
	v_cndmask_b32_e32 v5, v14, v5, vcc
	v_add_u32_e32 v4, -1, v8
	v_cmp_ge_i32_e32 vcc, v5, v8
	v_cmp_eq_u32_e64 s[2:3], v5, v4
	s_or_b64 s[2:3], vcc, s[2:3]
	s_and_b64 s[2:3], exec, s[2:3]
	s_or_b64 s[10:11], s[2:3], s[10:11]
	s_andn2_b64 exec, exec, s[10:11]
	s_cbranch_execnz .LBB56_70
; %bb.71:                               ;   in Loop: Header=BB56_68 Depth=1
	s_or_b64 exec, exec, s[10:11]
.LBB56_72:                              ;   in Loop: Header=BB56_68 Depth=1
	v_ashrrev_i32_e32 v9, 31, v8
	v_lshlrev_b64 v[14:15], 2, v[8:9]
	v_add_co_u32_e32 v14, vcc, s16, v14
	v_addc_co_u32_e32 v15, vcc, v3, v15, vcc
	v_ashrrev_i32_e32 v7, 31, v6
	global_load_dword v4, v[14:15], off
	v_lshlrev_b64 v[14:15], 2, v[6:7]
	v_add_co_u32_e32 v14, vcc, s18, v14
	v_addc_co_u32_e32 v15, vcc, v10, v15, vcc
	global_load_dword v7, v[14:15], off
	v_cmp_le_i32_e32 vcc, s36, v6
	v_lshl_add_u32 v13, s37, 2, v1
                                        ; implicit-def: $vgpr14
	s_waitcnt vmcnt(1)
	v_subrev_u32_e32 v9, s26, v4
	v_cmp_gt_i32_e64 s[2:3], v9, v6
	v_cndmask_b32_e64 v5, v8, v5, s[2:3]
	s_waitcnt vmcnt(0)
	v_subrev_u32_e32 v4, s26, v7
	v_cmp_eq_u32_e64 s[2:3], v4, v5
	s_or_b64 s[2:3], s[2:3], vcc
	s_and_saveexec_b64 s[10:11], s[2:3]
	s_xor_b64 s[2:3], exec, s[10:11]
	s_cbranch_execz .LBB56_74
; %bb.73:                               ;   in Loop: Header=BB56_68 Depth=1
	ds_read_b32 v14, v13
                                        ; implicit-def: $vgpr5
.LBB56_74:                              ;   in Loop: Header=BB56_68 Depth=1
	s_andn2_saveexec_b64 s[10:11], s[2:3]
	s_cbranch_execz .LBB56_67
; %bb.75:                               ;   in Loop: Header=BB56_68 Depth=1
	v_ashrrev_i32_e32 v7, 31, v5
	v_mov_b32_e32 v8, s23
	v_add_co_u32_e32 v6, vcc, s22, v5
	v_addc_co_u32_e32 v7, vcc, v8, v7, vcc
	global_load_sbyte v5, v[6:7], off
	s_waitcnt lgkmcnt(0)
	ds_read_b32 v14, v13
	v_cmp_gt_i32_e32 vcc, s31, v4
	v_cmp_le_i32_e64 s[2:3], s25, v4
	s_or_b64 s[2:3], vcc, s[2:3]
	s_waitcnt vmcnt(0)
	v_cvt_f32_i32_e32 v5, v5
	s_waitcnt lgkmcnt(0)
	v_mul_f32_e32 v15, v14, v5
	s_and_saveexec_b64 s[20:21], s[2:3]
	s_xor_b64 s[2:3], exec, s[20:21]
	s_cbranch_execz .LBB56_79
; %bb.76:                               ;   in Loop: Header=BB56_68 Depth=1
	v_ashrrev_i32_e32 v5, 31, v4
	v_lshlrev_b64 v[6:7], 2, v[4:5]
	v_mov_b32_e32 v5, s15
	v_add_co_u32_e32 v6, vcc, s14, v6
	v_addc_co_u32_e32 v7, vcc, v5, v7, vcc
	global_load_dword v9, v[6:7], off
	s_mov_b64 s[20:21], 0
.LBB56_77:                              ;   Parent Loop BB56_68 Depth=1
                                        ; =>  This Inner Loop Header: Depth=2
	s_waitcnt vmcnt(0)
	v_add_f32_e32 v8, v9, v15
	global_atomic_cmpswap v5, v[6:7], v[8:9], off glc
	s_waitcnt vmcnt(0)
	v_cmp_eq_u32_e32 vcc, v5, v9
	s_or_b64 s[20:21], vcc, s[20:21]
	v_mov_b32_e32 v9, v5
	s_andn2_b64 exec, exec, s[20:21]
	s_cbranch_execnz .LBB56_77
; %bb.78:                               ;   in Loop: Header=BB56_68 Depth=1
	s_or_b64 exec, exec, s[20:21]
                                        ; implicit-def: $vgpr15
.LBB56_79:                              ;   in Loop: Header=BB56_68 Depth=1
	s_andn2_saveexec_b64 s[2:3], s[2:3]
	s_cbranch_execz .LBB56_66
; %bb.80:                               ;   in Loop: Header=BB56_68 Depth=1
	v_subrev_u32_e32 v5, s31, v4
	v_lshl_add_u32 v5, v5, 2, v12
	ds_add_f32 v5, v15
	s_branch .LBB56_66
.LBB56_81:
	s_or_b64 exec, exec, s[6:7]
                                        ; implicit-def: $vgpr12
                                        ; implicit-def: $vgpr2
.LBB56_82:
	s_andn2_saveexec_b64 s[4:5], s[4:5]
	s_cbranch_execz .LBB56_148
; %bb.83:
	s_add_i32 s20, s25, -1
	s_cmp_le_i32 s20, s24
	s_cselect_b64 s[0:1], -1, 0
	s_add_i32 s2, s25, -2
	s_cmp_eq_u32 s2, s24
	s_cselect_b64 s[2:3], -1, 0
	s_or_b64 s[2:3], s[0:1], s[2:3]
	s_and_b64 vcc, exec, s[2:3]
	v_mov_b32_e32 v8, s24
	v_mov_b32_e32 v6, s20
	s_cbranch_vccnz .LBB56_87
; %bb.84:
	s_mov_b64 s[6:7], 0
	v_mov_b32_e32 v8, s24
	v_mov_b32_e32 v6, s20
	;; [unrolled: 1-line block ×3, first 2 shown]
.LBB56_85:                              ; =>This Inner Loop Header: Depth=1
	v_add_u32_e32 v5, v6, v8
	v_lshrrev_b32_e32 v7, 31, v5
	v_add_u32_e32 v5, v5, v7
	v_ashrrev_i32_e32 v10, 1, v5
	v_ashrrev_i32_e32 v11, 31, v10
	v_lshlrev_b64 v[14:15], 2, v[10:11]
	v_add_co_u32_e32 v14, vcc, s16, v14
	v_addc_co_u32_e32 v15, vcc, v4, v15, vcc
	global_load_dword v5, v[14:15], off
	s_waitcnt vmcnt(0)
	v_subrev_u32_e32 v5, s26, v5
	v_cmp_gt_i32_e32 vcc, v5, v2
	v_cndmask_b32_e32 v6, v6, v10, vcc
	v_cndmask_b32_e32 v8, v10, v8, vcc
	v_add_u32_e32 v5, -1, v6
	v_cmp_ge_i32_e32 vcc, v8, v6
	v_cmp_eq_u32_e64 s[0:1], v8, v5
	s_or_b64 s[0:1], vcc, s[0:1]
	s_and_b64 s[0:1], exec, s[0:1]
	s_or_b64 s[6:7], s[0:1], s[6:7]
	s_andn2_b64 exec, exec, s[6:7]
	s_cbranch_execnz .LBB56_85
; %bb.86:
	s_or_b64 exec, exec, s[6:7]
.LBB56_87:
	v_ashrrev_i32_e32 v7, 31, v6
	v_lshlrev_b64 v[4:5], 2, v[6:7]
	v_mov_b32_e32 v7, s17
	v_add_co_u32_e32 v4, vcc, s16, v4
	v_addc_co_u32_e32 v5, vcc, v7, v5, vcc
	global_load_dword v7, v[4:5], off
	v_lshlrev_b64 v[4:5], 2, v[2:3]
	v_mov_b32_e32 v3, s19
	v_add_co_u32_e32 v4, vcc, s18, v4
	v_addc_co_u32_e32 v5, vcc, v3, v5, vcc
	global_load_dword v3, v[4:5], off
	s_ashr_i32 s1, s25, 31
	s_mov_b32 s0, s25
	s_xor_b64 s[2:3], s[2:3], -1
	s_lshl_b64 s[0:1], s[0:1], 2
	s_add_u32 s6, s16, s0
	s_addc_u32 s7, s17, s1
	s_waitcnt vmcnt(1)
	v_subrev_u32_e32 v7, s26, v7
	v_cmp_gt_i32_e32 vcc, v7, v2
	v_cndmask_b32_e32 v7, v6, v8, vcc
	s_waitcnt vmcnt(0)
	v_subrev_u32_e32 v6, s26, v3
	v_cmp_ne_u32_e32 vcc, v6, v7
                                        ; implicit-def: $vgpr3
	s_and_saveexec_b64 s[0:1], vcc
	s_xor_b64 s[8:9], exec, s[0:1]
	s_cbranch_execz .LBB56_97
; %bb.88:
	s_load_dword s0, s[6:7], 0x0
	ds_read_b32 v3, v1
	s_waitcnt lgkmcnt(0)
	s_sub_i32 s0, s0, s26
	v_cmp_gt_i32_e32 vcc, s0, v2
	s_and_saveexec_b64 s[10:11], vcc
	s_cbranch_execz .LBB56_96
; %bb.89:
	v_ashrrev_i32_e32 v9, 31, v7
	v_mov_b32_e32 v10, s23
	v_add_co_u32_e32 v8, vcc, s22, v7
	v_addc_co_u32_e32 v9, vcc, v10, v9, vcc
	global_load_sbyte v7, v[8:9], off
	v_cmp_gt_i32_e32 vcc, s31, v6
	v_cmp_le_i32_e64 s[0:1], s25, v6
	s_or_b64 s[0:1], vcc, s[0:1]
	s_waitcnt vmcnt(0)
	v_cvt_f32_i32_e32 v7, v7
	v_mul_f32_e32 v13, v3, v7
	s_and_saveexec_b64 s[18:19], s[0:1]
	s_xor_b64 s[0:1], exec, s[18:19]
	s_cbranch_execz .LBB56_93
; %bb.90:
	v_ashrrev_i32_e32 v7, 31, v6
	v_lshlrev_b64 v[8:9], 2, v[6:7]
	v_mov_b32_e32 v7, s15
	v_add_co_u32_e32 v8, vcc, s14, v8
	v_addc_co_u32_e32 v9, vcc, v7, v9, vcc
	global_load_dword v11, v[8:9], off
	s_mov_b64 s[18:19], 0
.LBB56_91:                              ; =>This Inner Loop Header: Depth=1
	s_waitcnt vmcnt(0)
	v_add_f32_e32 v10, v11, v13
	global_atomic_cmpswap v7, v[8:9], v[10:11], off glc
	s_waitcnt vmcnt(0)
	v_cmp_eq_u32_e32 vcc, v7, v11
	s_or_b64 s[18:19], vcc, s[18:19]
	v_mov_b32_e32 v11, v7
	s_andn2_b64 exec, exec, s[18:19]
	s_cbranch_execnz .LBB56_91
; %bb.92:
	s_or_b64 exec, exec, s[18:19]
                                        ; implicit-def: $vgpr13
.LBB56_93:
	s_andn2_saveexec_b64 s[0:1], s[0:1]
	s_cbranch_execz .LBB56_95
; %bb.94:
	v_subrev_u32_e32 v7, s31, v6
	v_mov_b32_e32 v8, 0x1000
	v_lshl_add_u32 v7, v7, 2, v8
	ds_add_f32 v7, v13
.LBB56_95:
	s_or_b64 exec, exec, s[0:1]
.LBB56_96:
	s_or_b64 exec, exec, s[10:11]
.LBB56_97:
	s_andn2_saveexec_b64 s[0:1], s[8:9]
	s_cbranch_execz .LBB56_99
; %bb.98:
	ds_read_b32 v3, v1
.LBB56_99:
	s_or_b64 exec, exec, s[0:1]
	v_ashrrev_i32_e32 v7, 31, v6
	v_mov_b32_e32 v8, s23
	v_add_co_u32_e32 v6, vcc, s22, v6
	v_addc_co_u32_e32 v7, vcc, v8, v7, vcc
	global_load_sbyte v6, v[6:7], off
	v_cndmask_b32_e64 v7, 0, 1, s[2:3]
	v_add_u32_e32 v8, 0x100, v2
	v_mov_b32_e32 v9, s24
	v_cmp_ne_u32_e64 s[0:1], 1, v7
	s_andn2_b64 vcc, exec, s[2:3]
	s_waitcnt vmcnt(0)
	v_cvt_f32_i32_e32 v6, v6
	s_waitcnt lgkmcnt(0)
	v_mul_f32_e32 v3, v3, v6
	v_mov_b32_e32 v6, s20
	ds_write_b32 v1, v3
	s_cbranch_vccnz .LBB56_103
; %bb.100:
	s_mov_b64 s[8:9], 0
	v_mov_b32_e32 v9, s24
	v_mov_b32_e32 v6, s20
	;; [unrolled: 1-line block ×3, first 2 shown]
.LBB56_101:                             ; =>This Inner Loop Header: Depth=1
	v_add_u32_e32 v7, v6, v9
	v_lshrrev_b32_e32 v10, 31, v7
	v_add_u32_e32 v7, v7, v10
	v_ashrrev_i32_e32 v10, 1, v7
	v_ashrrev_i32_e32 v11, 31, v10
	v_lshlrev_b64 v[14:15], 2, v[10:11]
	v_add_co_u32_e32 v14, vcc, s16, v14
	v_addc_co_u32_e32 v15, vcc, v3, v15, vcc
	global_load_dword v7, v[14:15], off
	s_waitcnt vmcnt(0)
	v_subrev_u32_e32 v7, s26, v7
	v_cmp_gt_i32_e32 vcc, v7, v8
	v_cndmask_b32_e32 v6, v6, v10, vcc
	v_cndmask_b32_e32 v9, v10, v9, vcc
	v_add_u32_e32 v7, -1, v6
	v_cmp_ge_i32_e32 vcc, v9, v6
	v_cmp_eq_u32_e64 s[2:3], v9, v7
	s_or_b64 s[2:3], vcc, s[2:3]
	s_and_b64 s[2:3], exec, s[2:3]
	s_or_b64 s[8:9], s[2:3], s[8:9]
	s_andn2_b64 exec, exec, s[8:9]
	s_cbranch_execnz .LBB56_101
; %bb.102:
	s_or_b64 exec, exec, s[8:9]
.LBB56_103:
	v_ashrrev_i32_e32 v7, 31, v6
	v_lshlrev_b64 v[10:11], 2, v[6:7]
	v_mov_b32_e32 v3, s17
	v_add_co_u32_e32 v10, vcc, s16, v10
	v_addc_co_u32_e32 v11, vcc, v3, v11, vcc
	global_load_dword v3, v[10:11], off
	global_load_dword v13, v[4:5], off offset:1024
	s_waitcnt vmcnt(1)
	v_subrev_u32_e32 v3, s26, v3
	v_cmp_gt_i32_e32 vcc, v3, v8
	v_cndmask_b32_e32 v7, v6, v9, vcc
	s_waitcnt vmcnt(0)
	v_subrev_u32_e32 v6, s26, v13
	v_cmp_ne_u32_e32 vcc, v6, v7
                                        ; implicit-def: $vgpr3
	s_and_saveexec_b64 s[2:3], vcc
	s_xor_b64 s[8:9], exec, s[2:3]
	s_cbranch_execz .LBB56_113
; %bb.104:
	s_load_dword s2, s[6:7], 0x0
	ds_read_b32 v3, v1 offset:1024
	s_waitcnt lgkmcnt(0)
	s_sub_i32 s2, s2, s26
	v_cmp_gt_i32_e32 vcc, s2, v8
	s_and_saveexec_b64 s[10:11], vcc
	s_cbranch_execz .LBB56_112
; %bb.105:
	v_ashrrev_i32_e32 v9, 31, v7
	v_mov_b32_e32 v10, s23
	v_add_co_u32_e32 v8, vcc, s22, v7
	v_addc_co_u32_e32 v9, vcc, v10, v9, vcc
	global_load_sbyte v7, v[8:9], off
	v_cmp_gt_i32_e32 vcc, s31, v6
	v_cmp_le_i32_e64 s[2:3], s25, v6
	s_or_b64 s[2:3], vcc, s[2:3]
	s_waitcnt vmcnt(0)
	v_cvt_f32_i32_e32 v7, v7
	v_mul_f32_e32 v13, v3, v7
	s_and_saveexec_b64 s[18:19], s[2:3]
	s_xor_b64 s[2:3], exec, s[18:19]
	s_cbranch_execz .LBB56_109
; %bb.106:
	v_ashrrev_i32_e32 v7, 31, v6
	v_lshlrev_b64 v[8:9], 2, v[6:7]
	v_mov_b32_e32 v7, s15
	v_add_co_u32_e32 v8, vcc, s14, v8
	v_addc_co_u32_e32 v9, vcc, v7, v9, vcc
	global_load_dword v11, v[8:9], off
	s_mov_b64 s[18:19], 0
.LBB56_107:                             ; =>This Inner Loop Header: Depth=1
	s_waitcnt vmcnt(0)
	v_add_f32_e32 v10, v11, v13
	global_atomic_cmpswap v7, v[8:9], v[10:11], off glc
	s_waitcnt vmcnt(0)
	v_cmp_eq_u32_e32 vcc, v7, v11
	s_or_b64 s[18:19], vcc, s[18:19]
	v_mov_b32_e32 v11, v7
	s_andn2_b64 exec, exec, s[18:19]
	s_cbranch_execnz .LBB56_107
; %bb.108:
	s_or_b64 exec, exec, s[18:19]
                                        ; implicit-def: $vgpr13
.LBB56_109:
	s_andn2_saveexec_b64 s[2:3], s[2:3]
	s_cbranch_execz .LBB56_111
; %bb.110:
	v_subrev_u32_e32 v7, s31, v6
	v_mov_b32_e32 v8, 0x1000
	v_lshl_add_u32 v7, v7, 2, v8
	ds_add_f32 v7, v13
.LBB56_111:
	s_or_b64 exec, exec, s[2:3]
.LBB56_112:
	s_or_b64 exec, exec, s[10:11]
.LBB56_113:
	s_andn2_saveexec_b64 s[2:3], s[8:9]
	s_cbranch_execz .LBB56_115
; %bb.114:
	ds_read_b32 v3, v1 offset:1024
.LBB56_115:
	s_or_b64 exec, exec, s[2:3]
	v_ashrrev_i32_e32 v7, 31, v6
	v_mov_b32_e32 v8, s23
	v_add_co_u32_e32 v6, vcc, s22, v6
	v_addc_co_u32_e32 v7, vcc, v8, v7, vcc
	global_load_sbyte v6, v[6:7], off
	s_and_b64 vcc, exec, s[0:1]
	v_mov_b32_e32 v7, s24
	s_waitcnt vmcnt(0)
	v_cvt_f32_i32_e32 v8, v6
	v_add_u32_e32 v6, 0x200, v2
	s_waitcnt lgkmcnt(0)
	v_mul_f32_e32 v2, v3, v8
	ds_write_b32 v1, v2 offset:1024
	v_mov_b32_e32 v2, s20
	s_cbranch_vccnz .LBB56_119
; %bb.116:
	s_mov_b64 s[8:9], 0
	v_mov_b32_e32 v7, s24
	v_mov_b32_e32 v2, s20
	;; [unrolled: 1-line block ×3, first 2 shown]
.LBB56_117:                             ; =>This Inner Loop Header: Depth=1
	v_add_u32_e32 v8, v2, v7
	v_lshrrev_b32_e32 v9, 31, v8
	v_add_u32_e32 v8, v8, v9
	v_ashrrev_i32_e32 v8, 1, v8
	v_ashrrev_i32_e32 v9, 31, v8
	v_lshlrev_b64 v[10:11], 2, v[8:9]
	v_add_co_u32_e32 v10, vcc, s16, v10
	v_addc_co_u32_e32 v11, vcc, v3, v11, vcc
	global_load_dword v9, v[10:11], off
	s_waitcnt vmcnt(0)
	v_subrev_u32_e32 v9, s26, v9
	v_cmp_gt_i32_e32 vcc, v9, v6
	v_cndmask_b32_e32 v2, v2, v8, vcc
	v_cndmask_b32_e32 v7, v8, v7, vcc
	v_add_u32_e32 v8, -1, v2
	v_cmp_ge_i32_e32 vcc, v7, v2
	v_cmp_eq_u32_e64 s[2:3], v7, v8
	s_or_b64 s[2:3], vcc, s[2:3]
	s_and_b64 s[2:3], exec, s[2:3]
	s_or_b64 s[8:9], s[2:3], s[8:9]
	s_andn2_b64 exec, exec, s[8:9]
	s_cbranch_execnz .LBB56_117
; %bb.118:
	s_or_b64 exec, exec, s[8:9]
.LBB56_119:
	v_ashrrev_i32_e32 v3, 31, v2
	v_lshlrev_b64 v[8:9], 2, v[2:3]
	v_mov_b32_e32 v3, s17
	v_add_co_u32_e32 v8, vcc, s16, v8
	v_addc_co_u32_e32 v9, vcc, v3, v9, vcc
	global_load_dword v3, v[8:9], off
	global_load_dword v10, v[4:5], off offset:2048
	s_waitcnt vmcnt(1)
	v_subrev_u32_e32 v3, s26, v3
	v_cmp_gt_i32_e32 vcc, v3, v6
	v_cndmask_b32_e32 v3, v2, v7, vcc
	s_waitcnt vmcnt(0)
	v_subrev_u32_e32 v2, s26, v10
	v_cmp_ne_u32_e32 vcc, v2, v3
                                        ; implicit-def: $vgpr10
	s_and_saveexec_b64 s[2:3], vcc
	s_xor_b64 s[8:9], exec, s[2:3]
	s_cbranch_execz .LBB56_129
; %bb.120:
	s_load_dword s2, s[6:7], 0x0
	ds_read_b32 v10, v1 offset:2048
	s_waitcnt lgkmcnt(0)
	s_sub_i32 s2, s2, s26
	v_cmp_gt_i32_e32 vcc, s2, v6
	s_and_saveexec_b64 s[10:11], vcc
	s_cbranch_execz .LBB56_128
; %bb.121:
	v_ashrrev_i32_e32 v7, 31, v3
	v_mov_b32_e32 v8, s23
	v_add_co_u32_e32 v6, vcc, s22, v3
	v_addc_co_u32_e32 v7, vcc, v8, v7, vcc
	global_load_sbyte v3, v[6:7], off
	v_cmp_gt_i32_e32 vcc, s31, v2
	v_cmp_le_i32_e64 s[2:3], s25, v2
	s_or_b64 s[2:3], vcc, s[2:3]
	s_waitcnt vmcnt(0)
	v_cvt_f32_i32_e32 v3, v3
	v_mul_f32_e32 v11, v10, v3
	s_and_saveexec_b64 s[18:19], s[2:3]
	s_xor_b64 s[2:3], exec, s[18:19]
	s_cbranch_execz .LBB56_125
; %bb.122:
	v_ashrrev_i32_e32 v3, 31, v2
	v_lshlrev_b64 v[6:7], 2, v[2:3]
	v_mov_b32_e32 v3, s15
	v_add_co_u32_e32 v6, vcc, s14, v6
	v_addc_co_u32_e32 v7, vcc, v3, v7, vcc
	global_load_dword v9, v[6:7], off
	s_mov_b64 s[18:19], 0
.LBB56_123:                             ; =>This Inner Loop Header: Depth=1
	s_waitcnt vmcnt(0)
	v_add_f32_e32 v8, v9, v11
	global_atomic_cmpswap v3, v[6:7], v[8:9], off glc
	s_waitcnt vmcnt(0)
	v_cmp_eq_u32_e32 vcc, v3, v9
	s_or_b64 s[18:19], vcc, s[18:19]
	v_mov_b32_e32 v9, v3
	s_andn2_b64 exec, exec, s[18:19]
	s_cbranch_execnz .LBB56_123
; %bb.124:
	s_or_b64 exec, exec, s[18:19]
                                        ; implicit-def: $vgpr11
.LBB56_125:
	s_andn2_saveexec_b64 s[2:3], s[2:3]
	s_cbranch_execz .LBB56_127
; %bb.126:
	v_subrev_u32_e32 v3, s31, v2
	v_mov_b32_e32 v6, 0x1000
	v_lshl_add_u32 v3, v3, 2, v6
	ds_add_f32 v3, v11
.LBB56_127:
	s_or_b64 exec, exec, s[2:3]
.LBB56_128:
	s_or_b64 exec, exec, s[10:11]
.LBB56_129:
	s_andn2_saveexec_b64 s[2:3], s[8:9]
	s_cbranch_execz .LBB56_131
; %bb.130:
	ds_read_b32 v10, v1 offset:2048
.LBB56_131:
	s_or_b64 exec, exec, s[2:3]
	v_ashrrev_i32_e32 v3, 31, v2
	v_mov_b32_e32 v6, s23
	v_add_co_u32_e32 v2, vcc, s22, v2
	v_addc_co_u32_e32 v3, vcc, v6, v3, vcc
	global_load_sbyte v2, v[2:3], off
	s_and_b64 vcc, exec, s[0:1]
	v_mov_b32_e32 v6, s24
	s_waitcnt vmcnt(0)
	v_cvt_f32_i32_e32 v2, v2
	s_waitcnt lgkmcnt(0)
	v_mul_f32_e32 v2, v10, v2
	ds_write_b32 v1, v2 offset:2048
	v_mov_b32_e32 v2, s20
	s_cbranch_vccnz .LBB56_135
; %bb.132:
	s_mov_b64 s[2:3], 0
	v_mov_b32_e32 v6, s24
	v_mov_b32_e32 v2, s20
	;; [unrolled: 1-line block ×3, first 2 shown]
.LBB56_133:                             ; =>This Inner Loop Header: Depth=1
	v_add_u32_e32 v7, v2, v6
	v_lshrrev_b32_e32 v8, 31, v7
	v_add_u32_e32 v7, v7, v8
	v_ashrrev_i32_e32 v8, 1, v7
	v_ashrrev_i32_e32 v9, 31, v8
	v_lshlrev_b64 v[10:11], 2, v[8:9]
	v_add_co_u32_e32 v10, vcc, s16, v10
	v_addc_co_u32_e32 v11, vcc, v3, v11, vcc
	global_load_dword v7, v[10:11], off
	s_waitcnt vmcnt(0)
	v_subrev_u32_e32 v7, s26, v7
	v_cmp_gt_i32_e32 vcc, v7, v12
	v_cndmask_b32_e32 v2, v2, v8, vcc
	v_cndmask_b32_e32 v6, v8, v6, vcc
	v_add_u32_e32 v7, -1, v2
	v_cmp_ge_i32_e32 vcc, v6, v2
	v_cmp_eq_u32_e64 s[0:1], v6, v7
	s_or_b64 s[0:1], vcc, s[0:1]
	s_and_b64 s[0:1], exec, s[0:1]
	s_or_b64 s[2:3], s[0:1], s[2:3]
	s_andn2_b64 exec, exec, s[2:3]
	s_cbranch_execnz .LBB56_133
; %bb.134:
	s_or_b64 exec, exec, s[2:3]
.LBB56_135:
	v_ashrrev_i32_e32 v3, 31, v2
	v_lshlrev_b64 v[8:9], 2, v[2:3]
	v_mov_b32_e32 v3, s17
	v_add_co_u32_e32 v8, vcc, s16, v8
	v_addc_co_u32_e32 v9, vcc, v3, v9, vcc
	global_load_dword v3, v[8:9], off
	global_load_dword v7, v[4:5], off offset:3072
                                        ; implicit-def: $vgpr8
	s_waitcnt vmcnt(1)
	v_subrev_u32_e32 v3, s26, v3
	v_cmp_gt_i32_e32 vcc, v3, v12
	v_cndmask_b32_e32 v3, v2, v6, vcc
	s_waitcnt vmcnt(0)
	v_subrev_u32_e32 v2, s26, v7
	v_cmp_ne_u32_e32 vcc, v2, v3
	s_and_saveexec_b64 s[0:1], vcc
	s_xor_b64 s[2:3], exec, s[0:1]
	s_cbranch_execz .LBB56_145
; %bb.136:
	s_load_dword s0, s[6:7], 0x0
	ds_read_b32 v8, v1 offset:3072
	s_waitcnt lgkmcnt(0)
	s_sub_i32 s0, s0, s26
	v_cmp_gt_i32_e32 vcc, s0, v12
	s_and_saveexec_b64 s[6:7], vcc
	s_cbranch_execz .LBB56_144
; %bb.137:
	v_ashrrev_i32_e32 v5, 31, v3
	v_mov_b32_e32 v6, s23
	v_add_co_u32_e32 v4, vcc, s22, v3
	v_addc_co_u32_e32 v5, vcc, v6, v5, vcc
	global_load_sbyte v3, v[4:5], off
	v_cmp_gt_i32_e32 vcc, s31, v2
	v_cmp_le_i32_e64 s[0:1], s25, v2
	s_or_b64 s[0:1], vcc, s[0:1]
	s_waitcnt vmcnt(0)
	v_cvt_f32_i32_e32 v3, v3
	v_mul_f32_e32 v9, v8, v3
	s_and_saveexec_b64 s[8:9], s[0:1]
	s_xor_b64 s[0:1], exec, s[8:9]
	s_cbranch_execz .LBB56_141
; %bb.138:
	v_ashrrev_i32_e32 v3, 31, v2
	v_lshlrev_b64 v[4:5], 2, v[2:3]
	v_mov_b32_e32 v3, s15
	v_add_co_u32_e32 v4, vcc, s14, v4
	v_addc_co_u32_e32 v5, vcc, v3, v5, vcc
	global_load_dword v7, v[4:5], off
	s_mov_b64 s[8:9], 0
.LBB56_139:                             ; =>This Inner Loop Header: Depth=1
	s_waitcnt vmcnt(0)
	v_add_f32_e32 v6, v7, v9
	global_atomic_cmpswap v3, v[4:5], v[6:7], off glc
	s_waitcnt vmcnt(0)
	v_cmp_eq_u32_e32 vcc, v3, v7
	s_or_b64 s[8:9], vcc, s[8:9]
	v_mov_b32_e32 v7, v3
	s_andn2_b64 exec, exec, s[8:9]
	s_cbranch_execnz .LBB56_139
; %bb.140:
	s_or_b64 exec, exec, s[8:9]
                                        ; implicit-def: $vgpr9
.LBB56_141:
	s_andn2_saveexec_b64 s[0:1], s[0:1]
	s_cbranch_execz .LBB56_143
; %bb.142:
	v_subrev_u32_e32 v3, s31, v2
	v_mov_b32_e32 v4, 0x1000
	v_lshl_add_u32 v3, v3, 2, v4
	ds_add_f32 v3, v9
.LBB56_143:
	s_or_b64 exec, exec, s[0:1]
.LBB56_144:
	s_or_b64 exec, exec, s[6:7]
.LBB56_145:
	s_andn2_saveexec_b64 s[0:1], s[2:3]
	s_cbranch_execz .LBB56_147
; %bb.146:
	ds_read_b32 v8, v1 offset:3072
.LBB56_147:
	s_or_b64 exec, exec, s[0:1]
	v_ashrrev_i32_e32 v3, 31, v2
	v_mov_b32_e32 v4, s23
	v_add_co_u32_e32 v2, vcc, s22, v2
	v_addc_co_u32_e32 v3, vcc, v4, v3, vcc
	global_load_sbyte v2, v[2:3], off
	s_waitcnt vmcnt(0)
	v_cvt_f32_i32_e32 v2, v2
	s_waitcnt lgkmcnt(0)
	v_mul_f32_e32 v2, v8, v2
	ds_write_b32 v1, v2 offset:3072
.LBB56_148:
	s_or_b64 exec, exec, s[4:5]
	s_min_i32 s6, s25, s29
	s_sub_i32 s8, s6, s27
	v_cmp_gt_i32_e32 vcc, s8, v0
	s_waitcnt lgkmcnt(0)
	s_barrier
	s_and_saveexec_b64 s[0:1], vcc
	s_cbranch_execz .LBB56_153
; %bb.149:
	s_mov_b64 s[2:3], 0
	v_mov_b32_e32 v6, s15
	v_mov_b32_e32 v7, 0x1000
	;; [unrolled: 1-line block ×3, first 2 shown]
.LBB56_150:                             ; =>This Loop Header: Depth=1
                                        ;     Child Loop BB56_151 Depth 2
	v_add_u32_e32 v2, s31, v8
	v_ashrrev_i32_e32 v3, 31, v2
	v_lshlrev_b64 v[2:3], 2, v[2:3]
	v_add_co_u32_e32 v2, vcc, s14, v2
	v_addc_co_u32_e32 v3, vcc, v6, v3, vcc
	global_load_dword v5, v[2:3], off
	v_lshl_add_u32 v4, v8, 2, v7
	ds_read_b32 v9, v4
	s_mov_b64 s[4:5], 0
.LBB56_151:                             ;   Parent Loop BB56_150 Depth=1
                                        ; =>  This Inner Loop Header: Depth=2
	s_waitcnt vmcnt(0) lgkmcnt(0)
	v_add_f32_e32 v4, v5, v9
	global_atomic_cmpswap v4, v[2:3], v[4:5], off glc
	s_waitcnt vmcnt(0)
	v_cmp_eq_u32_e32 vcc, v4, v5
	s_or_b64 s[4:5], vcc, s[4:5]
	v_mov_b32_e32 v5, v4
	s_andn2_b64 exec, exec, s[4:5]
	s_cbranch_execnz .LBB56_151
; %bb.152:                              ;   in Loop: Header=BB56_150 Depth=1
	s_or_b64 exec, exec, s[4:5]
	v_add_u32_e32 v8, 0x100, v8
	v_cmp_le_i32_e32 vcc, s8, v8
	s_or_b64 s[2:3], vcc, s[2:3]
	s_andn2_b64 exec, exec, s[2:3]
	s_cbranch_execnz .LBB56_150
.LBB56_153:
	s_or_b64 exec, exec, s[0:1]
	s_mul_i32 s0, s30, s27
	s_sub_i32 s0, s28, s0
	s_add_i32 s1, s30, 1
	s_sub_i32 s2, s0, s27
	s_cmp_ge_u32 s0, s27
	s_cselect_b32 s1, s1, s30
	s_cselect_b32 s0, s2, s0
	s_add_i32 s2, s1, 1
	s_cmp_ge_u32 s0, s27
	s_cselect_b32 s0, s2, s1
	s_add_i32 s0, s0, -1
	s_ashr_i32 s1, s0, 1
	s_or_b32 s0, s1, s0
	s_ashr_i32 s1, s0, 2
	s_or_b32 s0, s1, s0
	;; [unrolled: 2-line block ×5, first 2 shown]
	s_add_i32 s9, s9, 1
	s_ashr_i32 s10, s9, 1
	v_add_u32_e32 v2, s24, v0
	s_cmp_gt_i32 s10, 1
	s_mov_b64 s[0:1], -1
	s_barrier
	s_cbranch_scc1 .LBB56_164
; %bb.154:
	v_cmp_gt_i32_e32 vcc, s25, v2
	s_and_saveexec_b64 s[0:1], vcc
	s_cbranch_execz .LBB56_163
; %bb.155:
	s_sub_i32 s2, s6, s25
	s_lshl_b32 s2, s2, 2
	s_add_i32 s11, s2, 0x1000
	s_lshl_b32 s2, s33, 2
	s_sub_i32 s18, 0, s2
	s_mov_b64 s[2:3], 0
	v_mov_b32_e32 v3, s17
	v_mov_b32_e32 v10, s15
	;; [unrolled: 1-line block ×3, first 2 shown]
.LBB56_156:                             ; =>This Loop Header: Depth=1
                                        ;     Child Loop BB56_158 Depth 2
                                        ;     Child Loop BB56_161 Depth 2
	v_ashrrev_i32_e32 v5, 31, v4
	v_lshlrev_b64 v[6:7], 2, v[4:5]
	v_add_co_u32_e32 v8, vcc, s16, v6
	v_addc_co_u32_e32 v9, vcc, v3, v7, vcc
	global_load_dwordx2 v[8:9], v[8:9], off
	v_mov_b32_e32 v5, 0
	s_waitcnt vmcnt(0)
	v_cmp_lt_i32_e32 vcc, v8, v9
	s_and_saveexec_b64 s[4:5], vcc
	s_cbranch_execz .LBB56_160
; %bb.157:                              ;   in Loop: Header=BB56_156 Depth=1
	v_subrev_u32_e32 v9, s33, v9
	v_subrev_u32_e32 v11, s33, v8
	v_lshl_add_u32 v8, v8, 2, s18
	s_mov_b64 s[6:7], 0
	v_mov_b32_e32 v5, 0
.LBB56_158:                             ;   Parent Loop BB56_156 Depth=1
                                        ; =>  This Inner Loop Header: Depth=2
	ds_read_b32 v12, v8
	v_add_u32_e32 v11, 1, v11
	v_cmp_ge_i32_e32 vcc, v11, v9
	v_add_u32_e32 v8, 4, v8
	s_or_b64 s[6:7], vcc, s[6:7]
	s_waitcnt lgkmcnt(0)
	v_add_f32_e32 v5, v5, v12
	s_andn2_b64 exec, exec, s[6:7]
	s_cbranch_execnz .LBB56_158
; %bb.159:                              ;   in Loop: Header=BB56_156 Depth=1
	s_or_b64 exec, exec, s[6:7]
.LBB56_160:                             ;   in Loop: Header=BB56_156 Depth=1
	s_or_b64 exec, exec, s[4:5]
	v_add_co_u32_e32 v6, vcc, s14, v6
	v_addc_co_u32_e32 v7, vcc, v10, v7, vcc
	global_load_dword v9, v[6:7], off
	v_lshl_add_u32 v8, v4, 2, s11
	ds_read_b32 v8, v8
	s_mov_b64 s[4:5], 0
	s_waitcnt lgkmcnt(0)
	v_add_f32_e32 v5, v5, v8
.LBB56_161:                             ;   Parent Loop BB56_156 Depth=1
                                        ; =>  This Inner Loop Header: Depth=2
	s_waitcnt vmcnt(0)
	v_add_f32_e32 v8, v9, v5
	global_atomic_cmpswap v8, v[6:7], v[8:9], off glc
	s_waitcnt vmcnt(0)
	v_cmp_eq_u32_e32 vcc, v8, v9
	s_or_b64 s[4:5], vcc, s[4:5]
	v_mov_b32_e32 v9, v8
	s_andn2_b64 exec, exec, s[4:5]
	s_cbranch_execnz .LBB56_161
; %bb.162:                              ;   in Loop: Header=BB56_156 Depth=1
	s_or_b64 exec, exec, s[4:5]
	v_add_u32_e32 v4, s28, v4
	v_cmp_le_i32_e32 vcc, s25, v4
	s_or_b64 s[2:3], vcc, s[2:3]
	s_andn2_b64 exec, exec, s[2:3]
	s_cbranch_execnz .LBB56_156
.LBB56_163:
	s_or_b64 exec, exec, s[0:1]
	s_mov_b64 s[0:1], 0
.LBB56_164:
	s_andn2_b64 vcc, exec, s[0:1]
	s_cbranch_vccnz .LBB56_189
; %bb.165:
	v_cvt_f32_u32_e32 v3, s10
	s_sub_i32 s0, 0, s10
	v_mov_b32_e32 v8, 0
	v_rcp_iflag_f32_e32 v3, v3
	v_mul_f32_e32 v3, 0x4f7ffffe, v3
	v_cvt_u32_f32_e32 v3, v3
	v_mul_lo_u32 v4, s0, v3
	v_mul_hi_u32 v4, v3, v4
	v_add_u32_e32 v3, v3, v4
	v_mul_hi_u32 v3, v0, v3
	v_mul_lo_u32 v4, v3, s10
	v_sub_u32_e32 v4, v0, v4
	v_add_u32_e32 v5, 1, v3
	v_cmp_le_u32_e32 vcc, s10, v4
	v_cndmask_b32_e32 v3, v3, v5, vcc
	v_subrev_u32_e32 v5, s10, v4
	v_cndmask_b32_e32 v4, v4, v5, vcc
	v_add_u32_e32 v5, 1, v3
	v_cmp_le_u32_e32 vcc, s10, v4
	v_cndmask_b32_e32 v3, v3, v5, vcc
	v_lshlrev_b32_e32 v4, 2, v3
	global_load_dwordx2 v[6:7], v4, s[12:13]
	v_cmp_gt_i32_e32 vcc, s27, v3
	s_and_saveexec_b64 s[0:1], vcc
	s_cbranch_execz .LBB56_179
; %bb.166:
	s_abs_i32 s4, s10
	v_cvt_f32_u32_e32 v5, s4
	s_waitcnt vmcnt(0)
	v_subrev_u32_e32 v4, s33, v6
	v_subrev_u32_e32 v3, s33, v7
	v_sub_u32_e32 v7, v3, v4
	v_rcp_iflag_f32_e32 v5, v5
	s_sub_i32 s2, 0, s4
	v_sub_u32_e32 v8, 0, v7
	v_ashrrev_i32_e32 v10, 31, v7
	v_mul_f32_e32 v5, 0x4f7ffffe, v5
	v_cvt_u32_f32_e32 v5, v5
	v_max_i32_e32 v7, v7, v8
	s_ashr_i32 s5, s10, 31
	v_mul_lo_u32 v8, s2, v5
	v_mul_hi_u32 v8, v5, v8
	v_add_u32_e32 v5, v5, v8
	v_mad_u64_u32 v[8:9], s[2:3], v7, v5, 0
	v_mul_lo_u32 v8, v9, s4
	v_sub_u32_e32 v7, v7, v8
	v_add_u32_e32 v8, 1, v9
	v_cmp_le_u32_e32 vcc, s4, v7
	v_cndmask_b32_e32 v8, v9, v8, vcc
	v_subrev_u32_e32 v9, s4, v7
	v_cndmask_b32_e32 v7, v7, v9, vcc
	v_add_u32_e32 v9, 1, v8
	v_cmp_le_u32_e32 vcc, s4, v7
	v_xor_b32_e32 v5, s5, v10
	v_cndmask_b32_e32 v7, v8, v9, vcc
	v_xor_b32_e32 v7, v7, v5
	v_sub_u32_e32 v5, v7, v5
	s_add_i32 s2, s10, -1
	v_and_b32_e32 v7, s2, v0
	v_cmp_lt_i32_e32 vcc, 0, v5
	v_mov_b32_e32 v8, 0
	s_and_saveexec_b64 s[2:3], vcc
	s_cbranch_execz .LBB56_176
; %bb.167:
	v_cmp_lt_u32_e32 vcc, 7, v5
	v_mov_b32_e32 v9, 0
	v_mov_b32_e32 v8, 0
	s_and_saveexec_b64 s[4:5], vcc
	s_cbranch_execz .LBB56_171
; %bb.168:
	v_add_u32_e32 v8, v6, v7
	v_subrev_u32_e32 v8, s33, v8
	v_and_b32_e32 v9, 0x7ffffff8, v5
	v_lshlrev_b32_e32 v10, 2, v8
	s_lshl_b32 s11, s10, 5
	s_lshl_b32 s12, s10, 2
	s_mov_b32 s13, 0
	s_mov_b64 s[6:7], 0
	v_mov_b32_e32 v8, 0
.LBB56_169:                             ; =>This Inner Loop Header: Depth=1
	ds_read_b32 v11, v10
	v_add_u32_e32 v12, s12, v10
	v_add_u32_e32 v13, s12, v12
	ds_read_b32 v12, v12
	v_add_u32_e32 v14, s12, v13
	ds_read_b32 v13, v13
	;; [unrolled: 2-line block ×4, first 2 shown]
	s_waitcnt lgkmcnt(4)
	v_add_f32_e32 v8, v8, v11
	v_add_u32_e32 v11, s12, v16
	ds_read_b32 v16, v16
	ds_read_b32 v17, v11
	s_waitcnt lgkmcnt(5)
	v_add_f32_e32 v8, v8, v12
	v_add_u32_e32 v11, s12, v11
	s_waitcnt lgkmcnt(4)
	v_add_f32_e32 v8, v8, v13
	ds_read_b32 v11, v11
	s_waitcnt lgkmcnt(4)
	v_add_f32_e32 v8, v8, v14
	s_waitcnt lgkmcnt(3)
	v_add_f32_e32 v8, v8, v15
	s_add_i32 s13, s13, 8
	s_waitcnt lgkmcnt(2)
	v_add_f32_e32 v8, v8, v16
	v_cmp_eq_u32_e32 vcc, s13, v9
	s_waitcnt lgkmcnt(1)
	v_add_f32_e32 v8, v8, v17
	v_add_u32_e32 v10, s11, v10
	s_or_b64 s[6:7], vcc, s[6:7]
	s_waitcnt lgkmcnt(0)
	v_add_f32_e32 v8, v8, v11
	s_andn2_b64 exec, exec, s[6:7]
	s_cbranch_execnz .LBB56_169
; %bb.170:
	s_or_b64 exec, exec, s[6:7]
.LBB56_171:
	s_or_b64 exec, exec, s[4:5]
	v_and_b32_e32 v10, 7, v5
	v_cmp_ne_u32_e32 vcc, 0, v10
	s_and_saveexec_b64 s[4:5], vcc
	s_cbranch_execz .LBB56_175
; %bb.172:
	v_mul_lo_u32 v9, v9, s10
	v_add3_u32 v6, v6, v7, v9
	v_subrev_u32_e32 v6, s33, v6
	v_lshlrev_b32_e32 v6, 2, v6
	s_lshl_b32 s11, s10, 2
	s_mov_b64 s[6:7], 0
.LBB56_173:                             ; =>This Inner Loop Header: Depth=1
	ds_read_b32 v9, v6
	v_add_u32_e32 v10, -1, v10
	v_cmp_eq_u32_e32 vcc, 0, v10
	v_add_u32_e32 v6, s11, v6
	s_or_b64 s[6:7], vcc, s[6:7]
	s_waitcnt lgkmcnt(0)
	v_add_f32_e32 v8, v8, v9
	s_andn2_b64 exec, exec, s[6:7]
	s_cbranch_execnz .LBB56_173
; %bb.174:
	s_or_b64 exec, exec, s[6:7]
.LBB56_175:
	s_or_b64 exec, exec, s[4:5]
.LBB56_176:
	s_or_b64 exec, exec, s[2:3]
	v_mad_u64_u32 v[4:5], s[2:3], v5, s10, v[4:5]
	v_sub_u32_e32 v3, v3, v4
	v_cmp_lt_i32_e32 vcc, v7, v3
	s_and_saveexec_b64 s[2:3], vcc
	s_cbranch_execz .LBB56_178
; %bb.177:
	v_add_lshl_u32 v3, v4, v7, 2
	ds_read_b32 v3, v3
	s_waitcnt lgkmcnt(0)
	v_add_f32_e32 v8, v8, v3
.LBB56_178:
	s_or_b64 exec, exec, s[2:3]
.LBB56_179:
	s_or_b64 exec, exec, s[0:1]
	v_cmp_gt_i32_e32 vcc, s27, v0
	s_barrier
	ds_write_b32 v1, v8
	s_waitcnt lgkmcnt(0)
	s_barrier
	s_and_saveexec_b64 s[0:1], vcc
	s_cbranch_execz .LBB56_189
; %bb.180:
	s_cmp_lt_u32 s10, 8
	v_mul_lo_u32 v1, s10, v0
	s_cbranch_scc1 .LBB56_183
; %bb.181:
	s_and_b32 s0, s10, 0x7ffffff8
	v_lshlrev_b32_e32 v3, 2, v1
	s_mov_b32 s1, 0
	v_mov_b32_e32 v4, 0
.LBB56_182:                             ; =>This Inner Loop Header: Depth=1
	s_waitcnt vmcnt(0)
	ds_read2_b32 v[6:7], v3 offset1:1
	ds_read2_b32 v[8:9], v3 offset0:2 offset1:3
	ds_read2_b32 v[10:11], v3 offset0:4 offset1:5
	;; [unrolled: 1-line block ×3, first 2 shown]
	s_add_i32 s1, s1, 8
	s_waitcnt lgkmcnt(3)
	v_add_f32_e32 v4, v4, v6
	v_add_f32_e32 v4, v4, v7
	s_waitcnt lgkmcnt(2)
	v_add_f32_e32 v4, v4, v8
	v_add_f32_e32 v4, v4, v9
	;; [unrolled: 3-line block ×3, first 2 shown]
	s_waitcnt lgkmcnt(0)
	v_add_f32_e32 v4, v4, v12
	v_add_u32_e32 v3, 32, v3
	s_cmp_eq_u32 s0, s1
	v_add_f32_e32 v4, v4, v13
	s_cbranch_scc0 .LBB56_182
	s_branch .LBB56_184
.LBB56_183:
	s_mov_b32 s0, 0
	v_mov_b32_e32 v4, 0
.LBB56_184:
	s_bfe_u32 s1, s9, 0x30001
	s_cmp_eq_u32 s1, 0
	s_cbranch_scc1 .LBB56_187
; %bb.185:
	v_add_lshl_u32 v1, s0, v1, 2
.LBB56_186:                             ; =>This Inner Loop Header: Depth=1
	ds_read_b32 v3, v1
	s_add_i32 s1, s1, -1
	v_add_u32_e32 v1, 4, v1
	s_cmp_lg_u32 s1, 0
	s_waitcnt lgkmcnt(0)
	v_add_f32_e32 v4, v4, v3
	s_cbranch_scc1 .LBB56_186
.LBB56_187:
	v_ashrrev_i32_e32 v3, 31, v2
	v_lshlrev_b64 v[2:3], 2, v[2:3]
	v_mov_b32_e32 v1, s15
	v_add_co_u32_e32 v2, vcc, s14, v2
	v_addc_co_u32_e32 v3, vcc, v1, v3, vcc
	global_load_dword v1, v[2:3], off
	s_lshl_b32 s0, s8, 2
	s_addk_i32 s0, 0x1000
	v_lshl_add_u32 v0, v0, 2, s0
	ds_read_b32 v0, v0
	s_mov_b64 s[0:1], 0
	s_waitcnt lgkmcnt(0)
	v_add_f32_e32 v4, v4, v0
.LBB56_188:                             ; =>This Inner Loop Header: Depth=1
	s_waitcnt vmcnt(0)
	v_add_f32_e32 v0, v1, v4
	global_atomic_cmpswap v0, v[2:3], v[0:1], off glc
	s_waitcnt vmcnt(0)
	v_cmp_eq_u32_e32 vcc, v0, v1
	s_or_b64 s[0:1], vcc, s[0:1]
	v_mov_b32_e32 v1, v0
	s_andn2_b64 exec, exec, s[0:1]
	s_cbranch_execnz .LBB56_188
.LBB56_189:
	s_endpgm
	.section	.rodata,"a",@progbits
	.p2align	6, 0x0
	.amdhsa_kernel _ZN9rocsparseL27csrmvn_symm_adaptive_kernelIiiaaffEEvbT_S1_PKS1_NS_24const_host_device_scalarIT4_EES3_PKT0_PKT1_PKT2_S6_PT3_21rocsparse_index_base_b
		.amdhsa_group_segment_fixed_size 4096
		.amdhsa_private_segment_fixed_size 0
		.amdhsa_kernarg_size 344
		.amdhsa_user_sgpr_count 6
		.amdhsa_user_sgpr_private_segment_buffer 1
		.amdhsa_user_sgpr_dispatch_ptr 0
		.amdhsa_user_sgpr_queue_ptr 0
		.amdhsa_user_sgpr_kernarg_segment_ptr 1
		.amdhsa_user_sgpr_dispatch_id 0
		.amdhsa_user_sgpr_flat_scratch_init 0
		.amdhsa_user_sgpr_kernarg_preload_length 0
		.amdhsa_user_sgpr_kernarg_preload_offset 0
		.amdhsa_user_sgpr_private_segment_size 0
		.amdhsa_uses_dynamic_stack 0
		.amdhsa_system_sgpr_private_segment_wavefront_offset 0
		.amdhsa_system_sgpr_workgroup_id_x 1
		.amdhsa_system_sgpr_workgroup_id_y 0
		.amdhsa_system_sgpr_workgroup_id_z 0
		.amdhsa_system_sgpr_workgroup_info 0
		.amdhsa_system_vgpr_workitem_id 0
		.amdhsa_next_free_vgpr 29
		.amdhsa_next_free_sgpr 59
		.amdhsa_accum_offset 32
		.amdhsa_reserve_vcc 1
		.amdhsa_reserve_flat_scratch 0
		.amdhsa_float_round_mode_32 0
		.amdhsa_float_round_mode_16_64 0
		.amdhsa_float_denorm_mode_32 3
		.amdhsa_float_denorm_mode_16_64 3
		.amdhsa_dx10_clamp 1
		.amdhsa_ieee_mode 1
		.amdhsa_fp16_overflow 0
		.amdhsa_tg_split 0
		.amdhsa_exception_fp_ieee_invalid_op 0
		.amdhsa_exception_fp_denorm_src 0
		.amdhsa_exception_fp_ieee_div_zero 0
		.amdhsa_exception_fp_ieee_overflow 0
		.amdhsa_exception_fp_ieee_underflow 0
		.amdhsa_exception_fp_ieee_inexact 0
		.amdhsa_exception_int_div_zero 0
	.end_amdhsa_kernel
	.section	.text._ZN9rocsparseL27csrmvn_symm_adaptive_kernelIiiaaffEEvbT_S1_PKS1_NS_24const_host_device_scalarIT4_EES3_PKT0_PKT1_PKT2_S6_PT3_21rocsparse_index_base_b,"axG",@progbits,_ZN9rocsparseL27csrmvn_symm_adaptive_kernelIiiaaffEEvbT_S1_PKS1_NS_24const_host_device_scalarIT4_EES3_PKT0_PKT1_PKT2_S6_PT3_21rocsparse_index_base_b,comdat
.Lfunc_end56:
	.size	_ZN9rocsparseL27csrmvn_symm_adaptive_kernelIiiaaffEEvbT_S1_PKS1_NS_24const_host_device_scalarIT4_EES3_PKT0_PKT1_PKT2_S6_PT3_21rocsparse_index_base_b, .Lfunc_end56-_ZN9rocsparseL27csrmvn_symm_adaptive_kernelIiiaaffEEvbT_S1_PKS1_NS_24const_host_device_scalarIT4_EES3_PKT0_PKT1_PKT2_S6_PT3_21rocsparse_index_base_b
                                        ; -- End function
	.section	.AMDGPU.csdata,"",@progbits
; Kernel info:
; codeLenInByte = 7612
; NumSgprs: 63
; NumVgprs: 29
; NumAgprs: 0
; TotalNumVgprs: 29
; ScratchSize: 0
; MemoryBound: 0
; FloatMode: 240
; IeeeMode: 1
; LDSByteSize: 4096 bytes/workgroup (compile time only)
; SGPRBlocks: 7
; VGPRBlocks: 3
; NumSGPRsForWavesPerEU: 63
; NumVGPRsForWavesPerEU: 29
; AccumOffset: 32
; Occupancy: 8
; WaveLimiterHint : 1
; COMPUTE_PGM_RSRC2:SCRATCH_EN: 0
; COMPUTE_PGM_RSRC2:USER_SGPR: 6
; COMPUTE_PGM_RSRC2:TRAP_HANDLER: 0
; COMPUTE_PGM_RSRC2:TGID_X_EN: 1
; COMPUTE_PGM_RSRC2:TGID_Y_EN: 0
; COMPUTE_PGM_RSRC2:TGID_Z_EN: 0
; COMPUTE_PGM_RSRC2:TIDIG_COMP_CNT: 0
; COMPUTE_PGM_RSRC3_GFX90A:ACCUM_OFFSET: 7
; COMPUTE_PGM_RSRC3_GFX90A:TG_SPLIT: 0
	.section	.text._ZL33csrmvn_symm_large_adaptive_kernelIiiaaffEvbT_PKS0_N9rocsparse24const_host_device_scalarIT4_EES2_PKT0_PKT1_PKT2_S6_PT3_21rocsparse_index_base_b,"axG",@progbits,_ZL33csrmvn_symm_large_adaptive_kernelIiiaaffEvbT_PKS0_N9rocsparse24const_host_device_scalarIT4_EES2_PKT0_PKT1_PKT2_S6_PT3_21rocsparse_index_base_b,comdat
	.globl	_ZL33csrmvn_symm_large_adaptive_kernelIiiaaffEvbT_PKS0_N9rocsparse24const_host_device_scalarIT4_EES2_PKT0_PKT1_PKT2_S6_PT3_21rocsparse_index_base_b ; -- Begin function _ZL33csrmvn_symm_large_adaptive_kernelIiiaaffEvbT_PKS0_N9rocsparse24const_host_device_scalarIT4_EES2_PKT0_PKT1_PKT2_S6_PT3_21rocsparse_index_base_b
	.p2align	8
	.type	_ZL33csrmvn_symm_large_adaptive_kernelIiiaaffEvbT_PKS0_N9rocsparse24const_host_device_scalarIT4_EES2_PKT0_PKT1_PKT2_S6_PT3_21rocsparse_index_base_b,@function
_ZL33csrmvn_symm_large_adaptive_kernelIiiaaffEvbT_PKS0_N9rocsparse24const_host_device_scalarIT4_EES2_PKT0_PKT1_PKT2_S6_PT3_21rocsparse_index_base_b: ; @_ZL33csrmvn_symm_large_adaptive_kernelIiiaaffEvbT_PKS0_N9rocsparse24const_host_device_scalarIT4_EES2_PKT0_PKT1_PKT2_S6_PT3_21rocsparse_index_base_b
; %bb.0:
	s_load_dwordx2 s[20:21], s[4:5], 0x48
	s_load_dwordx2 s[22:23], s[4:5], 0x10
	;; [unrolled: 1-line block ×3, first 2 shown]
	s_waitcnt lgkmcnt(0)
	s_bitcmp1_b32 s21, 0
	s_cselect_b64 s[8:9], -1, 0
	s_xor_b64 s[2:3], s[8:9], -1
	s_and_b64 vcc, exec, s[8:9]
	s_cbranch_vccnz .LBB57_2
; %bb.1:
	s_load_dword s22, s[22:23], 0x0
.LBB57_2:
	s_andn2_b64 vcc, exec, s[2:3]
	s_cbranch_vccnz .LBB57_4
; %bb.3:
	s_load_dword s0, s[0:1], 0x0
.LBB57_4:
	s_waitcnt lgkmcnt(0)
	v_cmp_neq_f32_e64 s[2:3], s22, 0
	v_cmp_neq_f32_e64 s[0:1], s0, 1.0
	s_or_b64 s[0:1], s[2:3], s[0:1]
	s_andn2_b64 vcc, exec, s[0:1]
	s_cbranch_vccnz .LBB57_38
; %bb.5:
	s_load_dwordx2 s[0:1], s[4:5], 0x8
	s_ashr_i32 s7, s6, 31
	s_lshl_b64 s[2:3], s[6:7], 2
	v_lshlrev_b32_e32 v6, 2, v0
	v_mov_b32_e32 v1, 0
	s_waitcnt lgkmcnt(0)
	s_add_u32 s0, s0, s2
	s_addc_u32 s1, s1, s3
	ds_write2st64_b32 v6, v1, v1 offset1:4
	ds_write2st64_b32 v6, v1, v1 offset0:8 offset1:12
	s_waitcnt lgkmcnt(0)
	s_barrier
	s_load_dwordx2 s[24:25], s[0:1], 0x0
	s_load_dwordx8 s[12:19], s[4:5], 0x18
	s_load_dwordx2 s[26:27], s[4:5], 0x40
	s_waitcnt lgkmcnt(0)
	s_cmp_lt_i32 s24, s25
	s_cbranch_scc1 .LBB57_7
; %bb.6:
	s_ashr_i32 s1, s24, 31
	s_mov_b32 s0, s24
	s_lshl_b64 s[0:1], s[0:1], 2
	s_add_u32 s0, s12, s0
	s_addc_u32 s1, s13, s1
	s_load_dword s21, s[0:1], 0x0
	v_subrev_u32_e32 v7, s20, v0
	s_cbranch_execz .LBB57_8
	s_branch .LBB57_28
.LBB57_7:
                                        ; implicit-def: $sgpr21
	v_subrev_u32_e32 v7, s20, v0
.LBB57_8:
	s_ashr_i32 s11, s24, 31
	s_mov_b32 s10, s24
	s_lshl_b64 s[10:11], s[10:11], 2
	s_add_u32 s10, s12, s10
	s_addc_u32 s11, s13, s11
	s_waitcnt lgkmcnt(0)
	s_load_dword s21, s[10:11], 0x0
	s_movk_i32 s0, 0x100
	s_add_u32 s23, s12, 4
	v_cmp_gt_u32_e64 s[0:1], s0, v0
	v_cmp_gt_u32_e64 s[2:3], 64, v0
	;; [unrolled: 1-line block ×4, first 2 shown]
	v_cmp_eq_u32_e64 s[8:9], 0, v0
	s_addc_u32 s33, s13, 0
	v_mov_b32_e32 v8, s19
	v_mov_b32_e32 v9, 0
	s_waitcnt lgkmcnt(0)
	s_mov_b32 s29, s21
	s_mov_b32 s28, s24
	s_branch .LBB57_10
.LBB57_9:                               ;   in Loop: Header=BB57_10 Depth=1
	s_or_b64 exec, exec, s[10:11]
	s_add_i32 s28, s28, 1
	s_cmp_ge_i32 s28, s25
	s_cbranch_scc1 .LBB57_28
.LBB57_10:                              ; =>This Loop Header: Depth=1
                                        ;     Child Loop BB57_12 Depth 2
                                        ;     Child Loop BB57_27 Depth 2
	s_mov_b32 s34, s29
	s_ashr_i32 s29, s28, 31
	s_lshl_b64 s[30:31], s[28:29], 2
	s_add_u32 s10, s23, s30
	s_addc_u32 s11, s33, s31
	s_load_dword s29, s[10:11], 0x0
	v_add_u32_e32 v0, s34, v7
	v_mov_b32_e32 v1, 0
	s_waitcnt lgkmcnt(0)
	s_sub_i32 s38, s29, s20
	v_cmp_gt_i32_e32 vcc, s38, v0
	s_and_saveexec_b64 s[34:35], vcc
	s_cbranch_execz .LBB57_14
; %bb.11:                               ;   in Loop: Header=BB57_10 Depth=1
	v_ashrrev_i32_e32 v1, 31, v0
	v_lshlrev_b64 v[2:3], 2, v[0:1]
	v_mov_b32_e32 v4, s15
	v_add_co_u32_e32 v2, vcc, s14, v2
	v_addc_co_u32_e32 v3, vcc, v4, v3, vcc
	v_mov_b32_e32 v5, s17
	v_add_co_u32_e32 v4, vcc, s16, v0
	v_addc_co_u32_e32 v5, vcc, v5, v1, vcc
	s_mov_b64 s[36:37], 0
	v_mov_b32_e32 v1, 0
.LBB57_12:                              ;   Parent Loop BB57_10 Depth=1
                                        ; =>  This Inner Loop Header: Depth=2
	global_load_dword v10, v[2:3], off
	global_load_sbyte v12, v[4:5], off
	v_add_u32_e32 v0, 0x100, v0
	v_cmp_le_i32_e64 s[10:11], s38, v0
	s_or_b64 s[36:37], s[10:11], s[36:37]
	s_waitcnt vmcnt(1)
	v_subrev_u32_e32 v10, s20, v10
	v_ashrrev_i32_e32 v11, 31, v10
	v_add_co_u32_e32 v10, vcc, s18, v10
	v_addc_co_u32_e32 v11, vcc, v8, v11, vcc
	global_load_sbyte v10, v[10:11], off
	s_waitcnt vmcnt(1)
	v_cvt_f32_i32_e32 v11, v12
	v_add_co_u32_e32 v2, vcc, 0x400, v2
	v_addc_co_u32_e32 v3, vcc, 0, v3, vcc
	v_add_co_u32_e32 v4, vcc, 0x100, v4
	v_addc_co_u32_e32 v5, vcc, 0, v5, vcc
	s_waitcnt vmcnt(0)
	v_cvt_f32_i32_e32 v10, v10
	v_fmac_f32_e32 v1, v11, v10
	s_andn2_b64 exec, exec, s[36:37]
	s_cbranch_execnz .LBB57_12
; %bb.13:                               ;   in Loop: Header=BB57_10 Depth=1
	s_or_b64 exec, exec, s[36:37]
.LBB57_14:                              ;   in Loop: Header=BB57_10 Depth=1
	s_or_b64 exec, exec, s[34:35]
	ds_write_b32 v6, v1
	s_waitcnt lgkmcnt(0)
	s_barrier
	s_and_saveexec_b64 s[10:11], s[0:1]
	s_cbranch_execz .LBB57_16
; %bb.15:                               ;   in Loop: Header=BB57_10 Depth=1
	ds_read2st64_b32 v[0:1], v6 offset1:4
	ds_read2st64_b32 v[2:3], v6 offset0:8 offset1:12
	s_waitcnt lgkmcnt(0)
	v_add_f32_e32 v1, v1, v2
	v_add_f32_e32 v1, v1, v3
	;; [unrolled: 1-line block ×3, first 2 shown]
	ds_write_b32 v6, v0
.LBB57_16:                              ;   in Loop: Header=BB57_10 Depth=1
	s_or_b64 exec, exec, s[10:11]
	s_waitcnt lgkmcnt(0)
	s_barrier
	s_and_saveexec_b64 s[10:11], s[2:3]
	s_cbranch_execz .LBB57_18
; %bb.17:                               ;   in Loop: Header=BB57_10 Depth=1
	ds_read2st64_b32 v[0:1], v6 offset1:1
	ds_read2st64_b32 v[2:3], v6 offset0:2 offset1:3
	s_waitcnt lgkmcnt(0)
	v_add_f32_e32 v1, v1, v2
	v_add_f32_e32 v1, v1, v3
	;; [unrolled: 1-line block ×3, first 2 shown]
	ds_write_b32 v6, v0
.LBB57_18:                              ;   in Loop: Header=BB57_10 Depth=1
	s_or_b64 exec, exec, s[10:11]
	s_waitcnt lgkmcnt(0)
	s_barrier
	s_and_saveexec_b64 s[10:11], s[4:5]
	s_cbranch_execz .LBB57_20
; %bb.19:                               ;   in Loop: Header=BB57_10 Depth=1
	ds_read2_b32 v[0:1], v6 offset1:16
	ds_read2_b32 v[2:3], v6 offset0:32 offset1:48
	s_waitcnt lgkmcnt(0)
	v_add_f32_e32 v1, v1, v2
	v_add_f32_e32 v1, v1, v3
	v_add_f32_e32 v0, v0, v1
	ds_write_b32 v6, v0
.LBB57_20:                              ;   in Loop: Header=BB57_10 Depth=1
	s_or_b64 exec, exec, s[10:11]
	s_waitcnt lgkmcnt(0)
	s_barrier
	s_and_saveexec_b64 s[10:11], s[6:7]
	s_cbranch_execz .LBB57_22
; %bb.21:                               ;   in Loop: Header=BB57_10 Depth=1
	ds_read2_b32 v[0:1], v6 offset1:4
	ds_read2_b32 v[2:3], v6 offset0:8 offset1:12
	s_waitcnt lgkmcnt(0)
	v_add_f32_e32 v1, v1, v2
	v_add_f32_e32 v1, v1, v3
	;; [unrolled: 1-line block ×3, first 2 shown]
	ds_write_b32 v6, v0
.LBB57_22:                              ;   in Loop: Header=BB57_10 Depth=1
	s_or_b64 exec, exec, s[10:11]
	s_waitcnt lgkmcnt(0)
	s_barrier
	s_and_saveexec_b64 s[10:11], s[8:9]
	s_cbranch_execz .LBB57_24
; %bb.23:                               ;   in Loop: Header=BB57_10 Depth=1
	ds_read2_b32 v[0:1], v9 offset0:1 offset1:2
	ds_read_b32 v2, v9 offset:12
	ds_read_b32 v3, v6
	s_waitcnt lgkmcnt(2)
	v_add_f32_e32 v0, v0, v1
	s_waitcnt lgkmcnt(1)
	v_add_f32_e32 v0, v0, v2
	;; [unrolled: 2-line block ×3, first 2 shown]
	ds_write_b32 v6, v0
.LBB57_24:                              ;   in Loop: Header=BB57_10 Depth=1
	s_or_b64 exec, exec, s[10:11]
	s_waitcnt lgkmcnt(0)
	s_barrier
	s_and_saveexec_b64 s[10:11], s[8:9]
	s_cbranch_execz .LBB57_9
; %bb.25:                               ;   in Loop: Header=BB57_10 Depth=1
	s_mov_b64 s[34:35], exec
	v_mbcnt_lo_u32_b32 v0, s34, 0
	v_mbcnt_hi_u32_b32 v0, s35, v0
	v_cmp_eq_u32_e32 vcc, 0, v0
	s_and_b64 s[36:37], exec, vcc
	s_mov_b64 exec, s[36:37]
	s_cbranch_execz .LBB57_9
; %bb.26:                               ;   in Loop: Header=BB57_10 Depth=1
	s_add_u32 s30, s26, s30
	s_addc_u32 s31, s27, s31
	global_load_dword v1, v9, s[30:31]
	ds_read_b32 v0, v9
	s_bcnt1_i32_b64 s34, s[34:35]
	v_cvt_f32_ubyte0_e32 v2, s34
	s_mov_b64 s[34:35], 0
	s_waitcnt lgkmcnt(0)
	v_mul_f32_e32 v0, s22, v0
	v_mul_f32_e32 v2, v0, v2
.LBB57_27:                              ;   Parent Loop BB57_10 Depth=1
                                        ; =>  This Inner Loop Header: Depth=2
	s_waitcnt vmcnt(0)
	v_add_f32_e32 v0, v1, v2
	global_atomic_cmpswap v0, v9, v[0:1], s[30:31] glc
	s_waitcnt vmcnt(0)
	v_cmp_eq_u32_e32 vcc, v0, v1
	s_or_b64 s[34:35], vcc, s[34:35]
	v_mov_b32_e32 v1, v0
	s_andn2_b64 exec, exec, s[34:35]
	s_cbranch_execnz .LBB57_27
	s_branch .LBB57_9
.LBB57_28:
	s_ashr_i32 s1, s25, 31
	s_mov_b32 s0, s25
	s_lshl_b64 s[0:1], s[0:1], 2
	s_add_u32 s0, s12, s0
	s_addc_u32 s1, s13, s1
	s_load_dword s0, s[0:1], 0x0
	s_waitcnt lgkmcnt(0)
	v_add_u32_e32 v0, s21, v7
	s_sub_i32 s8, s0, s20
	v_cmp_gt_i32_e32 vcc, s8, v0
	s_and_saveexec_b64 s[0:1], vcc
	s_cbranch_execz .LBB57_38
; %bb.29:
	s_add_i32 s9, s25, -1
	s_cmp_gt_i32 s9, s24
	s_cselect_b64 s[0:1], -1, 0
	s_add_i32 s2, s25, -2
	s_cmp_lg_u32 s2, s24
	s_cselect_b64 s[2:3], -1, 0
	s_and_b64 s[0:1], s[0:1], s[2:3]
	v_cndmask_b32_e64 v1, 0, 1, s[0:1]
	s_mov_b64 s[4:5], 0
	v_cmp_ne_u32_e64 s[0:1], 1, v1
	v_mov_b32_e32 v6, s13
	v_mov_b32_e32 v7, s15
	s_branch .LBB57_31
.LBB57_30:                              ;   in Loop: Header=BB57_31 Depth=1
	s_or_b64 exec, exec, s[2:3]
	v_add_u32_e32 v0, 0x100, v0
	v_cmp_le_i32_e32 vcc, s8, v0
	s_or_b64 s[4:5], vcc, s[4:5]
	s_andn2_b64 exec, exec, s[4:5]
	s_cbranch_execz .LBB57_38
.LBB57_31:                              ; =>This Loop Header: Depth=1
                                        ;     Child Loop BB57_33 Depth 2
                                        ;     Child Loop BB57_37 Depth 2
	s_and_b64 vcc, exec, s[0:1]
	v_mov_b32_e32 v4, s24
	v_mov_b32_e32 v2, s9
	s_cbranch_vccnz .LBB57_35
; %bb.32:                               ;   in Loop: Header=BB57_31 Depth=1
	s_mov_b64 s[6:7], 0
	v_mov_b32_e32 v4, s24
	v_mov_b32_e32 v2, s9
.LBB57_33:                              ;   Parent Loop BB57_31 Depth=1
                                        ; =>  This Inner Loop Header: Depth=2
	v_add_u32_e32 v1, v2, v4
	v_lshrrev_b32_e32 v5, 31, v1
	v_add_u32_e32 v1, v1, v5
	v_ashrrev_i32_e32 v8, 1, v1
	v_ashrrev_i32_e32 v9, 31, v8
	v_lshlrev_b64 v[10:11], 2, v[8:9]
	v_mov_b32_e32 v3, s13
	v_add_co_u32_e32 v10, vcc, s12, v10
	v_addc_co_u32_e32 v11, vcc, v3, v11, vcc
	global_load_dword v1, v[10:11], off
	s_waitcnt vmcnt(0)
	v_subrev_u32_e32 v1, s20, v1
	v_cmp_gt_i32_e32 vcc, v1, v0
	v_cndmask_b32_e32 v2, v2, v8, vcc
	v_cndmask_b32_e32 v4, v8, v4, vcc
	v_add_u32_e32 v1, -1, v2
	v_cmp_ge_i32_e32 vcc, v4, v2
	v_cmp_eq_u32_e64 s[2:3], v4, v1
	s_or_b64 s[2:3], vcc, s[2:3]
	s_and_b64 s[2:3], exec, s[2:3]
	s_or_b64 s[6:7], s[2:3], s[6:7]
	s_andn2_b64 exec, exec, s[6:7]
	s_cbranch_execnz .LBB57_33
; %bb.34:                               ;   in Loop: Header=BB57_31 Depth=1
	s_or_b64 exec, exec, s[6:7]
.LBB57_35:                              ;   in Loop: Header=BB57_31 Depth=1
	v_ashrrev_i32_e32 v3, 31, v2
	v_lshlrev_b64 v[8:9], 2, v[2:3]
	v_add_co_u32_e32 v8, vcc, s12, v8
	v_addc_co_u32_e32 v9, vcc, v6, v9, vcc
	v_ashrrev_i32_e32 v1, 31, v0
	global_load_dword v3, v[8:9], off
	v_lshlrev_b64 v[8:9], 2, v[0:1]
	v_add_co_u32_e32 v8, vcc, s14, v8
	v_addc_co_u32_e32 v9, vcc, v7, v9, vcc
	global_load_dword v5, v[8:9], off
	s_waitcnt vmcnt(1)
	v_subrev_u32_e32 v3, s20, v3
	v_cmp_gt_i32_e32 vcc, v3, v0
	v_cndmask_b32_e32 v4, v2, v4, vcc
	s_waitcnt vmcnt(0)
	v_subrev_u32_e32 v2, s20, v5
	v_cmp_ne_u32_e32 vcc, v2, v4
	s_and_saveexec_b64 s[2:3], vcc
	s_cbranch_execz .LBB57_30
; %bb.36:                               ;   in Loop: Header=BB57_31 Depth=1
	v_mov_b32_e32 v5, s17
	v_add_co_u32_e32 v8, vcc, s16, v0
	v_addc_co_u32_e32 v9, vcc, v5, v1, vcc
	global_load_sbyte v1, v[8:9], off
	v_ashrrev_i32_e32 v5, 31, v4
	v_mov_b32_e32 v8, s19
	v_add_co_u32_e32 v4, vcc, s18, v4
	v_addc_co_u32_e32 v5, vcc, v8, v5, vcc
	global_load_sbyte v4, v[4:5], off
	v_ashrrev_i32_e32 v3, 31, v2
	v_lshlrev_b64 v[2:3], 2, v[2:3]
	v_mov_b32_e32 v5, s27
	v_add_co_u32_e32 v2, vcc, s26, v2
	v_addc_co_u32_e32 v3, vcc, v5, v3, vcc
	global_load_dword v5, v[2:3], off
	s_mov_b64 s[6:7], 0
	s_waitcnt vmcnt(2)
	v_cvt_f32_i32_e32 v1, v1
	v_mul_f32_e32 v1, s22, v1
	s_waitcnt vmcnt(1)
	v_cvt_f32_i32_e32 v4, v4
	v_mul_f32_e32 v1, v1, v4
.LBB57_37:                              ;   Parent Loop BB57_31 Depth=1
                                        ; =>  This Inner Loop Header: Depth=2
	s_waitcnt vmcnt(0)
	v_add_f32_e32 v4, v5, v1
	global_atomic_cmpswap v4, v[2:3], v[4:5], off glc
	s_waitcnt vmcnt(0)
	v_cmp_eq_u32_e32 vcc, v4, v5
	s_or_b64 s[6:7], vcc, s[6:7]
	v_mov_b32_e32 v5, v4
	s_andn2_b64 exec, exec, s[6:7]
	s_cbranch_execnz .LBB57_37
	s_branch .LBB57_30
.LBB57_38:
	s_endpgm
	.section	.rodata,"a",@progbits
	.p2align	6, 0x0
	.amdhsa_kernel _ZL33csrmvn_symm_large_adaptive_kernelIiiaaffEvbT_PKS0_N9rocsparse24const_host_device_scalarIT4_EES2_PKT0_PKT1_PKT2_S6_PT3_21rocsparse_index_base_b
		.amdhsa_group_segment_fixed_size 4096
		.amdhsa_private_segment_fixed_size 0
		.amdhsa_kernarg_size 80
		.amdhsa_user_sgpr_count 6
		.amdhsa_user_sgpr_private_segment_buffer 1
		.amdhsa_user_sgpr_dispatch_ptr 0
		.amdhsa_user_sgpr_queue_ptr 0
		.amdhsa_user_sgpr_kernarg_segment_ptr 1
		.amdhsa_user_sgpr_dispatch_id 0
		.amdhsa_user_sgpr_flat_scratch_init 0
		.amdhsa_user_sgpr_kernarg_preload_length 0
		.amdhsa_user_sgpr_kernarg_preload_offset 0
		.amdhsa_user_sgpr_private_segment_size 0
		.amdhsa_uses_dynamic_stack 0
		.amdhsa_system_sgpr_private_segment_wavefront_offset 0
		.amdhsa_system_sgpr_workgroup_id_x 1
		.amdhsa_system_sgpr_workgroup_id_y 0
		.amdhsa_system_sgpr_workgroup_id_z 0
		.amdhsa_system_sgpr_workgroup_info 0
		.amdhsa_system_vgpr_workitem_id 0
		.amdhsa_next_free_vgpr 13
		.amdhsa_next_free_sgpr 39
		.amdhsa_accum_offset 16
		.amdhsa_reserve_vcc 1
		.amdhsa_reserve_flat_scratch 0
		.amdhsa_float_round_mode_32 0
		.amdhsa_float_round_mode_16_64 0
		.amdhsa_float_denorm_mode_32 3
		.amdhsa_float_denorm_mode_16_64 3
		.amdhsa_dx10_clamp 1
		.amdhsa_ieee_mode 1
		.amdhsa_fp16_overflow 0
		.amdhsa_tg_split 0
		.amdhsa_exception_fp_ieee_invalid_op 0
		.amdhsa_exception_fp_denorm_src 0
		.amdhsa_exception_fp_ieee_div_zero 0
		.amdhsa_exception_fp_ieee_overflow 0
		.amdhsa_exception_fp_ieee_underflow 0
		.amdhsa_exception_fp_ieee_inexact 0
		.amdhsa_exception_int_div_zero 0
	.end_amdhsa_kernel
	.section	.text._ZL33csrmvn_symm_large_adaptive_kernelIiiaaffEvbT_PKS0_N9rocsparse24const_host_device_scalarIT4_EES2_PKT0_PKT1_PKT2_S6_PT3_21rocsparse_index_base_b,"axG",@progbits,_ZL33csrmvn_symm_large_adaptive_kernelIiiaaffEvbT_PKS0_N9rocsparse24const_host_device_scalarIT4_EES2_PKT0_PKT1_PKT2_S6_PT3_21rocsparse_index_base_b,comdat
.Lfunc_end57:
	.size	_ZL33csrmvn_symm_large_adaptive_kernelIiiaaffEvbT_PKS0_N9rocsparse24const_host_device_scalarIT4_EES2_PKT0_PKT1_PKT2_S6_PT3_21rocsparse_index_base_b, .Lfunc_end57-_ZL33csrmvn_symm_large_adaptive_kernelIiiaaffEvbT_PKS0_N9rocsparse24const_host_device_scalarIT4_EES2_PKT0_PKT1_PKT2_S6_PT3_21rocsparse_index_base_b
                                        ; -- End function
	.section	.AMDGPU.csdata,"",@progbits
; Kernel info:
; codeLenInByte = 1580
; NumSgprs: 43
; NumVgprs: 13
; NumAgprs: 0
; TotalNumVgprs: 13
; ScratchSize: 0
; MemoryBound: 0
; FloatMode: 240
; IeeeMode: 1
; LDSByteSize: 4096 bytes/workgroup (compile time only)
; SGPRBlocks: 5
; VGPRBlocks: 1
; NumSGPRsForWavesPerEU: 43
; NumVGPRsForWavesPerEU: 13
; AccumOffset: 16
; Occupancy: 8
; WaveLimiterHint : 1
; COMPUTE_PGM_RSRC2:SCRATCH_EN: 0
; COMPUTE_PGM_RSRC2:USER_SGPR: 6
; COMPUTE_PGM_RSRC2:TRAP_HANDLER: 0
; COMPUTE_PGM_RSRC2:TGID_X_EN: 1
; COMPUTE_PGM_RSRC2:TGID_Y_EN: 0
; COMPUTE_PGM_RSRC2:TGID_Z_EN: 0
; COMPUTE_PGM_RSRC2:TIDIG_COMP_CNT: 0
; COMPUTE_PGM_RSRC3_GFX90A:ACCUM_OFFSET: 3
; COMPUTE_PGM_RSRC3_GFX90A:TG_SPLIT: 0
	.section	.text._ZN9rocsparseL22csrmvn_adaptive_kernelIliaaffEEvbT_PKS1_PjPKT0_NS_24const_host_device_scalarIT4_EES3_S7_PKT1_PKT2_SA_PT3_21rocsparse_index_base_b,"axG",@progbits,_ZN9rocsparseL22csrmvn_adaptive_kernelIliaaffEEvbT_PKS1_PjPKT0_NS_24const_host_device_scalarIT4_EES3_S7_PKT1_PKT2_SA_PT3_21rocsparse_index_base_b,comdat
	.globl	_ZN9rocsparseL22csrmvn_adaptive_kernelIliaaffEEvbT_PKS1_PjPKT0_NS_24const_host_device_scalarIT4_EES3_S7_PKT1_PKT2_SA_PT3_21rocsparse_index_base_b ; -- Begin function _ZN9rocsparseL22csrmvn_adaptive_kernelIliaaffEEvbT_PKS1_PjPKT0_NS_24const_host_device_scalarIT4_EES3_S7_PKT1_PKT2_SA_PT3_21rocsparse_index_base_b
	.p2align	8
	.type	_ZN9rocsparseL22csrmvn_adaptive_kernelIliaaffEEvbT_PKS1_PjPKT0_NS_24const_host_device_scalarIT4_EES3_S7_PKT1_PKT2_SA_PT3_21rocsparse_index_base_b,@function
_ZN9rocsparseL22csrmvn_adaptive_kernelIliaaffEEvbT_PKS1_PjPKT0_NS_24const_host_device_scalarIT4_EES3_S7_PKT1_PKT2_SA_PT3_21rocsparse_index_base_b: ; @_ZN9rocsparseL22csrmvn_adaptive_kernelIliaaffEEvbT_PKS1_PjPKT0_NS_24const_host_device_scalarIT4_EES3_S7_PKT1_PKT2_SA_PT3_21rocsparse_index_base_b
; %bb.0:
	s_load_dwordx2 s[46:47], s[4:5], 0x60
	s_load_dwordx2 s[44:45], s[4:5], 0x28
	;; [unrolled: 1-line block ×3, first 2 shown]
	s_waitcnt lgkmcnt(0)
	s_bitcmp1_b32 s47, 0
	s_cselect_b64 s[2:3], -1, 0
	s_xor_b64 s[0:1], s[2:3], -1
	s_and_b64 vcc, exec, s[2:3]
	s_cbranch_vccnz .LBB58_2
; %bb.1:
	s_load_dword s44, s[44:45], 0x0
.LBB58_2:
	s_andn2_b64 vcc, exec, s[0:1]
	s_cbranch_vccnz .LBB58_4
; %bb.3:
	s_load_dword s22, s[22:23], 0x0
.LBB58_4:
	s_waitcnt lgkmcnt(0)
	v_cmp_neq_f32_e64 s[0:1], s44, 0
	v_cmp_neq_f32_e64 s[2:3], s22, 1.0
	s_or_b64 s[0:1], s[0:1], s[2:3]
	s_andn2_b64 vcc, exec, s[0:1]
	s_cbranch_vccnz .LBB58_121
; %bb.5:
	s_load_dwordx2 s[0:1], s[4:5], 0x10
	s_load_dwordx2 s[8:9], s[4:5], 0x20
	s_ashr_i32 s7, s6, 31
	s_lshl_b64 s[2:3], s[6:7], 3
	s_waitcnt lgkmcnt(0)
	s_add_u32 s0, s0, s2
	s_addc_u32 s1, s1, s3
	s_load_dwordx4 s[36:39], s[0:1], 0x0
	s_load_dwordx2 s[34:35], s[4:5], 0x58
	s_load_dwordx8 s[24:31], s[4:5], 0x30
	s_lshl_b64 s[48:49], s[6:7], 2
	s_waitcnt lgkmcnt(0)
	s_sub_i32 s2, s38, s36
	s_add_u32 s0, s8, s48
	s_addc_u32 s1, s9, s49
	s_lshl_b64 s[8:9], s[36:37], 3
	s_add_u32 s40, s24, s8
	s_addc_u32 s41, s25, s9
	s_load_dword s23, s[0:1], 0x0
	s_load_dwordx2 s[42:43], s[40:41], 0x0
	s_cmp_lt_i32 s2, 2
	s_mov_b64 s[0:1], -1
	s_cbranch_scc0 .LBB58_72
; %bb.6:
	s_cmp_lg_u32 s2, 1
	s_cselect_b64 s[0:1], -1, 0
	s_waitcnt lgkmcnt(0)
	s_cmp_lg_u32 s23, 0
	s_cselect_b64 s[2:3], -1, 0
	s_or_b64 s[2:3], s[0:1], s[2:3]
	s_mov_b64 s[0:1], -1
	s_and_b64 vcc, exec, s[2:3]
	s_cbranch_vccnz .LBB58_35
; %bb.7:
	v_pk_mov_b32 v[2:3], s[36:37], s[36:37] op_sel:[0,1]
	v_cmp_le_i64_e32 vcc, s[38:39], v[2:3]
	s_cbranch_vccnz .LBB58_34
; %bb.8:
	v_subrev_co_u32_e32 v1, vcc, s46, v0
	v_subb_co_u32_e64 v8, s[0:1], 0, 0, vcc
	v_cmp_neq_f32_e64 s[20:21], s22, 0
	s_movk_i32 s0, 0x80
	s_add_u32 s7, s24, 8
	v_cndmask_b32_e64 v2, 0, 1, s[20:21]
	v_lshlrev_b32_e32 v9, 2, v0
	v_cmp_gt_u32_e64 s[0:1], s0, v0
	v_cmp_gt_u32_e64 s[2:3], 64, v0
	;; [unrolled: 1-line block ×7, first 2 shown]
	v_cmp_eq_u32_e64 s[18:19], 0, v0
	s_addc_u32 s33, s25, 0
	v_mov_b32_e32 v10, 0
	v_cmp_ne_u32_e64 s[20:21], 1, v2
	v_pk_mov_b32 v[2:3], s[38:39], s[38:39] op_sel:[0,1]
	s_mov_b64 s[52:53], s[42:43]
	s_mov_b64 s[50:51], s[36:37]
	s_branch .LBB58_11
.LBB58_9:                               ;   in Loop: Header=BB58_11 Depth=1
	s_lshl_b64 s[56:57], s[50:51], 2
	s_add_u32 s56, s34, s56
	s_addc_u32 s57, s35, s57
	s_waitcnt lgkmcnt(0)
	global_store_dword v10, v4, s[56:57]
.LBB58_10:                              ;   in Loop: Header=BB58_11 Depth=1
	s_or_b64 exec, exec, s[54:55]
	s_add_u32 s50, s50, 1
	s_addc_u32 s51, s51, 0
	v_cmp_ge_i64_e32 vcc, s[50:51], v[2:3]
	s_cbranch_vccnz .LBB58_34
.LBB58_11:                              ; =>This Loop Header: Depth=1
                                        ;     Child Loop BB58_13 Depth 2
	s_mov_b64 s[56:57], s[52:53]
	s_lshl_b64 s[52:53], s[50:51], 3
	s_add_u32 s52, s7, s52
	s_addc_u32 s53, s33, s53
	s_load_dwordx2 s[52:53], s[52:53], 0x0
	v_mov_b32_e32 v5, s57
	v_add_co_u32_e32 v4, vcc, s56, v1
	v_addc_co_u32_e32 v5, vcc, v5, v8, vcc
	s_waitcnt lgkmcnt(0)
	s_sub_u32 s54, s52, s46
	s_subb_u32 s55, s53, 0
	v_cmp_gt_i64_e32 vcc, s[54:55], v[4:5]
	v_mov_b32_e32 v11, 0
	s_and_saveexec_b64 s[56:57], vcc
	s_cbranch_execz .LBB58_15
; %bb.12:                               ;   in Loop: Header=BB58_11 Depth=1
	v_lshlrev_b64 v[6:7], 2, v[4:5]
	v_mov_b32_e32 v11, s27
	v_add_co_u32_e32 v6, vcc, s26, v6
	v_addc_co_u32_e32 v7, vcc, v11, v7, vcc
	s_mov_b64 s[58:59], 0
	v_mov_b32_e32 v11, 0
.LBB58_13:                              ;   Parent Loop BB58_11 Depth=1
                                        ; =>  This Inner Loop Header: Depth=2
	global_load_dword v14, v[6:7], off
	v_mov_b32_e32 v13, s29
	v_add_co_u32_e32 v12, vcc, s28, v4
	v_addc_co_u32_e32 v13, vcc, v13, v5, vcc
	global_load_sbyte v16, v[12:13], off
	v_mov_b32_e32 v15, s31
	s_waitcnt vmcnt(1)
	v_subrev_u32_e32 v12, s46, v14
	v_ashrrev_i32_e32 v13, 31, v12
	v_add_co_u32_e32 v12, vcc, s30, v12
	v_addc_co_u32_e32 v13, vcc, v15, v13, vcc
	global_load_sbyte v12, v[12:13], off
	v_add_co_u32_e32 v4, vcc, 0x100, v4
	s_waitcnt vmcnt(1)
	v_cvt_f32_i32_e32 v13, v16
	v_addc_co_u32_e32 v5, vcc, 0, v5, vcc
	v_add_co_u32_e32 v6, vcc, 0x400, v6
	v_addc_co_u32_e32 v7, vcc, 0, v7, vcc
	v_cmp_le_i64_e32 vcc, s[54:55], v[4:5]
	v_mul_f32_e32 v13, s44, v13
	s_or_b64 s[58:59], vcc, s[58:59]
	s_waitcnt vmcnt(0)
	v_cvt_f32_i32_e32 v12, v12
	v_fmac_f32_e32 v11, v13, v12
	s_andn2_b64 exec, exec, s[58:59]
	s_cbranch_execnz .LBB58_13
; %bb.14:                               ;   in Loop: Header=BB58_11 Depth=1
	s_or_b64 exec, exec, s[58:59]
.LBB58_15:                              ;   in Loop: Header=BB58_11 Depth=1
	s_or_b64 exec, exec, s[56:57]
	ds_write_b32 v9, v11
	s_waitcnt lgkmcnt(0)
	s_barrier
	s_and_saveexec_b64 s[54:55], s[0:1]
	s_cbranch_execz .LBB58_17
; %bb.16:                               ;   in Loop: Header=BB58_11 Depth=1
	ds_read2st64_b32 v[4:5], v9 offset1:2
	s_waitcnt lgkmcnt(0)
	v_add_f32_e32 v4, v4, v5
	ds_write_b32 v9, v4
.LBB58_17:                              ;   in Loop: Header=BB58_11 Depth=1
	s_or_b64 exec, exec, s[54:55]
	s_waitcnt lgkmcnt(0)
	s_barrier
	s_and_saveexec_b64 s[54:55], s[2:3]
	s_cbranch_execz .LBB58_19
; %bb.18:                               ;   in Loop: Header=BB58_11 Depth=1
	ds_read2st64_b32 v[4:5], v9 offset1:1
	s_waitcnt lgkmcnt(0)
	v_add_f32_e32 v4, v4, v5
	ds_write_b32 v9, v4
.LBB58_19:                              ;   in Loop: Header=BB58_11 Depth=1
	s_or_b64 exec, exec, s[54:55]
	s_waitcnt lgkmcnt(0)
	s_barrier
	s_and_saveexec_b64 s[54:55], s[8:9]
	s_cbranch_execz .LBB58_21
; %bb.20:                               ;   in Loop: Header=BB58_11 Depth=1
	ds_read2_b32 v[4:5], v9 offset1:32
	s_waitcnt lgkmcnt(0)
	v_add_f32_e32 v4, v4, v5
	ds_write_b32 v9, v4
.LBB58_21:                              ;   in Loop: Header=BB58_11 Depth=1
	s_or_b64 exec, exec, s[54:55]
	s_waitcnt lgkmcnt(0)
	s_barrier
	s_and_saveexec_b64 s[54:55], s[10:11]
	s_cbranch_execz .LBB58_23
; %bb.22:                               ;   in Loop: Header=BB58_11 Depth=1
	ds_read2_b32 v[4:5], v9 offset1:16
	s_waitcnt lgkmcnt(0)
	v_add_f32_e32 v4, v4, v5
	ds_write_b32 v9, v4
.LBB58_23:                              ;   in Loop: Header=BB58_11 Depth=1
	;; [unrolled: 11-line block ×5, first 2 shown]
	s_or_b64 exec, exec, s[54:55]
	s_waitcnt lgkmcnt(0)
	s_barrier
	s_and_saveexec_b64 s[54:55], s[18:19]
	s_cbranch_execz .LBB58_31
; %bb.30:                               ;   in Loop: Header=BB58_11 Depth=1
	ds_read_b64 v[4:5], v10
	s_waitcnt lgkmcnt(0)
	v_add_f32_e32 v4, v4, v5
	ds_write_b32 v10, v4
.LBB58_31:                              ;   in Loop: Header=BB58_11 Depth=1
	s_or_b64 exec, exec, s[54:55]
	s_waitcnt lgkmcnt(0)
	s_barrier
	s_and_saveexec_b64 s[54:55], s[18:19]
	s_cbranch_execz .LBB58_10
; %bb.32:                               ;   in Loop: Header=BB58_11 Depth=1
	ds_read_b32 v4, v10
	s_and_b64 vcc, exec, s[20:21]
	s_cbranch_vccnz .LBB58_9
; %bb.33:                               ;   in Loop: Header=BB58_11 Depth=1
	s_lshl_b64 s[56:57], s[50:51], 2
	s_add_u32 s56, s34, s56
	s_addc_u32 s57, s35, s57
	global_load_dword v5, v10, s[56:57]
	s_waitcnt vmcnt(0) lgkmcnt(0)
	v_fmac_f32_e32 v4, s22, v5
	s_branch .LBB58_9
.LBB58_34:
	s_mov_b64 s[0:1], 0
.LBB58_35:
	s_andn2_b64 vcc, exec, s[0:1]
	s_cbranch_vccnz .LBB58_71
; %bb.36:
	s_load_dwordx2 s[2:3], s[4:5], 0x18
	s_sub_i32 s6, s6, s23
	v_or_b32_e32 v1, s23, v0
	v_cmp_eq_u32_e32 vcc, 0, v1
	v_mov_b32_e32 v1, 0
	s_waitcnt lgkmcnt(0)
	s_add_u32 s0, s2, s48
	s_addc_u32 s1, s3, s49
	s_load_dword s14, s[0:1], 0x0
	s_and_saveexec_b64 s[8:9], vcc
	s_cbranch_execz .LBB58_40
; %bb.37:
	s_lshl_b64 s[12:13], s[36:37], 2
	s_add_u32 s12, s34, s12
	s_addc_u32 s13, s35, s13
	s_load_dword s15, s[12:13], 0x0
	s_mov_b64 s[10:11], exec
	v_mbcnt_lo_u32_b32 v2, s10, 0
	v_mbcnt_hi_u32_b32 v2, s11, v2
	v_add_f32_e64 v1, s22, -1.0
	v_cmp_eq_u32_e32 vcc, 0, v2
	s_waitcnt vmcnt(0) expcnt(0) lgkmcnt(0)
	s_and_saveexec_b64 s[12:13], vcc
	s_cbranch_execz .LBB58_39
; %bb.38:
	s_ashr_i32 s7, s6, 31
	s_lshl_b64 s[16:17], s[6:7], 2
	s_add_u32 s16, s2, s16
	s_addc_u32 s17, s3, s17
	s_bcnt1_i32_b64 s7, s[10:11]
	s_and_b32 s7, s7, 1
	v_mov_b32_e32 v2, 0
	v_mov_b32_e32 v3, s7
	global_atomic_xor v2, v3, s[16:17]
.LBB58_39:
	s_or_b64 exec, exec, s[12:13]
	v_mul_f32_e32 v1, s15, v1
.LBB58_40:
	s_or_b64 exec, exec, s[8:9]
	s_load_dwordx2 s[8:9], s[40:41], 0x8
	s_sub_u32 s11, s42, s46
	s_mul_i32 s7, s23, 0xc00
	s_subb_u32 s12, s43, 0
	s_mul_hi_i32 s10, s23, 0xc00
	s_add_u32 s7, s11, s7
	s_addc_u32 s12, s12, s10
	s_waitcnt lgkmcnt(0)
	s_sub_u32 s10, s8, s46
	v_mov_b32_e32 v3, s12
	v_add_co_u32_e32 v2, vcc, s7, v0
	s_subb_u32 s11, s9, 0
	v_addc_co_u32_e32 v3, vcc, 0, v3, vcc
	v_cmp_gt_i64_e32 vcc, s[10:11], v[2:3]
	s_and_saveexec_b64 s[8:9], vcc
	s_cbranch_execz .LBB58_44
; %bb.41:
	s_add_u32 s16, s7, 0xc00
	s_addc_u32 s17, s12, 0
	v_pk_mov_b32 v[4:5], s[10:11], s[10:11] op_sel:[0,1]
	v_cmp_lt_i64_e32 vcc, s[16:17], v[4:5]
	v_lshlrev_b64 v[4:5], 2, v[2:3]
	s_and_b64 s[12:13], vcc, exec
	v_mov_b32_e32 v6, s27
	v_add_co_u32_e32 v4, vcc, s26, v4
	s_cselect_b32 s11, s17, s11
	s_cselect_b32 s10, s16, s10
	v_addc_co_u32_e32 v5, vcc, v6, v5, vcc
	s_mov_b64 s[12:13], 0
	v_mov_b32_e32 v6, s29
	v_mov_b32_e32 v7, s31
.LBB58_42:                              ; =>This Inner Loop Header: Depth=1
	global_load_dword v10, v[4:5], off
	v_add_co_u32_e32 v8, vcc, s28, v2
	v_addc_co_u32_e32 v9, vcc, v6, v3, vcc
	global_load_sbyte v11, v[8:9], off
	s_waitcnt vmcnt(1)
	v_subrev_u32_e32 v8, s46, v10
	v_ashrrev_i32_e32 v9, 31, v8
	v_add_co_u32_e32 v8, vcc, s30, v8
	v_addc_co_u32_e32 v9, vcc, v7, v9, vcc
	global_load_sbyte v8, v[8:9], off
	v_add_co_u32_e32 v2, vcc, 0x100, v2
	s_waitcnt vmcnt(1)
	v_cvt_f32_i32_e32 v9, v11
	v_addc_co_u32_e32 v3, vcc, 0, v3, vcc
	v_add_co_u32_e32 v4, vcc, 0x400, v4
	v_addc_co_u32_e32 v5, vcc, 0, v5, vcc
	v_cmp_le_i64_e32 vcc, s[10:11], v[2:3]
	v_mul_f32_e32 v9, s44, v9
	s_or_b64 s[12:13], vcc, s[12:13]
	s_waitcnt vmcnt(0)
	v_cvt_f32_i32_e32 v8, v8
	v_fmac_f32_e32 v1, v9, v8
	s_andn2_b64 exec, exec, s[12:13]
	s_cbranch_execnz .LBB58_42
; %bb.43:
	s_or_b64 exec, exec, s[12:13]
.LBB58_44:
	s_or_b64 exec, exec, s[8:9]
	s_movk_i32 s7, 0x80
	v_lshlrev_b32_e32 v2, 2, v0
	v_cmp_gt_u32_e32 vcc, s7, v0
	ds_write_b32 v2, v1
	s_waitcnt lgkmcnt(0)
	s_barrier
	s_and_saveexec_b64 s[8:9], vcc
	s_cbranch_execz .LBB58_46
; %bb.45:
	ds_read2st64_b32 v[4:5], v2 offset1:2
	s_waitcnt lgkmcnt(0)
	v_add_f32_e32 v1, v4, v5
	ds_write_b32 v2, v1
.LBB58_46:
	s_or_b64 exec, exec, s[8:9]
	v_cmp_gt_u32_e32 vcc, 64, v0
	s_waitcnt lgkmcnt(0)
	s_barrier
	s_and_saveexec_b64 s[8:9], vcc
	s_cbranch_execz .LBB58_48
; %bb.47:
	ds_read2st64_b32 v[4:5], v2 offset1:1
	s_waitcnt lgkmcnt(0)
	v_add_f32_e32 v1, v4, v5
	ds_write_b32 v2, v1
.LBB58_48:
	s_or_b64 exec, exec, s[8:9]
	v_cmp_gt_u32_e32 vcc, 32, v0
	s_waitcnt lgkmcnt(0)
	s_barrier
	s_and_saveexec_b64 s[8:9], vcc
	s_cbranch_execz .LBB58_50
; %bb.49:
	ds_read2_b32 v[4:5], v2 offset1:32
	s_waitcnt lgkmcnt(0)
	v_add_f32_e32 v1, v4, v5
	ds_write_b32 v2, v1
.LBB58_50:
	s_or_b64 exec, exec, s[8:9]
	v_cmp_gt_u32_e32 vcc, 16, v0
	s_waitcnt lgkmcnt(0)
	s_barrier
	s_and_saveexec_b64 s[8:9], vcc
	s_cbranch_execz .LBB58_52
; %bb.51:
	ds_read2_b32 v[4:5], v2 offset1:16
	s_waitcnt lgkmcnt(0)
	v_add_f32_e32 v1, v4, v5
	ds_write_b32 v2, v1
.LBB58_52:
	;; [unrolled: 12-line block ×5, first 2 shown]
	s_or_b64 exec, exec, s[8:9]
	v_cmp_eq_u32_e32 vcc, 0, v0
	s_waitcnt lgkmcnt(0)
	s_barrier
	s_and_saveexec_b64 s[8:9], vcc
	s_cbranch_execz .LBB58_60
; %bb.59:
	v_mov_b32_e32 v1, 0
	ds_read_b64 v[2:3], v1
	s_waitcnt lgkmcnt(0)
	v_add_f32_e32 v2, v2, v3
	ds_write_b32 v1, v2
.LBB58_60:
	s_or_b64 exec, exec, s[8:9]
	s_waitcnt lgkmcnt(0)
	s_barrier
	s_and_saveexec_b64 s[8:9], vcc
	s_cbranch_execz .LBB58_70
; %bb.61:
	s_cmp_eq_u32 s23, 0
	s_cbranch_scc1 .LBB58_67
; %bb.62:
	s_ashr_i32 s7, s6, 31
	s_lshl_b64 s[6:7], s[6:7], 2
	s_add_u32 s2, s2, s6
	s_addc_u32 s3, s3, s7
	v_mov_b32_e32 v1, 0
	s_branch .LBB58_64
.LBB58_63:                              ;   in Loop: Header=BB58_64 Depth=1
	s_or_b64 exec, exec, s[6:7]
	s_waitcnt vmcnt(0)
	v_readfirstlane_b32 s6, v2
	s_cmp_eq_u32 s6, s14
	s_cbranch_scc0 .LBB58_66
.LBB58_64:                              ; =>This Inner Loop Header: Depth=1
	v_mbcnt_lo_u32_b32 v2, exec_lo, 0
	v_mbcnt_hi_u32_b32 v2, exec_hi, v2
	v_cmp_eq_u32_e32 vcc, 0, v2
                                        ; implicit-def: $vgpr2
	s_and_saveexec_b64 s[6:7], vcc
	s_cbranch_execz .LBB58_63
; %bb.65:                               ;   in Loop: Header=BB58_64 Depth=1
	global_load_dword v2, v1, s[2:3] glc
	s_branch .LBB58_63
.LBB58_66:
	v_mov_b32_e32 v1, 0
	global_load_dword v2, v1, s[0:1]
	s_waitcnt vmcnt(0)
	v_xor_b32_e32 v2, 1, v2
	global_store_dword v1, v2, s[0:1]
.LBB58_67:
	s_mov_b64 s[2:3], exec
	v_mbcnt_lo_u32_b32 v1, s2, 0
	v_mbcnt_hi_u32_b32 v1, s3, v1
	v_cmp_eq_u32_e32 vcc, 0, v1
	s_and_b64 s[0:1], exec, vcc
	s_mov_b64 exec, s[0:1]
	s_cbranch_execz .LBB58_70
; %bb.68:
	s_lshl_b64 s[0:1], s[36:37], 2
	s_add_u32 s0, s34, s0
	s_addc_u32 s1, s35, s1
	v_mov_b32_e32 v1, 0
	global_load_dword v3, v1, s[0:1]
	ds_read_b32 v2, v1
	s_bcnt1_i32_b64 s2, s[2:3]
	v_cvt_f32_ubyte0_e32 v4, s2
	s_mov_b64 s[2:3], 0
	s_waitcnt lgkmcnt(0)
	v_mul_f32_e32 v4, v2, v4
.LBB58_69:                              ; =>This Inner Loop Header: Depth=1
	s_waitcnt vmcnt(0)
	v_add_f32_e32 v2, v3, v4
	global_atomic_cmpswap v2, v1, v[2:3], s[0:1] glc
	s_waitcnt vmcnt(0)
	v_cmp_eq_u32_e32 vcc, v2, v3
	s_or_b64 s[2:3], vcc, s[2:3]
	v_mov_b32_e32 v3, v2
	s_andn2_b64 exec, exec, s[2:3]
	s_cbranch_execnz .LBB58_69
.LBB58_70:
	s_or_b64 exec, exec, s[8:9]
.LBB58_71:
	s_mov_b64 s[0:1], 0
.LBB58_72:
	s_andn2_b64 vcc, exec, s[0:1]
	s_cbranch_vccnz .LBB58_121
; %bb.73:
	s_load_dwordx2 s[0:1], s[4:5], 0x8
	v_subrev_co_u32_e32 v1, vcc, s46, v0
	v_subb_co_u32_e64 v2, s[2:3], 0, 0, vcc
	s_waitcnt lgkmcnt(0)
	v_mov_b32_e32 v3, s43
	v_add_co_u32_e32 v4, vcc, s42, v1
	v_addc_co_u32_e32 v5, vcc, v3, v2, vcc
	v_add_co_u32_e32 v2, vcc, 0x300, v4
	v_addc_co_u32_e32 v3, vcc, 0, v5, vcc
	s_mov_b32 s16, 0
	v_cmp_le_i64_e32 vcc, s[0:1], v[2:3]
	s_and_saveexec_b64 s[0:1], vcc
	s_xor_b64 s[2:3], exec, s[0:1]
	s_cbranch_execz .LBB58_83
; %bb.74:
	s_lshl_b64 s[0:1], s[38:39], 3
	s_add_u32 s0, s24, s0
	s_addc_u32 s1, s25, s1
	s_load_dwordx2 s[0:1], s[0:1], 0x0
	s_waitcnt lgkmcnt(0)
	s_sub_u32 s4, s0, s46
	s_subb_u32 s5, s1, 0
	v_cmp_gt_i64_e32 vcc, s[4:5], v[4:5]
	s_and_saveexec_b64 s[6:7], vcc
	s_cbranch_execz .LBB58_82
; %bb.75:
	v_mov_b32_e32 v1, s43
	v_add_co_u32_e32 v2, vcc, s42, v0
	v_addc_co_u32_e32 v1, vcc, 0, v1, vcc
	v_mov_b32_e32 v3, s16
	v_subrev_co_u32_e32 v2, vcc, s46, v2
	v_subb_co_u32_e32 v1, vcc, v1, v3, vcc
	v_add_co_u32_e32 v2, vcc, 0x100, v2
	v_addc_co_u32_e32 v3, vcc, 0, v1, vcc
	v_mov_b32_e32 v1, s5
	v_cmp_lt_i64_e32 vcc, s[4:5], v[2:3]
	s_not_b64 s[0:1], s[42:43]
	v_cndmask_b32_e32 v1, v1, v3, vcc
	v_mov_b32_e32 v3, s4
	s_add_u32 s0, s0, s46
	v_cndmask_b32_e32 v2, v3, v2, vcc
	s_addc_u32 s1, s1, 0
	v_mov_b32_e32 v3, s1
	v_add_co_u32_e32 v2, vcc, s0, v2
	v_addc_co_u32_e32 v1, vcc, v3, v1, vcc
	v_sub_co_u32_e32 v2, vcc, v2, v0
	v_subbrev_co_u32_e32 v3, vcc, 0, v1, vcc
	s_mov_b64 s[0:1], 0xff
	s_mov_b64 s[8:9], 0x100
	v_cmp_lt_u64_e32 vcc, s[0:1], v[2:3]
	s_mov_b64 s[0:1], -1
	v_pk_mov_b32 v[10:11], 0, 0
	s_and_saveexec_b64 s[10:11], vcc
	s_cbranch_execz .LBB58_79
; %bb.76:
	v_lshrrev_b64 v[2:3], 8, v[2:3]
	v_add_co_u32_e32 v6, vcc, 1, v2
	v_addc_co_u32_e32 v7, vcc, 0, v3, vcc
	v_and_b32_e32 v8, -2, v6
	v_mov_b32_e32 v9, v7
	v_mov_b32_e32 v2, v4
	;; [unrolled: 1-line block ×3, first 2 shown]
	s_mov_b32 s45, s44
	s_mov_b32 s17, s46
	;; [unrolled: 1-line block ×3, first 2 shown]
	v_mov_b32_e32 v1, v0
	s_mov_b64 s[12:13], 0
	v_mov_b32_e32 v12, s29
	v_mov_b32_e32 v13, s27
	;; [unrolled: 1-line block ×3, first 2 shown]
	v_pk_mov_b32 v[10:11], v[8:9], v[8:9] op_sel:[0,1]
	s_mov_b64 s[14:15], 0
.LBB58_77:                              ; =>This Inner Loop Header: Depth=1
	v_mov_b32_e32 v17, s15
	v_add_co_u32_e32 v16, vcc, s14, v4
	v_addc_co_u32_e32 v17, vcc, v17, v5, vcc
	v_mov_b32_e32 v15, s9
	v_add_co_u32_e64 v18, s[0:1], s8, v2
	v_lshlrev_b64 v[20:21], 2, v[16:17]
	v_addc_co_u32_e64 v19, s[0:1], v15, v3, s[0:1]
	v_add_co_u32_e32 v20, vcc, s26, v20
	v_lshlrev_b64 v[22:23], 2, v[18:19]
	v_addc_co_u32_e32 v21, vcc, v13, v21, vcc
	v_add_co_u32_e32 v22, vcc, s26, v22
	v_addc_co_u32_e32 v23, vcc, v13, v23, vcc
	global_load_dword v15, v[20:21], off
	global_load_dword v24, v[22:23], off
	v_add_co_u32_e64 v16, s[0:1], s28, v16
	v_add_co_u32_e32 v18, vcc, s28, v18
	v_addc_co_u32_e64 v17, s[0:1], v12, v17, s[0:1]
	v_addc_co_u32_e32 v19, vcc, v12, v19, vcc
	global_load_sbyte v20, v[16:17], off
	global_load_sbyte v21, v[18:19], off
	v_add_lshl_u32 v23, v0, s14, 2
	s_add_u32 s14, s14, 0x200
	s_addc_u32 s15, s15, 0
	s_waitcnt vmcnt(3)
	v_subrev_u32_e32 v15, s17, v15
	s_waitcnt vmcnt(2)
	v_subrev_u32_e32 v16, s18, v24
	v_ashrrev_i32_e32 v17, 31, v16
	v_add_co_u32_e32 v16, vcc, s30, v16
	v_ashrrev_i32_e32 v19, 31, v15
	v_add_co_u32_e64 v18, s[0:1], s30, v15
	v_addc_co_u32_e32 v17, vcc, v14, v17, vcc
	v_addc_co_u32_e64 v19, s[0:1], v14, v19, s[0:1]
	global_load_sbyte v15, v[16:17], off
	global_load_sbyte v22, v[18:19], off
	s_waitcnt vmcnt(2)
	v_cvt_f32_i32_e32 v17, v21
	v_cvt_f32_i32_e32 v16, v20
	v_add_co_u32_e32 v10, vcc, -2, v10
	v_add_lshl_u32 v24, v1, s8, 2
	v_addc_co_u32_e32 v11, vcc, -1, v11, vcc
	s_add_u32 s8, s8, 0x200
	v_cmp_eq_u64_e32 vcc, 0, v[10:11]
	s_addc_u32 s9, s9, 0
	v_pk_mul_f32 v[16:17], s[44:45], v[16:17]
	s_or_b64 s[12:13], vcc, s[12:13]
	s_waitcnt vmcnt(1)
	v_cvt_f32_i32_e32 v19, v15
	s_waitcnt vmcnt(0)
	v_cvt_f32_i32_e32 v18, v22
	v_pk_mul_f32 v[16:17], v[16:17], v[18:19]
	ds_write_b32 v23, v16
	ds_write_b32 v24, v17
	s_andn2_b64 exec, exec, s[12:13]
	s_cbranch_execnz .LBB58_77
; %bb.78:
	s_or_b64 exec, exec, s[12:13]
	v_cmp_ne_u64_e32 vcc, v[6:7], v[8:9]
	v_lshlrev_b64 v[10:11], 8, v[8:9]
	s_orn2_b64 s[0:1], vcc, exec
.LBB58_79:
	s_or_b64 exec, exec, s[10:11]
	s_and_b64 exec, exec, s[0:1]
	s_cbranch_execz .LBB58_82
; %bb.80:
	v_mov_b32_e32 v1, s43
	v_add_co_u32_e32 v2, vcc, s42, v10
	v_addc_co_u32_e32 v1, vcc, v11, v1, vcc
	v_add_co_u32_e32 v2, vcc, v2, v0
	v_addc_co_u32_e32 v1, vcc, 0, v1, vcc
	v_mov_b32_e32 v3, s16
	v_subrev_co_u32_e32 v2, vcc, s46, v2
	v_subb_co_u32_e32 v3, vcc, v1, v3, vcc
	v_lshlrev_b64 v[4:5], 2, v[2:3]
	v_mov_b32_e32 v6, s27
	v_add_co_u32_e32 v4, vcc, s26, v4
	v_add_lshl_u32 v1, v0, v10, 2
	v_addc_co_u32_e32 v5, vcc, v6, v5, vcc
	s_mov_b64 s[0:1], 0
	v_mov_b32_e32 v6, s29
	v_mov_b32_e32 v7, s31
.LBB58_81:                              ; =>This Inner Loop Header: Depth=1
	global_load_dword v10, v[4:5], off
	v_add_co_u32_e32 v8, vcc, s28, v2
	v_addc_co_u32_e32 v9, vcc, v6, v3, vcc
	global_load_sbyte v11, v[8:9], off
	s_waitcnt vmcnt(1)
	v_subrev_u32_e32 v8, s46, v10
	v_ashrrev_i32_e32 v9, 31, v8
	v_add_co_u32_e32 v8, vcc, s30, v8
	v_addc_co_u32_e32 v9, vcc, v7, v9, vcc
	global_load_sbyte v8, v[8:9], off
	s_waitcnt vmcnt(1)
	v_cvt_f32_i32_e32 v9, v11
	v_add_co_u32_e32 v2, vcc, 0x100, v2
	v_addc_co_u32_e32 v3, vcc, 0, v3, vcc
	v_add_co_u32_e32 v4, vcc, 0x400, v4
	v_addc_co_u32_e32 v5, vcc, 0, v5, vcc
	v_mul_f32_e32 v9, s44, v9
	v_cmp_le_i64_e32 vcc, s[4:5], v[2:3]
	s_or_b64 s[0:1], vcc, s[0:1]
	s_waitcnt vmcnt(0)
	v_cvt_f32_i32_e32 v8, v8
	v_mul_f32_e32 v8, v9, v8
	ds_write_b32 v1, v8
	v_add_u32_e32 v1, 0x400, v1
	s_andn2_b64 exec, exec, s[0:1]
	s_cbranch_execnz .LBB58_81
.LBB58_82:
	s_or_b64 exec, exec, s[6:7]
                                        ; implicit-def: $vgpr4
.LBB58_83:
	s_or_saveexec_b64 s[0:1], s[2:3]
	v_lshlrev_b32_e32 v1, 2, v0
	s_xor_b64 exec, exec, s[0:1]
	s_cbranch_execz .LBB58_85
; %bb.84:
	v_lshlrev_b64 v[2:3], 2, v[4:5]
	v_mov_b32_e32 v6, s27
	v_add_co_u32_e32 v2, vcc, s26, v2
	v_addc_co_u32_e32 v3, vcc, v6, v3, vcc
	global_load_dword v6, v[2:3], off
	global_load_dword v7, v[2:3], off offset:1024
	global_load_dword v8, v[2:3], off offset:2048
	;; [unrolled: 1-line block ×3, first 2 shown]
	v_mov_b32_e32 v3, s29
	v_add_co_u32_e32 v2, vcc, s28, v4
	v_addc_co_u32_e32 v3, vcc, v3, v5, vcc
	global_load_sbyte v11, v[2:3], off
	global_load_sbyte v12, v[2:3], off offset:256
	global_load_sbyte v13, v[2:3], off offset:512
	;; [unrolled: 1-line block ×3, first 2 shown]
	v_mov_b32_e32 v10, s31
	s_waitcnt vmcnt(7)
	v_subrev_u32_e32 v2, s46, v6
	v_ashrrev_i32_e32 v3, 31, v2
	v_add_co_u32_e32 v2, vcc, s30, v2
	s_waitcnt vmcnt(6)
	v_subrev_u32_e32 v4, s46, v7
	v_addc_co_u32_e32 v3, vcc, v10, v3, vcc
	v_ashrrev_i32_e32 v5, 31, v4
	v_add_co_u32_e32 v4, vcc, s30, v4
	s_waitcnt vmcnt(5)
	v_subrev_u32_e32 v6, s46, v8
	v_addc_co_u32_e32 v5, vcc, v10, v5, vcc
	;; [unrolled: 5-line block ×3, first 2 shown]
	v_ashrrev_i32_e32 v9, 31, v8
	v_add_co_u32_e32 v8, vcc, s30, v8
	v_addc_co_u32_e32 v9, vcc, v10, v9, vcc
	global_load_sbyte v10, v[2:3], off
	global_load_sbyte v15, v[4:5], off
	;; [unrolled: 1-line block ×4, first 2 shown]
	s_waitcnt vmcnt(7)
	v_cvt_f32_i32_e32 v2, v11
	s_waitcnt vmcnt(6)
	v_cvt_f32_i32_e32 v3, v12
	;; [unrolled: 2-line block ×4, first 2 shown]
	v_mul_f32_e32 v2, s44, v2
	v_mul_f32_e32 v3, s44, v3
	;; [unrolled: 1-line block ×4, first 2 shown]
	s_waitcnt vmcnt(3)
	v_cvt_f32_i32_e32 v6, v10
	s_waitcnt vmcnt(2)
	v_cvt_f32_i32_e32 v7, v15
	;; [unrolled: 2-line block ×4, first 2 shown]
	v_mul_f32_e32 v2, v2, v6
	v_mul_f32_e32 v3, v3, v7
	v_mul_f32_e32 v4, v4, v8
	v_mul_f32_e32 v5, v5, v9
	ds_write2st64_b32 v1, v2, v3 offset1:4
	ds_write2st64_b32 v1, v4, v5 offset0:8 offset1:12
.LBB58_85:
	s_or_b64 exec, exec, s[0:1]
	s_cmp_lt_i32 s23, 2
	s_mov_b64 s[0:1], -1
	s_waitcnt lgkmcnt(0)
	s_barrier
	s_cbranch_scc0 .LBB58_96
; %bb.86:
	v_mov_b32_e32 v2, s37
	v_add_co_u32_e32 v6, vcc, s36, v0
	v_addc_co_u32_e32 v7, vcc, 0, v2, vcc
	v_cmp_gt_i64_e32 vcc, s[38:39], v[6:7]
	s_and_saveexec_b64 s[0:1], vcc
	s_cbranch_execz .LBB58_95
; %bb.87:
	s_lshl_b32 s4, s42, 2
	v_cmp_neq_f32_e64 s[2:3], s22, 0
	s_sub_i32 s10, 0, s4
	s_mov_b64 s[4:5], 0
	v_mov_b32_e32 v8, s25
	v_mov_b32_e32 v9, s35
	s_branch .LBB58_89
.LBB58_88:                              ;   in Loop: Header=BB58_89 Depth=1
	v_add_co_u32_e32 v2, vcc, s34, v2
	v_addc_co_u32_e32 v3, vcc, v9, v3, vcc
	v_add_co_u32_e32 v6, vcc, 0x100, v6
	v_addc_co_u32_e32 v7, vcc, 0, v7, vcc
	v_cmp_le_i64_e32 vcc, s[38:39], v[6:7]
	s_or_b64 s[4:5], vcc, s[4:5]
	global_store_dword v[2:3], v4, off
	s_andn2_b64 exec, exec, s[4:5]
	s_cbranch_execz .LBB58_95
.LBB58_89:                              ; =>This Loop Header: Depth=1
                                        ;     Child Loop BB58_91 Depth 2
	v_lshlrev_b64 v[2:3], 3, v[6:7]
	v_add_co_u32_e32 v2, vcc, s24, v2
	v_addc_co_u32_e32 v3, vcc, v8, v3, vcc
	global_load_dwordx4 v[2:5], v[2:3], off
	s_waitcnt vmcnt(0)
	v_subrev_u32_e32 v3, s42, v2
	v_subrev_u32_e32 v5, s42, v4
	v_cmp_lt_i32_e32 vcc, v3, v5
	v_mov_b32_e32 v4, 0
	s_and_saveexec_b64 s[6:7], vcc
	s_cbranch_execz .LBB58_93
; %bb.90:                               ;   in Loop: Header=BB58_89 Depth=1
	v_lshl_add_u32 v2, v2, 2, s10
	s_mov_b64 s[8:9], 0
	v_mov_b32_e32 v4, 0
.LBB58_91:                              ;   Parent Loop BB58_89 Depth=1
                                        ; =>  This Inner Loop Header: Depth=2
	ds_read_b32 v10, v2
	v_add_u32_e32 v3, 1, v3
	v_cmp_ge_i32_e32 vcc, v3, v5
	v_add_u32_e32 v2, 4, v2
	s_or_b64 s[8:9], vcc, s[8:9]
	s_waitcnt lgkmcnt(0)
	v_add_f32_e32 v4, v4, v10
	s_andn2_b64 exec, exec, s[8:9]
	s_cbranch_execnz .LBB58_91
; %bb.92:                               ;   in Loop: Header=BB58_89 Depth=1
	s_or_b64 exec, exec, s[8:9]
.LBB58_93:                              ;   in Loop: Header=BB58_89 Depth=1
	s_or_b64 exec, exec, s[6:7]
	s_and_b64 vcc, exec, s[2:3]
	v_lshlrev_b64 v[2:3], 2, v[6:7]
	s_cbranch_vccz .LBB58_88
; %bb.94:                               ;   in Loop: Header=BB58_89 Depth=1
	v_mov_b32_e32 v5, s35
	v_add_co_u32_e32 v10, vcc, s34, v2
	v_addc_co_u32_e32 v11, vcc, v5, v3, vcc
	global_load_dword v5, v[10:11], off
	s_waitcnt vmcnt(0)
	v_fmac_f32_e32 v4, s22, v5
	s_branch .LBB58_88
.LBB58_95:
	s_or_b64 exec, exec, s[0:1]
	s_mov_b64 s[0:1], 0
.LBB58_96:
	s_andn2_b64 vcc, exec, s[0:1]
	s_cbranch_vccnz .LBB58_121
; %bb.97:
	s_flbit_i32_b32 s0, s23
	s_xor_b32 s0, s0, 31
	v_lshrrev_b32_e32 v4, s0, v0
	v_mov_b32_e32 v3, s37
	v_add_co_u32_e32 v2, vcc, s36, v4
	v_addc_co_u32_e32 v3, vcc, 0, v3, vcc
	s_add_i32 s0, s23, -1
	v_mov_b32_e32 v5, 0
	v_and_b32_e32 v0, s0, v0
	v_cmp_le_i64_e32 vcc, s[38:39], v[2:3]
	v_cmp_gt_i64_e64 s[0:1], s[38:39], v[2:3]
	s_and_saveexec_b64 s[2:3], s[0:1]
	s_cbranch_execz .LBB58_103
; %bb.98:
	v_lshlrev_b32_e32 v4, 3, v4
	global_load_dword v5, v4, s[40:41] offset:8
	global_load_dword v6, v4, s[40:41]
	s_waitcnt vmcnt(1)
	v_subrev_u32_e32 v4, s42, v5
	s_waitcnt vmcnt(0)
	v_subrev_u32_e32 v5, s42, v6
	v_add_u32_e32 v6, v0, v5
	v_cmp_lt_i32_e64 s[0:1], v6, v4
	v_mov_b32_e32 v5, 0
	s_and_saveexec_b64 s[4:5], s[0:1]
	s_cbranch_execz .LBB58_102
; %bb.99:
	v_lshlrev_b32_e32 v7, 2, v6
	s_lshl_b32 s8, s23, 2
	s_mov_b64 s[6:7], 0
	v_mov_b32_e32 v5, 0
.LBB58_100:                             ; =>This Inner Loop Header: Depth=1
	ds_read_b32 v8, v7
	v_add_u32_e32 v6, s23, v6
	v_cmp_ge_i32_e64 s[0:1], v6, v4
	v_add_u32_e32 v7, s8, v7
	s_or_b64 s[6:7], s[0:1], s[6:7]
	s_waitcnt lgkmcnt(0)
	v_add_f32_e32 v5, v5, v8
	s_andn2_b64 exec, exec, s[6:7]
	s_cbranch_execnz .LBB58_100
; %bb.101:
	s_or_b64 exec, exec, s[6:7]
.LBB58_102:
	s_or_b64 exec, exec, s[4:5]
.LBB58_103:
	s_or_b64 exec, exec, s[2:3]
	s_cmpk_lt_i32 s23, 0x81
	s_barrier
	ds_write_b32 v1, v5
	s_waitcnt lgkmcnt(0)
	s_barrier
	s_cbranch_scc1 .LBB58_105
; %bb.104:
	ds_read_b32 v4, v1 offset:512
	s_waitcnt lgkmcnt(0)
	s_barrier
	v_add_f32_e32 v5, v5, v4
	ds_write_b32 v1, v5
.LBB58_105:
	s_cmpk_lt_i32 s23, 0x41
	s_waitcnt lgkmcnt(0)
	s_barrier
	s_cbranch_scc1 .LBB58_107
; %bb.106:
	ds_read_b32 v4, v1 offset:256
	s_waitcnt lgkmcnt(0)
	s_barrier
	v_add_f32_e32 v5, v5, v4
	ds_write_b32 v1, v5
.LBB58_107:
	s_cmp_lt_i32 s23, 33
	s_waitcnt lgkmcnt(0)
	s_barrier
	s_cbranch_scc1 .LBB58_109
; %bb.108:
	ds_read_b32 v4, v1 offset:128
	s_waitcnt lgkmcnt(0)
	s_barrier
	v_add_f32_e32 v5, v5, v4
	ds_write_b32 v1, v5
.LBB58_109:
	s_cmp_lt_i32 s23, 17
	;; [unrolled: 11-line block ×4, first 2 shown]
	s_waitcnt lgkmcnt(0)
	s_barrier
	s_cbranch_scc1 .LBB58_115
; %bb.114:
	ds_read_b32 v4, v1 offset:16
	s_waitcnt lgkmcnt(0)
	s_barrier
	v_add_f32_e32 v5, v5, v4
	ds_write_b32 v1, v5
.LBB58_115:
	s_cmp_eq_u32 s23, 2
	s_waitcnt lgkmcnt(0)
	s_barrier
	s_cbranch_scc1 .LBB58_117
; %bb.116:
	ds_read_b32 v4, v1 offset:8
	s_waitcnt lgkmcnt(0)
	s_barrier
	v_add_f32_e32 v5, v5, v4
	ds_write_b32 v1, v5
.LBB58_117:
	s_waitcnt lgkmcnt(0)
	s_barrier
	ds_read_b32 v4, v1 offset:4
	v_cmp_eq_u32_e64 s[0:1], 0, v0
	s_xor_b64 s[2:3], vcc, -1
	s_and_b64 s[0:1], s[0:1], s[2:3]
	s_waitcnt lgkmcnt(0)
	v_add_f32_e32 v4, v5, v4
	s_barrier
	ds_write_b32 v1, v4
	s_and_saveexec_b64 s[2:3], s[0:1]
	s_cbranch_execz .LBB58_121
; %bb.118:
	v_cmp_eq_f32_e64 s[0:1], s22, 0
	s_and_b64 vcc, exec, s[0:1]
	v_lshlrev_b64 v[0:1], 2, v[2:3]
	s_cbranch_vccnz .LBB58_120
; %bb.119:
	v_mov_b32_e32 v3, s35
	v_add_co_u32_e32 v2, vcc, s34, v0
	v_addc_co_u32_e32 v3, vcc, v3, v1, vcc
	global_load_dword v2, v[2:3], off
	s_waitcnt vmcnt(0)
	v_fmac_f32_e32 v4, s22, v2
.LBB58_120:
	v_mov_b32_e32 v2, s35
	v_add_co_u32_e32 v0, vcc, s34, v0
	v_addc_co_u32_e32 v1, vcc, v2, v1, vcc
	global_store_dword v[0:1], v4, off
.LBB58_121:
	s_endpgm
	.section	.rodata,"a",@progbits
	.p2align	6, 0x0
	.amdhsa_kernel _ZN9rocsparseL22csrmvn_adaptive_kernelIliaaffEEvbT_PKS1_PjPKT0_NS_24const_host_device_scalarIT4_EES3_S7_PKT1_PKT2_SA_PT3_21rocsparse_index_base_b
		.amdhsa_group_segment_fixed_size 4096
		.amdhsa_private_segment_fixed_size 0
		.amdhsa_kernarg_size 104
		.amdhsa_user_sgpr_count 6
		.amdhsa_user_sgpr_private_segment_buffer 1
		.amdhsa_user_sgpr_dispatch_ptr 0
		.amdhsa_user_sgpr_queue_ptr 0
		.amdhsa_user_sgpr_kernarg_segment_ptr 1
		.amdhsa_user_sgpr_dispatch_id 0
		.amdhsa_user_sgpr_flat_scratch_init 0
		.amdhsa_user_sgpr_kernarg_preload_length 0
		.amdhsa_user_sgpr_kernarg_preload_offset 0
		.amdhsa_user_sgpr_private_segment_size 0
		.amdhsa_uses_dynamic_stack 0
		.amdhsa_system_sgpr_private_segment_wavefront_offset 0
		.amdhsa_system_sgpr_workgroup_id_x 1
		.amdhsa_system_sgpr_workgroup_id_y 0
		.amdhsa_system_sgpr_workgroup_id_z 0
		.amdhsa_system_sgpr_workgroup_info 0
		.amdhsa_system_vgpr_workitem_id 0
		.amdhsa_next_free_vgpr 25
		.amdhsa_next_free_sgpr 60
		.amdhsa_accum_offset 28
		.amdhsa_reserve_vcc 1
		.amdhsa_reserve_flat_scratch 0
		.amdhsa_float_round_mode_32 0
		.amdhsa_float_round_mode_16_64 0
		.amdhsa_float_denorm_mode_32 3
		.amdhsa_float_denorm_mode_16_64 3
		.amdhsa_dx10_clamp 1
		.amdhsa_ieee_mode 1
		.amdhsa_fp16_overflow 0
		.amdhsa_tg_split 0
		.amdhsa_exception_fp_ieee_invalid_op 0
		.amdhsa_exception_fp_denorm_src 0
		.amdhsa_exception_fp_ieee_div_zero 0
		.amdhsa_exception_fp_ieee_overflow 0
		.amdhsa_exception_fp_ieee_underflow 0
		.amdhsa_exception_fp_ieee_inexact 0
		.amdhsa_exception_int_div_zero 0
	.end_amdhsa_kernel
	.section	.text._ZN9rocsparseL22csrmvn_adaptive_kernelIliaaffEEvbT_PKS1_PjPKT0_NS_24const_host_device_scalarIT4_EES3_S7_PKT1_PKT2_SA_PT3_21rocsparse_index_base_b,"axG",@progbits,_ZN9rocsparseL22csrmvn_adaptive_kernelIliaaffEEvbT_PKS1_PjPKT0_NS_24const_host_device_scalarIT4_EES3_S7_PKT1_PKT2_SA_PT3_21rocsparse_index_base_b,comdat
.Lfunc_end58:
	.size	_ZN9rocsparseL22csrmvn_adaptive_kernelIliaaffEEvbT_PKS1_PjPKT0_NS_24const_host_device_scalarIT4_EES3_S7_PKT1_PKT2_SA_PT3_21rocsparse_index_base_b, .Lfunc_end58-_ZN9rocsparseL22csrmvn_adaptive_kernelIliaaffEEvbT_PKS1_PjPKT0_NS_24const_host_device_scalarIT4_EES3_S7_PKT1_PKT2_SA_PT3_21rocsparse_index_base_b
                                        ; -- End function
	.section	.AMDGPU.csdata,"",@progbits
; Kernel info:
; codeLenInByte = 4392
; NumSgprs: 64
; NumVgprs: 25
; NumAgprs: 0
; TotalNumVgprs: 25
; ScratchSize: 0
; MemoryBound: 0
; FloatMode: 240
; IeeeMode: 1
; LDSByteSize: 4096 bytes/workgroup (compile time only)
; SGPRBlocks: 7
; VGPRBlocks: 3
; NumSGPRsForWavesPerEU: 64
; NumVGPRsForWavesPerEU: 25
; AccumOffset: 28
; Occupancy: 8
; WaveLimiterHint : 1
; COMPUTE_PGM_RSRC2:SCRATCH_EN: 0
; COMPUTE_PGM_RSRC2:USER_SGPR: 6
; COMPUTE_PGM_RSRC2:TRAP_HANDLER: 0
; COMPUTE_PGM_RSRC2:TGID_X_EN: 1
; COMPUTE_PGM_RSRC2:TGID_Y_EN: 0
; COMPUTE_PGM_RSRC2:TGID_Z_EN: 0
; COMPUTE_PGM_RSRC2:TIDIG_COMP_CNT: 0
; COMPUTE_PGM_RSRC3_GFX90A:ACCUM_OFFSET: 6
; COMPUTE_PGM_RSRC3_GFX90A:TG_SPLIT: 0
	.section	.text._ZN9rocsparseL27csrmvn_symm_adaptive_kernelIliaaffEEvbT_S1_PKS1_NS_24const_host_device_scalarIT4_EES3_PKT0_PKT1_PKT2_S6_PT3_21rocsparse_index_base_b,"axG",@progbits,_ZN9rocsparseL27csrmvn_symm_adaptive_kernelIliaaffEEvbT_S1_PKS1_NS_24const_host_device_scalarIT4_EES3_PKT0_PKT1_PKT2_S6_PT3_21rocsparse_index_base_b,comdat
	.globl	_ZN9rocsparseL27csrmvn_symm_adaptive_kernelIliaaffEEvbT_S1_PKS1_NS_24const_host_device_scalarIT4_EES3_PKT0_PKT1_PKT2_S6_PT3_21rocsparse_index_base_b ; -- Begin function _ZN9rocsparseL27csrmvn_symm_adaptive_kernelIliaaffEEvbT_S1_PKS1_NS_24const_host_device_scalarIT4_EES3_PKT0_PKT1_PKT2_S6_PT3_21rocsparse_index_base_b
	.p2align	8
	.type	_ZN9rocsparseL27csrmvn_symm_adaptive_kernelIliaaffEEvbT_S1_PKS1_NS_24const_host_device_scalarIT4_EES3_PKT0_PKT1_PKT2_S6_PT3_21rocsparse_index_base_b,@function
_ZN9rocsparseL27csrmvn_symm_adaptive_kernelIliaaffEEvbT_S1_PKS1_NS_24const_host_device_scalarIT4_EES3_PKT0_PKT1_PKT2_S6_PT3_21rocsparse_index_base_b: ; @_ZN9rocsparseL27csrmvn_symm_adaptive_kernelIliaaffEEvbT_S1_PKS1_NS_24const_host_device_scalarIT4_EES3_PKT0_PKT1_PKT2_S6_PT3_21rocsparse_index_base_b
; %bb.0:
	s_load_dwordx2 s[28:29], s[4:5], 0x58
	s_load_dwordx2 s[36:37], s[4:5], 0x20
	;; [unrolled: 1-line block ×3, first 2 shown]
	s_waitcnt lgkmcnt(0)
	s_bitcmp1_b32 s29, 0
	s_cselect_b64 s[8:9], -1, 0
	s_xor_b64 s[2:3], s[8:9], -1
	s_and_b64 vcc, exec, s[8:9]
	s_cbranch_vccnz .LBB59_2
; %bb.1:
	s_load_dword s36, s[36:37], 0x0
.LBB59_2:
	s_andn2_b64 vcc, exec, s[2:3]
	s_cbranch_vccnz .LBB59_4
; %bb.3:
	s_load_dword s0, s[0:1], 0x0
.LBB59_4:
	s_waitcnt lgkmcnt(0)
	v_cmp_neq_f32_e64 s[2:3], s36, 0
	v_cmp_neq_f32_e64 s[0:1], s0, 1.0
	s_or_b64 s[0:1], s[2:3], s[0:1]
	s_andn2_b64 vcc, exec, s[0:1]
	s_cbranch_vccnz .LBB59_177
; %bb.5:
	s_load_dwordx2 s[0:1], s[4:5], 0x18
	s_ashr_i32 s7, s6, 31
	s_lshl_b64 s[2:3], s[6:7], 3
	v_lshlrev_b32_e32 v16, 2, v0
	v_mov_b32_e32 v1, 0
	s_waitcnt lgkmcnt(0)
	s_add_u32 s0, s0, s2
	s_addc_u32 s1, s1, s3
	ds_write2st64_b32 v16, v1, v1 offset1:4
	ds_write2st64_b32 v16, v1, v1 offset0:8 offset1:12
	s_waitcnt lgkmcnt(0)
	s_barrier
	s_load_dwordx4 s[20:23], s[0:1], 0x0
	s_load_dwordx8 s[12:19], s[4:5], 0x28
	s_load_dwordx2 s[24:25], s[4:5], 0x50
	s_mov_b64 s[0:1], -1
	s_waitcnt lgkmcnt(0)
	s_sub_u32 s26, s22, s20
	s_subb_u32 s27, s23, s21
	v_cmp_gt_i64_e64 s[2:3], s[26:27], 2
	s_and_b64 vcc, exec, s[2:3]
	s_cbranch_vccnz .LBB59_40
; %bb.6:
	v_pk_mov_b32 v[2:3], s[20:21], s[20:21] op_sel:[0,1]
	v_cmp_gt_i64_e32 vcc, s[22:23], v[2:3]
	v_subrev_co_u32_e64 v1, s[0:1], s28, v0
	s_mov_b32 s29, 0
	v_subb_co_u32_e64 v8, s[0:1], 0, 0, s[0:1]
	s_cbranch_vccnz .LBB59_8
; %bb.7:
	s_lshl_b64 s[0:1], s[20:21], 3
	s_add_u32 s0, s12, s0
	s_addc_u32 s1, s13, s1
	s_load_dwordx2 s[30:31], s[0:1], 0x0
	s_cbranch_execz .LBB59_9
	s_branch .LBB59_29
.LBB59_8:
                                        ; implicit-def: $sgpr30_sgpr31
.LBB59_9:
	s_waitcnt lgkmcnt(0)
	s_lshl_b64 s[30:31], s[20:21], 3
	s_add_u32 s30, s12, s30
	s_addc_u32 s31, s13, s31
	s_load_dwordx2 s[30:31], s[30:31], 0x0
	s_movk_i32 s0, 0x100
	s_add_u32 s33, s12, 8
	v_cmp_gt_u32_e64 s[0:1], s0, v0
	v_cmp_gt_u32_e64 s[2:3], 64, v0
	;; [unrolled: 1-line block ×4, first 2 shown]
	v_cmp_eq_u32_e64 s[10:11], 0, v0
	s_addc_u32 s37, s13, 0
	v_mov_b32_e32 v9, s17
	v_mov_b32_e32 v10, s19
	;; [unrolled: 1-line block ×3, first 2 shown]
	v_pk_mov_b32 v[2:3], s[22:23], s[22:23] op_sel:[0,1]
	s_waitcnt lgkmcnt(0)
	s_mov_b64 s[38:39], s[30:31]
	s_mov_b64 s[34:35], s[20:21]
	s_branch .LBB59_11
.LBB59_10:                              ;   in Loop: Header=BB59_11 Depth=1
	s_or_b64 exec, exec, s[40:41]
	s_add_u32 s34, s34, 1
	s_addc_u32 s35, s35, 0
	v_cmp_ge_i64_e32 vcc, s[34:35], v[2:3]
	s_cbranch_vccnz .LBB59_29
.LBB59_11:                              ; =>This Loop Header: Depth=1
                                        ;     Child Loop BB59_13 Depth 2
                                        ;     Child Loop BB59_28 Depth 2
	s_mov_b64 s[42:43], s[38:39]
	s_lshl_b64 s[38:39], s[34:35], 3
	s_add_u32 s38, s33, s38
	s_addc_u32 s39, s37, s39
	s_load_dwordx2 s[38:39], s[38:39], 0x0
	v_mov_b32_e32 v5, s43
	v_add_co_u32_e32 v4, vcc, s42, v1
	v_addc_co_u32_e32 v5, vcc, v5, v8, vcc
	s_waitcnt lgkmcnt(0)
	s_sub_u32 s40, s38, s28
	s_subb_u32 s41, s39, 0
	v_cmp_gt_i64_e32 vcc, s[40:41], v[4:5]
	v_mov_b32_e32 v12, 0
	s_and_saveexec_b64 s[42:43], vcc
	s_cbranch_execz .LBB59_15
; %bb.12:                               ;   in Loop: Header=BB59_11 Depth=1
	v_lshlrev_b64 v[6:7], 2, v[4:5]
	v_mov_b32_e32 v12, s15
	v_add_co_u32_e32 v6, vcc, s14, v6
	v_addc_co_u32_e32 v7, vcc, v12, v7, vcc
	s_mov_b64 s[44:45], 0
	v_mov_b32_e32 v12, 0
.LBB59_13:                              ;   Parent Loop BB59_11 Depth=1
                                        ; =>  This Inner Loop Header: Depth=2
	global_load_dword v13, v[6:7], off
	v_add_co_u32_e32 v14, vcc, s16, v4
	v_addc_co_u32_e32 v15, vcc, v9, v5, vcc
	global_load_sbyte v17, v[14:15], off
	s_waitcnt vmcnt(1)
	v_subrev_u32_e32 v13, s28, v13
	v_ashrrev_i32_e32 v15, 31, v13
	v_add_co_u32_e32 v14, vcc, s18, v13
	v_addc_co_u32_e32 v15, vcc, v10, v15, vcc
	global_load_sbyte v13, v[14:15], off
	v_add_co_u32_e32 v4, vcc, 0x100, v4
	v_addc_co_u32_e32 v5, vcc, 0, v5, vcc
	s_waitcnt vmcnt(1)
	v_cvt_f32_i32_e32 v14, v17
	v_add_co_u32_e32 v6, vcc, 0x400, v6
	v_addc_co_u32_e32 v7, vcc, 0, v7, vcc
	v_cmp_le_i64_e32 vcc, s[40:41], v[4:5]
	s_or_b64 s[44:45], vcc, s[44:45]
	s_waitcnt vmcnt(0)
	v_cvt_f32_i32_e32 v13, v13
	v_fmac_f32_e32 v12, v14, v13
	s_andn2_b64 exec, exec, s[44:45]
	s_cbranch_execnz .LBB59_13
; %bb.14:                               ;   in Loop: Header=BB59_11 Depth=1
	s_or_b64 exec, exec, s[44:45]
.LBB59_15:                              ;   in Loop: Header=BB59_11 Depth=1
	s_or_b64 exec, exec, s[42:43]
	ds_write_b32 v16, v12
	s_waitcnt lgkmcnt(0)
	s_barrier
	s_and_saveexec_b64 s[40:41], s[0:1]
	s_cbranch_execz .LBB59_17
; %bb.16:                               ;   in Loop: Header=BB59_11 Depth=1
	ds_read2st64_b32 v[4:5], v16 offset1:4
	ds_read2st64_b32 v[6:7], v16 offset0:8 offset1:12
	s_waitcnt lgkmcnt(0)
	v_add_f32_e32 v5, v5, v6
	v_add_f32_e32 v5, v5, v7
	;; [unrolled: 1-line block ×3, first 2 shown]
	ds_write_b32 v16, v4
.LBB59_17:                              ;   in Loop: Header=BB59_11 Depth=1
	s_or_b64 exec, exec, s[40:41]
	s_waitcnt lgkmcnt(0)
	s_barrier
	s_and_saveexec_b64 s[40:41], s[2:3]
	s_cbranch_execz .LBB59_19
; %bb.18:                               ;   in Loop: Header=BB59_11 Depth=1
	ds_read2st64_b32 v[4:5], v16 offset1:1
	ds_read2st64_b32 v[6:7], v16 offset0:2 offset1:3
	s_waitcnt lgkmcnt(0)
	v_add_f32_e32 v5, v5, v6
	v_add_f32_e32 v5, v5, v7
	;; [unrolled: 1-line block ×3, first 2 shown]
	ds_write_b32 v16, v4
.LBB59_19:                              ;   in Loop: Header=BB59_11 Depth=1
	s_or_b64 exec, exec, s[40:41]
	s_waitcnt lgkmcnt(0)
	s_barrier
	s_and_saveexec_b64 s[40:41], s[6:7]
	s_cbranch_execz .LBB59_21
; %bb.20:                               ;   in Loop: Header=BB59_11 Depth=1
	ds_read2_b32 v[4:5], v16 offset1:16
	ds_read2_b32 v[6:7], v16 offset0:32 offset1:48
	s_waitcnt lgkmcnt(0)
	v_add_f32_e32 v5, v5, v6
	v_add_f32_e32 v5, v5, v7
	;; [unrolled: 1-line block ×3, first 2 shown]
	ds_write_b32 v16, v4
.LBB59_21:                              ;   in Loop: Header=BB59_11 Depth=1
	s_or_b64 exec, exec, s[40:41]
	s_waitcnt lgkmcnt(0)
	s_barrier
	s_and_saveexec_b64 s[40:41], s[8:9]
	s_cbranch_execz .LBB59_23
; %bb.22:                               ;   in Loop: Header=BB59_11 Depth=1
	ds_read2_b32 v[4:5], v16 offset1:4
	ds_read2_b32 v[6:7], v16 offset0:8 offset1:12
	s_waitcnt lgkmcnt(0)
	v_add_f32_e32 v5, v5, v6
	v_add_f32_e32 v5, v5, v7
	;; [unrolled: 1-line block ×3, first 2 shown]
	ds_write_b32 v16, v4
.LBB59_23:                              ;   in Loop: Header=BB59_11 Depth=1
	s_or_b64 exec, exec, s[40:41]
	s_waitcnt lgkmcnt(0)
	s_barrier
	s_and_saveexec_b64 s[40:41], s[10:11]
	s_cbranch_execz .LBB59_25
; %bb.24:                               ;   in Loop: Header=BB59_11 Depth=1
	ds_read2_b32 v[4:5], v11 offset0:1 offset1:2
	ds_read_b32 v6, v11 offset:12
	ds_read_b32 v7, v16
	s_waitcnt lgkmcnt(2)
	v_add_f32_e32 v4, v4, v5
	s_waitcnt lgkmcnt(1)
	v_add_f32_e32 v4, v4, v6
	;; [unrolled: 2-line block ×3, first 2 shown]
	ds_write_b32 v16, v4
.LBB59_25:                              ;   in Loop: Header=BB59_11 Depth=1
	s_or_b64 exec, exec, s[40:41]
	s_waitcnt lgkmcnt(0)
	s_barrier
	s_and_saveexec_b64 s[40:41], s[10:11]
	s_cbranch_execz .LBB59_10
; %bb.26:                               ;   in Loop: Header=BB59_11 Depth=1
	s_mov_b64 s[44:45], exec
	v_mbcnt_lo_u32_b32 v4, s44, 0
	v_mbcnt_hi_u32_b32 v4, s45, v4
	v_cmp_eq_u32_e32 vcc, 0, v4
	s_and_b64 s[42:43], exec, vcc
	s_mov_b64 exec, s[42:43]
	s_cbranch_execz .LBB59_10
; %bb.27:                               ;   in Loop: Header=BB59_11 Depth=1
	s_lshl_b64 s[42:43], s[34:35], 2
	s_add_u32 s42, s24, s42
	s_addc_u32 s43, s25, s43
	global_load_dword v5, v11, s[42:43]
	ds_read_b32 v4, v11
	s_bcnt1_i32_b64 s44, s[44:45]
	v_cvt_f32_ubyte0_e32 v6, s44
	s_mov_b64 s[44:45], 0
	s_waitcnt lgkmcnt(0)
	v_mul_f32_e32 v4, s36, v4
	v_mul_f32_e32 v6, v4, v6
.LBB59_28:                              ;   Parent Loop BB59_11 Depth=1
                                        ; =>  This Inner Loop Header: Depth=2
	s_waitcnt vmcnt(0)
	v_add_f32_e32 v4, v5, v6
	global_atomic_cmpswap v4, v11, v[4:5], s[42:43] glc
	s_waitcnt vmcnt(0)
	v_cmp_eq_u32_e32 vcc, v4, v5
	s_or_b64 s[44:45], vcc, s[44:45]
	v_mov_b32_e32 v5, v4
	s_andn2_b64 exec, exec, s[44:45]
	s_cbranch_execnz .LBB59_28
	s_branch .LBB59_10
.LBB59_29:
	s_lshl_b64 s[0:1], s[22:23], 3
	s_add_u32 s0, s12, s0
	s_addc_u32 s1, s13, s1
	s_load_dwordx2 s[0:1], s[0:1], 0x0
	s_waitcnt lgkmcnt(0)
	v_mov_b32_e32 v3, s31
	v_add_co_u32_e32 v2, vcc, s30, v1
	v_addc_co_u32_e32 v3, vcc, v3, v8, vcc
	s_sub_u32 s6, s0, s28
	s_subb_u32 s7, s1, 0
	v_cmp_gt_i64_e32 vcc, s[6:7], v[2:3]
	s_and_saveexec_b64 s[8:9], vcc
	s_cbranch_execz .LBB59_39
; %bb.30:
	s_add_u32 s10, s22, -1
	s_addc_u32 s11, s23, -1
	s_add_u32 s0, s22, -2
	s_addc_u32 s1, s23, -1
	v_pk_mov_b32 v[4:5], s[20:21], s[20:21] op_sel:[0,1]
	s_cmp_lg_u64 s[0:1], s[20:21]
	v_cmp_gt_i64_e32 vcc, s[10:11], v[4:5]
	s_cselect_b64 s[0:1], -1, 0
	s_and_b64 s[0:1], vcc, s[0:1]
	v_cndmask_b32_e64 v1, 0, 1, s[0:1]
	s_mov_b64 s[30:31], 0
	v_cmp_ne_u32_e64 s[0:1], 1, v1
	v_mov_b32_e32 v1, s13
	v_mov_b32_e32 v10, s29
	;; [unrolled: 1-line block ×3, first 2 shown]
	s_branch .LBB59_32
.LBB59_31:                              ;   in Loop: Header=BB59_32 Depth=1
	s_or_b64 exec, exec, s[2:3]
	v_add_co_u32_e32 v2, vcc, 0x100, v2
	v_addc_co_u32_e32 v3, vcc, 0, v3, vcc
	v_cmp_le_i64_e32 vcc, s[6:7], v[2:3]
	s_or_b64 s[30:31], vcc, s[30:31]
	s_andn2_b64 exec, exec, s[30:31]
	s_cbranch_execz .LBB59_39
.LBB59_32:                              ; =>This Loop Header: Depth=1
                                        ;     Child Loop BB59_34 Depth 2
                                        ;     Child Loop BB59_38 Depth 2
	s_and_b64 vcc, exec, s[0:1]
	v_pk_mov_b32 v[4:5], s[20:21], s[20:21] op_sel:[0,1]
	v_pk_mov_b32 v[6:7], s[10:11], s[10:11] op_sel:[0,1]
	s_cbranch_vccnz .LBB59_36
; %bb.33:                               ;   in Loop: Header=BB59_32 Depth=1
	s_mov_b64 s[34:35], 0
	v_pk_mov_b32 v[4:5], s[20:21], s[20:21] op_sel:[0,1]
	v_pk_mov_b32 v[6:7], s[10:11], s[10:11] op_sel:[0,1]
.LBB59_34:                              ;   Parent Loop BB59_32 Depth=1
                                        ; =>  This Inner Loop Header: Depth=2
	v_add_co_u32_e32 v8, vcc, v6, v4
	v_addc_co_u32_e32 v9, vcc, v7, v5, vcc
	v_lshrrev_b32_e32 v12, 31, v9
	v_add_co_u32_e32 v8, vcc, v8, v12
	v_addc_co_u32_e32 v9, vcc, 0, v9, vcc
	v_ashrrev_i64 v[8:9], 1, v[8:9]
	v_lshlrev_b64 v[12:13], 3, v[8:9]
	v_mov_b32_e32 v14, s13
	v_add_co_u32_e32 v12, vcc, s12, v12
	v_addc_co_u32_e32 v13, vcc, v14, v13, vcc
	global_load_dwordx2 v[12:13], v[12:13], off
	v_mov_b32_e32 v14, s29
	s_waitcnt vmcnt(0)
	v_subrev_co_u32_e32 v12, vcc, s28, v12
	v_subb_co_u32_e32 v13, vcc, v13, v14, vcc
	v_cmp_gt_i64_e32 vcc, v[12:13], v[2:3]
	v_cndmask_b32_e32 v6, v6, v8, vcc
	v_cndmask_b32_e32 v7, v7, v9, vcc
	;; [unrolled: 1-line block ×3, first 2 shown]
	v_add_co_u32_e64 v8, s[2:3], -1, v6
	v_cndmask_b32_e32 v5, v9, v5, vcc
	v_addc_co_u32_e64 v9, s[2:3], -1, v7, s[2:3]
	v_cmp_ge_i64_e32 vcc, v[4:5], v[6:7]
	v_cmp_eq_u64_e64 s[2:3], v[4:5], v[8:9]
	s_or_b64 s[2:3], vcc, s[2:3]
	s_and_b64 s[2:3], exec, s[2:3]
	s_or_b64 s[34:35], s[2:3], s[34:35]
	s_andn2_b64 exec, exec, s[34:35]
	s_cbranch_execnz .LBB59_34
; %bb.35:                               ;   in Loop: Header=BB59_32 Depth=1
	s_or_b64 exec, exec, s[34:35]
.LBB59_36:                              ;   in Loop: Header=BB59_32 Depth=1
	v_lshlrev_b64 v[8:9], 3, v[6:7]
	v_add_co_u32_e32 v8, vcc, s12, v8
	v_addc_co_u32_e32 v9, vcc, v1, v9, vcc
	v_lshlrev_b64 v[12:13], 2, v[2:3]
	global_load_dwordx2 v[8:9], v[8:9], off
	v_add_co_u32_e32 v12, vcc, s14, v12
	v_addc_co_u32_e32 v13, vcc, v11, v13, vcc
	global_load_dword v14, v[12:13], off
	s_waitcnt vmcnt(1)
	v_subrev_co_u32_e32 v12, vcc, s28, v8
	v_subb_co_u32_e32 v13, vcc, v9, v10, vcc
	v_cmp_gt_i64_e32 vcc, v[12:13], v[2:3]
	s_waitcnt vmcnt(0)
	v_subrev_u32_e32 v8, s28, v14
	v_cndmask_b32_e32 v5, v7, v5, vcc
	v_cndmask_b32_e32 v4, v6, v4, vcc
	v_ashrrev_i32_e32 v9, 31, v8
	v_cmp_ne_u64_e32 vcc, v[4:5], v[8:9]
	s_and_saveexec_b64 s[2:3], vcc
	s_cbranch_execz .LBB59_31
; %bb.37:                               ;   in Loop: Header=BB59_32 Depth=1
	v_lshlrev_b64 v[6:7], 2, v[8:9]
	v_mov_b32_e32 v9, s17
	v_add_co_u32_e32 v8, vcc, s16, v2
	v_addc_co_u32_e32 v9, vcc, v9, v3, vcc
	global_load_sbyte v8, v[8:9], off
	v_mov_b32_e32 v9, s19
	v_add_co_u32_e32 v4, vcc, s18, v4
	v_addc_co_u32_e32 v5, vcc, v9, v5, vcc
	global_load_sbyte v9, v[4:5], off
	v_mov_b32_e32 v5, s25
	v_add_co_u32_e32 v4, vcc, s24, v6
	v_addc_co_u32_e32 v5, vcc, v5, v7, vcc
	global_load_dword v7, v[4:5], off
	s_mov_b64 s[34:35], 0
	s_waitcnt vmcnt(2)
	v_cvt_f32_i32_e32 v6, v8
	v_mul_f32_e32 v6, s36, v6
	s_waitcnt vmcnt(1)
	v_cvt_f32_i32_e32 v8, v9
	v_mul_f32_e32 v8, v6, v8
.LBB59_38:                              ;   Parent Loop BB59_32 Depth=1
                                        ; =>  This Inner Loop Header: Depth=2
	s_waitcnt vmcnt(0)
	v_add_f32_e32 v6, v7, v8
	global_atomic_cmpswap v6, v[4:5], v[6:7], off glc
	s_waitcnt vmcnt(0)
	v_cmp_eq_u32_e32 vcc, v6, v7
	s_or_b64 s[34:35], vcc, s[34:35]
	v_mov_b32_e32 v7, v6
	s_andn2_b64 exec, exec, s[34:35]
	s_cbranch_execnz .LBB59_38
	s_branch .LBB59_31
.LBB59_39:
	s_or_b64 exec, exec, s[8:9]
	s_mov_b64 s[0:1], 0
.LBB59_40:
	s_and_b64 vcc, exec, s[0:1]
	s_cbranch_vccz .LBB59_177
; %bb.41:
	s_load_dword s0, s[4:5], 0x6c
	s_mov_b32 s29, 0
	v_pk_mov_b32 v[2:3], s[26:27], s[26:27] op_sel:[0,1]
	s_mov_b32 s31, s29
	s_mov_b64 s[34:35], 0
	s_waitcnt lgkmcnt(0)
	s_and_b32 s30, s0, 0xffff
	v_cmp_lt_u64_e32 vcc, s[30:31], v[2:3]
	s_cbranch_vccnz .LBB59_43
; %bb.42:
	v_cvt_f32_u32_e32 v1, s26
	s_sub_i32 s0, 0, s26
	v_rcp_iflag_f32_e32 v1, v1
	v_mul_f32_e32 v1, 0x4f7ffffe, v1
	v_cvt_u32_f32_e32 v1, v1
	v_readfirstlane_b32 s1, v1
	s_mul_i32 s0, s0, s1
	s_mul_hi_u32 s0, s1, s0
	s_add_i32 s1, s1, s0
	s_mul_hi_u32 s0, s30, s1
	s_mul_i32 s2, s0, s26
	s_sub_i32 s2, s30, s2
	s_add_i32 s1, s0, 1
	s_sub_i32 s3, s2, s26
	s_cmp_ge_u32 s2, s26
	s_cselect_b32 s0, s1, s0
	s_cselect_b32 s2, s3, s2
	s_add_i32 s1, s0, 1
	s_cmp_ge_u32 s2, s26
	s_cselect_b32 s34, s1, s0
.LBB59_43:
	s_lshl_b64 s[0:1], s[20:21], 3
	s_add_u32 s10, s12, s0
	s_addc_u32 s11, s13, s1
	s_load_dwordx2 s[8:9], s[10:11], 0x0
	v_subrev_co_u32_e32 v2, vcc, s28, v0
	s_load_dwordx4 s[4:7], s[4:5], 0x8
	v_subb_co_u32_e64 v3, s[0:1], 0, 0, vcc
	s_waitcnt lgkmcnt(0)
	v_mov_b32_e32 v4, s9
	v_add_co_u32_e32 v6, vcc, s8, v2
	v_addc_co_u32_e32 v7, vcc, v4, v3, vcc
	v_add_co_u32_e32 v8, vcc, 0x300, v6
	v_addc_co_u32_e32 v9, vcc, 0, v7, vcc
	v_mov_b32_e32 v1, 0
	v_cmp_le_i64_e64 s[0:1], s[4:5], v[8:9]
	s_and_saveexec_b64 s[2:3], s[0:1]
	s_xor_b64 s[4:5], exec, s[2:3]
	s_cbranch_execnz .LBB59_46
; %bb.44:
	s_andn2_saveexec_b64 s[2:3], s[4:5]
	s_cbranch_execnz .LBB59_55
.LBB59_45:
	s_or_b64 exec, exec, s[2:3]
	v_cmp_gt_i64_e32 vcc, s[6:7], v[0:1]
	s_and_saveexec_b64 s[4:5], vcc
	s_cbranch_execnz .LBB59_56
	s_branch .LBB59_63
.LBB59_46:
	s_lshl_b64 s[2:3], s[22:23], 3
	s_add_u32 s2, s12, s2
	s_addc_u32 s3, s13, s3
	s_load_dwordx2 s[2:3], s[2:3], 0x0
	s_waitcnt lgkmcnt(0)
	s_sub_u32 s38, s2, s8
	s_subb_u32 s39, s3, s9
	v_cmp_gt_i64_e32 vcc, s[38:39], v[0:1]
	s_and_saveexec_b64 s[40:41], vcc
	s_cbranch_execz .LBB59_54
; %bb.47:
	s_not_b64 s[42:43], s[8:9]
	s_add_u32 s2, s2, s42
	s_addc_u32 s3, s3, s43
	v_mov_b32_e32 v3, s3
	v_sub_co_u32_e32 v2, vcc, s2, v0
	v_subbrev_co_u32_e32 v3, vcc, 0, v3, vcc
	s_mov_b64 s[2:3], 0xff
	v_cmp_lt_u64_e32 vcc, s[2:3], v[2:3]
	s_mov_b64 s[2:3], -1
	v_pk_mov_b32 v[10:11], 0, 0
	s_and_saveexec_b64 s[42:43], vcc
	s_cbranch_execz .LBB59_51
; %bb.48:
	v_lshrrev_b64 v[2:3], 8, v[2:3]
	v_add_co_u32_e32 v2, vcc, 1, v2
	v_addc_co_u32_e32 v3, vcc, 0, v3, vcc
	v_mov_b32_e32 v12, s9
	v_add_co_u32_e32 v13, vcc, s8, v0
	v_addc_co_u32_e32 v12, vcc, 0, v12, vcc
	v_mov_b32_e32 v14, s29
	v_subrev_co_u32_e32 v13, vcc, s28, v13
	v_subb_co_u32_e32 v12, vcc, v12, v14, vcc
	v_mov_b32_e32 v14, s17
	v_add_co_u32_e32 v13, vcc, s16, v13
	v_addc_co_u32_e32 v14, vcc, v12, v14, vcc
	s_movk_i32 s2, 0x100
	v_and_b32_e32 v4, -2, v2
	v_mov_b32_e32 v5, v3
	v_add_co_u32_e32 v12, vcc, s2, v13
	s_mov_b32 s37, s36
	v_mov_b32_e32 v10, v0
	v_mov_b32_e32 v11, v0
	s_mov_b64 s[44:45], 0x100
	v_addc_co_u32_e32 v13, vcc, 0, v14, vcc
	s_mov_b64 s[46:47], 0
	v_pk_mov_b32 v[14:15], v[4:5], v[4:5] op_sel:[0,1]
	s_mov_b64 s[48:49], 0
.LBB59_49:                              ; =>This Inner Loop Header: Depth=1
	global_load_sbyte v17, v[12:13], off
	global_load_sbyte v18, v[12:13], off offset:-256
	v_add_lshl_u32 v20, v10, s48, 2
	s_add_u32 s48, s48, 0x200
	v_add_co_u32_e32 v12, vcc, 0x200, v12
	v_add_co_u32_e64 v14, s[2:3], -2, v14
	s_addc_u32 s49, s49, 0
	v_add_lshl_u32 v21, v11, s44, 2
	v_addc_co_u32_e64 v15, s[2:3], -1, v15, s[2:3]
	v_addc_co_u32_e32 v13, vcc, 0, v13, vcc
	s_add_u32 s44, s44, 0x200
	v_cmp_eq_u64_e32 vcc, 0, v[14:15]
	s_addc_u32 s45, s45, 0
	s_or_b64 s[46:47], vcc, s[46:47]
	s_waitcnt vmcnt(1)
	v_cvt_f32_i32_e32 v19, v17
	s_waitcnt vmcnt(0)
	v_cvt_f32_i32_e32 v18, v18
	v_pk_mul_f32 v[18:19], s[36:37], v[18:19]
	ds_write_b32 v20, v18
	ds_write_b32 v21, v19
	s_andn2_b64 exec, exec, s[46:47]
	s_cbranch_execnz .LBB59_49
; %bb.50:
	s_or_b64 exec, exec, s[46:47]
	v_cmp_ne_u64_e32 vcc, v[2:3], v[4:5]
	v_lshlrev_b64 v[10:11], 8, v[4:5]
	s_orn2_b64 s[2:3], vcc, exec
.LBB59_51:
	s_or_b64 exec, exec, s[42:43]
	s_and_b64 exec, exec, s[2:3]
	s_cbranch_execz .LBB59_54
; %bb.52:
	s_sub_u32 s2, s8, s28
	s_subb_u32 s3, s9, 0
	s_add_u32 s33, s16, s2
	s_addc_u32 s35, s17, s3
	v_add_co_u32_e32 v2, vcc, v10, v0
	v_lshlrev_b32_e32 v4, 2, v10
	v_addc_co_u32_e32 v3, vcc, 0, v11, vcc
	v_lshl_add_u32 v4, v0, 2, v4
	s_mov_b64 s[2:3], 0
	v_mov_b32_e32 v5, s35
.LBB59_53:                              ; =>This Inner Loop Header: Depth=1
	v_add_co_u32_e32 v10, vcc, s33, v2
	v_addc_co_u32_e32 v11, vcc, v5, v3, vcc
	global_load_sbyte v10, v[10:11], off
	v_add_co_u32_e32 v2, vcc, 0x100, v2
	v_addc_co_u32_e32 v3, vcc, 0, v3, vcc
	v_cmp_le_i64_e32 vcc, s[38:39], v[2:3]
	s_or_b64 s[2:3], vcc, s[2:3]
	s_waitcnt vmcnt(0)
	v_cvt_f32_i32_e32 v10, v10
	v_mul_f32_e32 v10, s36, v10
	ds_write_b32 v4, v10
	v_add_u32_e32 v4, 0x400, v4
	s_andn2_b64 exec, exec, s[2:3]
	s_cbranch_execnz .LBB59_53
.LBB59_54:
	s_or_b64 exec, exec, s[40:41]
	s_andn2_saveexec_b64 s[2:3], s[4:5]
	s_cbranch_execz .LBB59_45
.LBB59_55:
	v_mov_b32_e32 v3, s17
	v_add_co_u32_e32 v2, vcc, s16, v6
	v_addc_co_u32_e32 v3, vcc, v3, v7, vcc
	global_load_sbyte v4, v[2:3], off
	global_load_sbyte v5, v[2:3], off offset:256
	global_load_sbyte v10, v[2:3], off offset:512
	;; [unrolled: 1-line block ×3, first 2 shown]
	s_waitcnt vmcnt(3)
	v_cvt_f32_i32_e32 v2, v4
	s_waitcnt vmcnt(2)
	v_cvt_f32_i32_e32 v3, v5
	;; [unrolled: 2-line block ×4, first 2 shown]
	v_mul_f32_e32 v2, s36, v2
	v_mul_f32_e32 v3, s36, v3
	;; [unrolled: 1-line block ×4, first 2 shown]
	ds_write2st64_b32 v16, v2, v3 offset1:4
	ds_write2st64_b32 v16, v4, v5 offset0:8 offset1:12
	s_or_b64 exec, exec, s[2:3]
	v_cmp_gt_i64_e32 vcc, s[6:7], v[0:1]
	s_and_saveexec_b64 s[4:5], vcc
	s_cbranch_execz .LBB59_63
.LBB59_56:
	v_not_b32_e32 v3, v0
	v_not_b32_e32 v2, 0
	v_mov_b32_e32 v5, s7
	v_add_co_u32_e32 v4, vcc, s6, v3
	v_addc_co_u32_e32 v5, vcc, v2, v5, vcc
	s_mov_b64 s[2:3], 0x2ff
	v_cmp_lt_u64_e32 vcc, s[2:3], v[4:5]
	s_mov_b64 s[2:3], -1
	v_pk_mov_b32 v[2:3], v[0:1], v[0:1] op_sel:[0,1]
	s_and_saveexec_b64 s[16:17], vcc
	s_cbranch_execz .LBB59_60
; %bb.57:
	v_lshrrev_b64 v[2:3], 8, v[4:5]
	v_add_co_u32_e32 v10, vcc, 1, v2
	v_addc_co_u32_e32 v11, vcc, 0, v3, vcc
	v_or_b32_e32 v2, 0x100, v0
	v_mov_b32_e32 v3, v1
	v_and_b32_e32 v12, -4, v10
	v_mov_b32_e32 v13, v11
	v_pk_mov_b32 v[4:5], v[2:3], v[2:3] op_sel:[0,1]
	s_mov_b64 s[36:37], 0
	v_mov_b32_e32 v17, 0x1000
	v_mov_b32_e32 v18, 0
	v_pk_mov_b32 v[14:15], v[12:13], v[12:13] op_sel:[0,1]
	v_pk_mov_b32 v[2:3], v[0:1], v[0:1] op_sel:[0,1]
.LBB59_58:                              ; =>This Inner Loop Header: Depth=1
	v_lshl_add_u32 v20, v4, 2, v17
	v_add_co_u32_e32 v4, vcc, 0x400, v4
	v_add_co_u32_e64 v14, s[2:3], -4, v14
	v_addc_co_u32_e32 v5, vcc, 0, v5, vcc
	v_addc_co_u32_e64 v15, s[2:3], -1, v15, s[2:3]
	v_lshl_add_u32 v19, v2, 2, v17
	v_add_co_u32_e32 v2, vcc, 0x400, v2
	v_cmp_eq_u64_e64 s[2:3], 0, v[14:15]
	s_or_b64 s[36:37], s[2:3], s[36:37]
	v_addc_co_u32_e32 v3, vcc, 0, v3, vcc
	ds_write_b32 v19, v18
	ds_write_b32 v20, v18
	ds_write_b32 v19, v18 offset:2048
	ds_write_b32 v20, v18 offset:2048
	s_andn2_b64 exec, exec, s[36:37]
	s_cbranch_execnz .LBB59_58
; %bb.59:
	s_or_b64 exec, exec, s[36:37]
	v_lshlrev_b64 v[2:3], 8, v[12:13]
	v_cmp_ne_u64_e32 vcc, v[10:11], v[12:13]
	v_or_b32_e32 v3, 0, v3
	v_or_b32_e32 v2, v2, v0
	s_orn2_b64 s[2:3], vcc, exec
.LBB59_60:
	s_or_b64 exec, exec, s[16:17]
	s_and_b64 exec, exec, s[2:3]
	s_cbranch_execz .LBB59_63
; %bb.61:
	v_mov_b32_e32 v4, 0x1000
	v_lshl_add_u32 v4, v2, 2, v4
	s_mov_b64 s[2:3], 0
	v_mov_b32_e32 v5, 0
.LBB59_62:                              ; =>This Inner Loop Header: Depth=1
	v_add_co_u32_e32 v2, vcc, 0x100, v2
	v_addc_co_u32_e32 v3, vcc, 0, v3, vcc
	v_cmp_le_i64_e32 vcc, s[6:7], v[2:3]
	ds_write_b32 v4, v5
	s_or_b64 s[2:3], vcc, s[2:3]
	v_add_u32_e32 v4, 0x400, v4
	s_andn2_b64 exec, exec, s[2:3]
	s_cbranch_execnz .LBB59_62
.LBB59_63:
	s_or_b64 exec, exec, s[4:5]
	s_sub_u32 s4, s22, s6
	v_pk_mov_b32 v[2:3], s[6:7], s[6:7] op_sel:[0,1]
	s_subb_u32 s5, s23, s7
	v_cmp_ge_i64_e32 vcc, s[22:23], v[2:3]
	s_and_b64 s[2:3], vcc, exec
	s_cselect_b32 s5, s5, 0
	s_cselect_b32 s4, s4, 0
	s_waitcnt lgkmcnt(0)
	s_barrier
	s_and_saveexec_b64 s[2:3], s[0:1]
	s_xor_b64 s[16:17], exec, s[2:3]
	s_cbranch_execz .LBB59_82
; %bb.64:
	s_lshl_b64 s[0:1], s[22:23], 3
	s_add_u32 s0, s12, s0
	s_addc_u32 s1, s13, s1
	s_load_dwordx2 s[0:1], s[0:1], 0x0
	s_waitcnt lgkmcnt(0)
	s_sub_u32 s36, s0, s8
	s_subb_u32 s37, s1, s9
	v_cmp_gt_i64_e32 vcc, s[36:37], v[0:1]
	s_and_saveexec_b64 s[38:39], vcc
	s_cbranch_execz .LBB59_81
; %bb.65:
	s_add_u32 s40, s22, -1
	s_addc_u32 s41, s23, -1
	s_add_u32 s2, s22, -2
	s_addc_u32 s3, s23, -1
	v_pk_mov_b32 v[2:3], s[20:21], s[20:21] op_sel:[0,1]
	s_cmp_lg_u64 s[2:3], s[20:21]
	v_cmp_gt_i64_e32 vcc, s[40:41], v[2:3]
	s_cselect_b64 s[2:3], -1, 0
	s_and_b64 s[2:3], vcc, s[2:3]
	s_sub_u32 s42, s0, s28
	v_cndmask_b32_e64 v2, 0, 1, s[2:3]
	s_subb_u32 s43, s1, 0
	s_mov_b64 s[44:45], 0
	v_cmp_ne_u32_e64 s[0:1], 1, v2
	v_mov_b32_e32 v12, s13
	v_mov_b32_e32 v13, s29
	;; [unrolled: 1-line block ×4, first 2 shown]
	s_mov_b64 s[46:47], 0
	s_branch .LBB59_68
.LBB59_66:                              ;   in Loop: Header=BB59_68 Depth=1
	s_or_b64 exec, exec, s[2:3]
.LBB59_67:                              ;   in Loop: Header=BB59_68 Depth=1
	s_or_b64 exec, exec, s[48:49]
	v_mov_b32_e32 v4, s19
	v_add_co_u32_e32 v2, vcc, s18, v2
	v_addc_co_u32_e32 v3, vcc, v4, v3, vcc
	global_load_sbyte v2, v[2:3], off
	s_add_u32 s46, s46, 0x100
	s_addc_u32 s47, s47, 0
	v_mov_b32_e32 v3, s47
	v_lshlrev_b32_e32 v4, 2, v17
	s_waitcnt vmcnt(0)
	v_cvt_f32_i32_e32 v5, v2
	v_add_co_u32_e32 v2, vcc, s46, v0
	v_addc_co_u32_e32 v3, vcc, 0, v3, vcc
	v_cmp_le_i64_e32 vcc, s[36:37], v[2:3]
	s_waitcnt lgkmcnt(0)
	v_mul_f32_e32 v2, v10, v5
	s_or_b64 s[44:45], vcc, s[44:45]
	ds_write_b32 v4, v2
	s_andn2_b64 exec, exec, s[44:45]
	s_cbranch_execz .LBB59_81
.LBB59_68:                              ; =>This Loop Header: Depth=1
                                        ;     Child Loop BB59_70 Depth 2
                                        ;     Child Loop BB59_77 Depth 2
	v_mov_b32_e32 v2, s47
	v_add_co_u32_e32 v4, vcc, s46, v6
	v_addc_co_u32_e32 v5, vcc, v2, v7, vcc
	s_and_b64 vcc, exec, s[0:1]
	v_pk_mov_b32 v[8:9], s[20:21], s[20:21] op_sel:[0,1]
	v_pk_mov_b32 v[10:11], s[40:41], s[40:41] op_sel:[0,1]
	s_cbranch_vccnz .LBB59_72
; %bb.69:                               ;   in Loop: Header=BB59_68 Depth=1
	s_mov_b64 s[48:49], 0
	v_pk_mov_b32 v[8:9], s[20:21], s[20:21] op_sel:[0,1]
	v_pk_mov_b32 v[10:11], s[40:41], s[40:41] op_sel:[0,1]
.LBB59_70:                              ;   Parent Loop BB59_68 Depth=1
                                        ; =>  This Inner Loop Header: Depth=2
	v_add_co_u32_e32 v2, vcc, v10, v8
	v_addc_co_u32_e32 v3, vcc, v11, v9, vcc
	v_lshrrev_b32_e32 v18, 31, v3
	v_add_co_u32_e32 v2, vcc, v2, v18
	v_addc_co_u32_e32 v3, vcc, 0, v3, vcc
	v_ashrrev_i64 v[2:3], 1, v[2:3]
	v_lshlrev_b64 v[18:19], 3, v[2:3]
	v_mov_b32_e32 v17, s13
	v_add_co_u32_e32 v18, vcc, s12, v18
	v_addc_co_u32_e32 v19, vcc, v17, v19, vcc
	global_load_dwordx2 v[18:19], v[18:19], off
	v_mov_b32_e32 v17, s29
	s_waitcnt vmcnt(0)
	v_subrev_co_u32_e32 v18, vcc, s28, v18
	v_subb_co_u32_e32 v19, vcc, v19, v17, vcc
	v_cmp_gt_i64_e32 vcc, v[18:19], v[4:5]
	v_cndmask_b32_e32 v10, v10, v2, vcc
	v_cndmask_b32_e32 v11, v11, v3, vcc
	v_cndmask_b32_e32 v8, v2, v8, vcc
	v_add_co_u32_e64 v2, s[2:3], -1, v10
	v_cndmask_b32_e32 v9, v3, v9, vcc
	v_addc_co_u32_e64 v3, s[2:3], -1, v11, s[2:3]
	v_cmp_ge_i64_e32 vcc, v[8:9], v[10:11]
	v_cmp_eq_u64_e64 s[2:3], v[8:9], v[2:3]
	s_or_b64 s[2:3], vcc, s[2:3]
	s_and_b64 s[2:3], exec, s[2:3]
	s_or_b64 s[48:49], s[2:3], s[48:49]
	s_andn2_b64 exec, exec, s[48:49]
	s_cbranch_execnz .LBB59_70
; %bb.71:                               ;   in Loop: Header=BB59_68 Depth=1
	s_or_b64 exec, exec, s[48:49]
.LBB59_72:                              ;   in Loop: Header=BB59_68 Depth=1
	v_lshlrev_b64 v[2:3], 3, v[10:11]
	v_add_co_u32_e32 v2, vcc, s12, v2
	v_addc_co_u32_e32 v3, vcc, v12, v3, vcc
	v_lshlrev_b64 v[18:19], 2, v[4:5]
	global_load_dwordx2 v[2:3], v[2:3], off
	v_add_co_u32_e32 v18, vcc, s14, v18
	v_addc_co_u32_e32 v19, vcc, v14, v19, vcc
	global_load_dword v20, v[18:19], off
	v_add_co_u32_e32 v17, vcc, s46, v0
	v_cmp_le_i64_e32 vcc, s[42:43], v[4:5]
	s_waitcnt vmcnt(1)
	v_subrev_co_u32_e64 v18, s[2:3], s28, v2
	v_subb_co_u32_e64 v19, s[2:3], v3, v13, s[2:3]
	v_cmp_gt_i64_e64 s[2:3], v[18:19], v[4:5]
	s_waitcnt vmcnt(0)
	v_subrev_u32_e32 v2, s28, v20
	v_cndmask_b32_e64 v5, v11, v9, s[2:3]
	v_ashrrev_i32_e32 v3, 31, v2
	v_cndmask_b32_e64 v4, v10, v8, s[2:3]
	v_cmp_eq_u64_e64 s[2:3], v[4:5], v[2:3]
	s_or_b64 s[2:3], s[2:3], vcc
	v_lshlrev_b32_e32 v8, 2, v17
                                        ; implicit-def: $vgpr10
	s_and_saveexec_b64 s[48:49], s[2:3]
	s_xor_b64 s[2:3], exec, s[48:49]
	s_cbranch_execz .LBB59_74
; %bb.73:                               ;   in Loop: Header=BB59_68 Depth=1
	ds_read_b32 v10, v8
                                        ; implicit-def: $vgpr8
                                        ; implicit-def: $vgpr4_vgpr5
.LBB59_74:                              ;   in Loop: Header=BB59_68 Depth=1
	s_andn2_saveexec_b64 s[48:49], s[2:3]
	s_cbranch_execz .LBB59_67
; %bb.75:                               ;   in Loop: Header=BB59_68 Depth=1
	v_cmp_gt_i64_e32 vcc, s[4:5], v[2:3]
	v_cmp_le_i64_e64 s[2:3], s[22:23], v[2:3]
	s_or_b64 s[2:3], vcc, s[2:3]
                                        ; implicit-def: $vgpr10
	s_and_saveexec_b64 s[50:51], s[2:3]
	s_xor_b64 s[2:3], exec, s[50:51]
	s_cbranch_execz .LBB59_79
; %bb.76:                               ;   in Loop: Header=BB59_68 Depth=1
	v_mov_b32_e32 v9, s19
	v_add_co_u32_e32 v4, vcc, s18, v4
	v_addc_co_u32_e32 v5, vcc, v9, v5, vcc
	global_load_sbyte v18, v[4:5], off
	s_waitcnt lgkmcnt(0)
	v_lshlrev_b64 v[10:11], 2, v[2:3]
	v_mov_b32_e32 v5, s25
	v_add_co_u32_e32 v4, vcc, s24, v10
	v_addc_co_u32_e32 v5, vcc, v5, v11, vcc
	global_load_dword v9, v[4:5], off
	ds_read_b32 v10, v8
	s_mov_b64 s[50:51], 0
	s_waitcnt vmcnt(1)
	v_cvt_f32_i32_e32 v8, v18
	s_waitcnt lgkmcnt(0)
	v_mul_f32_e32 v11, v10, v8
.LBB59_77:                              ;   Parent Loop BB59_68 Depth=1
                                        ; =>  This Inner Loop Header: Depth=2
	s_waitcnt vmcnt(0)
	v_add_f32_e32 v8, v9, v11
	global_atomic_cmpswap v8, v[4:5], v[8:9], off glc
	s_waitcnt vmcnt(0)
	v_cmp_eq_u32_e32 vcc, v8, v9
	s_or_b64 s[50:51], vcc, s[50:51]
	v_mov_b32_e32 v9, v8
	s_andn2_b64 exec, exec, s[50:51]
	s_cbranch_execnz .LBB59_77
; %bb.78:                               ;   in Loop: Header=BB59_68 Depth=1
	s_or_b64 exec, exec, s[50:51]
                                        ; implicit-def: $vgpr8
                                        ; implicit-def: $vgpr4_vgpr5
.LBB59_79:                              ;   in Loop: Header=BB59_68 Depth=1
	s_andn2_saveexec_b64 s[2:3], s[2:3]
	s_cbranch_execz .LBB59_66
; %bb.80:                               ;   in Loop: Header=BB59_68 Depth=1
	v_mov_b32_e32 v9, s19
	v_add_co_u32_e32 v4, vcc, s18, v4
	v_addc_co_u32_e32 v5, vcc, v9, v5, vcc
	global_load_sbyte v4, v[4:5], off
	s_waitcnt lgkmcnt(0)
	ds_read_b32 v10, v8
	v_subrev_u32_e32 v5, s4, v2
	v_lshl_add_u32 v5, v5, 2, v15
	s_waitcnt vmcnt(0)
	v_cvt_f32_i32_e32 v4, v4
	s_waitcnt lgkmcnt(0)
	v_mul_f32_e32 v4, v10, v4
	ds_add_f32 v5, v4
	s_branch .LBB59_66
.LBB59_81:
	s_or_b64 exec, exec, s[38:39]
                                        ; implicit-def: $vgpr8_vgpr9
                                        ; implicit-def: $vgpr6
.LBB59_82:
	s_andn2_saveexec_b64 s[16:17], s[16:17]
	s_cbranch_execz .LBB59_132
; %bb.83:
	s_add_u32 s36, s22, -1
	s_addc_u32 s37, s23, -1
	s_add_u32 s0, s22, -2
	s_addc_u32 s1, s23, -1
	v_pk_mov_b32 v[4:5], s[20:21], s[20:21] op_sel:[0,1]
	s_cmp_eq_u64 s[0:1], s[20:21]
	v_cmp_le_i64_e32 vcc, s[36:37], v[4:5]
	s_cselect_b64 s[0:1], -1, 0
	s_or_b64 s[2:3], vcc, s[0:1]
	s_and_b64 vcc, exec, s[2:3]
	v_pk_mov_b32 v[12:13], s[36:37], s[36:37] op_sel:[0,1]
	s_cbranch_vccnz .LBB59_87
; %bb.84:
	s_mov_b64 s[38:39], 0
	v_pk_mov_b32 v[4:5], s[20:21], s[20:21] op_sel:[0,1]
	v_pk_mov_b32 v[12:13], s[36:37], s[36:37] op_sel:[0,1]
	v_mov_b32_e32 v2, s13
	v_mov_b32_e32 v3, s29
.LBB59_85:                              ; =>This Inner Loop Header: Depth=1
	v_add_co_u32_e32 v10, vcc, v12, v4
	v_addc_co_u32_e32 v11, vcc, v13, v5, vcc
	v_lshrrev_b32_e32 v14, 31, v11
	v_add_co_u32_e32 v10, vcc, v10, v14
	v_addc_co_u32_e32 v11, vcc, 0, v11, vcc
	v_ashrrev_i64 v[10:11], 1, v[10:11]
	v_lshlrev_b64 v[14:15], 3, v[10:11]
	v_add_co_u32_e32 v14, vcc, s12, v14
	v_addc_co_u32_e32 v15, vcc, v2, v15, vcc
	global_load_dwordx2 v[14:15], v[14:15], off
	s_waitcnt vmcnt(0)
	v_subrev_co_u32_e32 v14, vcc, s28, v14
	v_subb_co_u32_e32 v15, vcc, v15, v3, vcc
	v_cmp_gt_i64_e32 vcc, v[14:15], v[6:7]
	v_cndmask_b32_e32 v12, v12, v10, vcc
	v_cndmask_b32_e32 v13, v13, v11, vcc
	;; [unrolled: 1-line block ×3, first 2 shown]
	v_add_co_u32_e64 v10, s[0:1], -1, v12
	v_cndmask_b32_e32 v5, v11, v5, vcc
	v_addc_co_u32_e64 v11, s[0:1], -1, v13, s[0:1]
	v_cmp_ge_i64_e32 vcc, v[4:5], v[12:13]
	v_cmp_eq_u64_e64 s[0:1], v[4:5], v[10:11]
	s_or_b64 s[0:1], vcc, s[0:1]
	s_and_b64 s[0:1], exec, s[0:1]
	s_or_b64 s[38:39], s[0:1], s[38:39]
	s_andn2_b64 exec, exec, s[38:39]
	s_cbranch_execnz .LBB59_85
; %bb.86:
	s_or_b64 exec, exec, s[38:39]
.LBB59_87:
	v_lshlrev_b64 v[2:3], 3, v[12:13]
	v_mov_b32_e32 v10, s13
	v_add_co_u32_e32 v2, vcc, s12, v2
	v_addc_co_u32_e32 v3, vcc, v10, v3, vcc
	global_load_dwordx2 v[10:11], v[2:3], off
	v_lshlrev_b64 v[2:3], 2, v[6:7]
	v_mov_b32_e32 v14, s15
	v_add_co_u32_e32 v2, vcc, s14, v2
	v_addc_co_u32_e32 v3, vcc, v14, v3, vcc
	global_load_dword v17, v[2:3], off
	v_mov_b32_e32 v15, s29
	s_xor_b64 s[2:3], s[2:3], -1
	s_lshl_b64 s[0:1], s[22:23], 3
	s_add_u32 s14, s12, s0
	s_addc_u32 s15, s13, s1
	s_waitcnt vmcnt(1)
	v_subrev_co_u32_e32 v14, vcc, s28, v10
	v_subb_co_u32_e32 v15, vcc, v11, v15, vcc
	v_cmp_gt_i64_e32 vcc, v[14:15], v[6:7]
	v_cndmask_b32_e32 v5, v13, v5, vcc
	v_cndmask_b32_e32 v4, v12, v4, vcc
	s_waitcnt vmcnt(0)
	v_subrev_u32_e32 v10, s28, v17
	v_ashrrev_i32_e32 v11, 31, v10
	v_cmp_ne_u64_e32 vcc, v[4:5], v[10:11]
	s_and_saveexec_b64 s[38:39], vcc
	s_cbranch_execz .LBB59_95
; %bb.88:
	s_load_dwordx2 s[0:1], s[14:15], 0x0
	s_waitcnt lgkmcnt(0)
	s_sub_u32 s0, s0, s28
	s_subb_u32 s1, s1, 0
	v_cmp_gt_i64_e32 vcc, s[0:1], v[6:7]
	s_and_b64 exec, exec, vcc
	s_cbranch_execz .LBB59_95
; %bb.89:
	v_cmp_gt_i64_e32 vcc, s[4:5], v[10:11]
	v_cmp_le_i64_e64 s[0:1], s[22:23], v[10:11]
	s_or_b64 s[0:1], vcc, s[0:1]
	s_and_saveexec_b64 s[40:41], s[0:1]
	s_xor_b64 s[0:1], exec, s[40:41]
	s_cbranch_execz .LBB59_93
; %bb.90:
	v_mov_b32_e32 v14, s19
	v_add_co_u32_e32 v4, vcc, s18, v4
	v_addc_co_u32_e32 v5, vcc, v14, v5, vcc
	global_load_sbyte v14, v[4:5], off
	v_lshlrev_b64 v[12:13], 2, v[10:11]
	v_mov_b32_e32 v5, s25
	v_add_co_u32_e32 v4, vcc, s24, v12
	v_addc_co_u32_e32 v5, vcc, v5, v13, vcc
	global_load_dword v13, v[4:5], off
	ds_read_b32 v12, v16
	s_mov_b64 s[40:41], 0
	s_waitcnt vmcnt(1)
	v_cvt_f32_i32_e32 v14, v14
	s_waitcnt lgkmcnt(0)
	v_mul_f32_e32 v14, v12, v14
.LBB59_91:                              ; =>This Inner Loop Header: Depth=1
	s_waitcnt vmcnt(0)
	v_add_f32_e32 v12, v13, v14
	global_atomic_cmpswap v12, v[4:5], v[12:13], off glc
	s_waitcnt vmcnt(0)
	v_cmp_eq_u32_e32 vcc, v12, v13
	s_or_b64 s[40:41], vcc, s[40:41]
	v_mov_b32_e32 v13, v12
	s_andn2_b64 exec, exec, s[40:41]
	s_cbranch_execnz .LBB59_91
; %bb.92:
	s_or_b64 exec, exec, s[40:41]
                                        ; implicit-def: $vgpr4_vgpr5
.LBB59_93:
	s_andn2_saveexec_b64 s[0:1], s[0:1]
	s_cbranch_execz .LBB59_95
; %bb.94:
	v_mov_b32_e32 v12, s19
	v_add_co_u32_e32 v4, vcc, s18, v4
	v_addc_co_u32_e32 v5, vcc, v12, v5, vcc
	global_load_sbyte v4, v[4:5], off
	ds_read_b32 v5, v16
	v_subrev_u32_e32 v12, s4, v10
	v_mov_b32_e32 v13, 0x1000
	v_lshl_add_u32 v12, v12, 2, v13
	s_waitcnt vmcnt(0)
	v_cvt_f32_i32_e32 v4, v4
	s_waitcnt lgkmcnt(0)
	v_mul_f32_e32 v4, v5, v4
	ds_add_f32 v12, v4
.LBB59_95:
	s_or_b64 exec, exec, s[38:39]
	v_mov_b32_e32 v5, s19
	v_add_co_u32_e32 v4, vcc, s18, v10
	v_addc_co_u32_e32 v5, vcc, v5, v11, vcc
	global_load_sbyte v5, v[4:5], off
	ds_read_b32 v10, v16
	v_add_co_u32_e32 v4, vcc, 0x100, v6
	v_cndmask_b32_e64 v11, 0, 1, s[2:3]
	v_pk_mov_b32 v[12:13], s[20:21], s[20:21] op_sel:[0,1]
	v_cmp_ne_u32_e64 s[0:1], 1, v11
	s_waitcnt vmcnt(0)
	v_cvt_f32_i32_e32 v14, v5
	v_addc_co_u32_e32 v5, vcc, 0, v7, vcc
	s_andn2_b64 vcc, exec, s[2:3]
	s_waitcnt lgkmcnt(0)
	v_mul_f32_e32 v10, v10, v14
	v_pk_mov_b32 v[14:15], s[36:37], s[36:37] op_sel:[0,1]
	ds_write_b32 v16, v10
	s_cbranch_vccnz .LBB59_99
; %bb.96:
	s_mov_b64 s[38:39], 0
	v_pk_mov_b32 v[12:13], s[20:21], s[20:21] op_sel:[0,1]
	v_pk_mov_b32 v[14:15], s[36:37], s[36:37] op_sel:[0,1]
	v_mov_b32_e32 v10, s13
	v_mov_b32_e32 v11, s29
.LBB59_97:                              ; =>This Inner Loop Header: Depth=1
	v_add_co_u32_e32 v17, vcc, v14, v12
	v_addc_co_u32_e32 v19, vcc, v15, v13, vcc
	v_lshrrev_b32_e32 v18, 31, v19
	v_add_co_u32_e32 v18, vcc, v17, v18
	v_addc_co_u32_e32 v19, vcc, 0, v19, vcc
	v_ashrrev_i64 v[18:19], 1, v[18:19]
	v_lshlrev_b64 v[20:21], 3, v[18:19]
	v_add_co_u32_e32 v20, vcc, s12, v20
	v_addc_co_u32_e32 v21, vcc, v10, v21, vcc
	global_load_dwordx2 v[20:21], v[20:21], off
	s_waitcnt vmcnt(0)
	v_subrev_co_u32_e32 v20, vcc, s28, v20
	v_subb_co_u32_e32 v21, vcc, v21, v11, vcc
	v_cmp_gt_i64_e32 vcc, v[20:21], v[4:5]
	v_cndmask_b32_e32 v14, v14, v18, vcc
	v_cndmask_b32_e32 v15, v15, v19, vcc
	;; [unrolled: 1-line block ×3, first 2 shown]
	v_add_co_u32_e64 v18, s[2:3], -1, v14
	v_cndmask_b32_e32 v13, v19, v13, vcc
	v_addc_co_u32_e64 v19, s[2:3], -1, v15, s[2:3]
	v_cmp_ge_i64_e32 vcc, v[12:13], v[14:15]
	v_cmp_eq_u64_e64 s[2:3], v[12:13], v[18:19]
	s_or_b64 s[2:3], vcc, s[2:3]
	s_and_b64 s[2:3], exec, s[2:3]
	s_or_b64 s[38:39], s[2:3], s[38:39]
	s_andn2_b64 exec, exec, s[38:39]
	s_cbranch_execnz .LBB59_97
; %bb.98:
	s_or_b64 exec, exec, s[38:39]
.LBB59_99:
	v_lshlrev_b64 v[10:11], 3, v[14:15]
	v_mov_b32_e32 v17, s13
	v_add_co_u32_e32 v10, vcc, s12, v10
	v_addc_co_u32_e32 v11, vcc, v17, v11, vcc
	global_load_dwordx2 v[18:19], v[10:11], off
	global_load_dword v20, v[2:3], off offset:1024
	v_mov_b32_e32 v11, s29
	s_waitcnt vmcnt(1)
	v_subrev_co_u32_e32 v18, vcc, s28, v18
	v_subb_co_u32_e32 v19, vcc, v19, v11, vcc
	s_waitcnt vmcnt(0)
	v_subrev_u32_e32 v10, s28, v20
	v_cmp_gt_i64_e32 vcc, v[18:19], v[4:5]
	v_cndmask_b32_e32 v13, v15, v13, vcc
	v_cndmask_b32_e32 v12, v14, v12, vcc
	v_ashrrev_i32_e32 v11, 31, v10
	v_cmp_ne_u64_e32 vcc, v[12:13], v[10:11]
	s_and_saveexec_b64 s[38:39], vcc
	s_cbranch_execz .LBB59_107
; %bb.100:
	s_load_dwordx2 s[2:3], s[14:15], 0x0
	s_waitcnt lgkmcnt(0)
	s_sub_u32 s2, s2, s28
	s_subb_u32 s3, s3, 0
	v_cmp_gt_i64_e32 vcc, s[2:3], v[4:5]
	s_and_b64 exec, exec, vcc
	s_cbranch_execz .LBB59_107
; %bb.101:
	v_cmp_gt_i64_e32 vcc, s[4:5], v[10:11]
	v_cmp_le_i64_e64 s[2:3], s[22:23], v[10:11]
	s_or_b64 s[2:3], vcc, s[2:3]
	s_and_saveexec_b64 s[40:41], s[2:3]
	s_xor_b64 s[2:3], exec, s[40:41]
	s_cbranch_execz .LBB59_105
; %bb.102:
	v_mov_b32_e32 v14, s19
	v_add_co_u32_e32 v12, vcc, s18, v12
	v_addc_co_u32_e32 v13, vcc, v14, v13, vcc
	global_load_sbyte v12, v[12:13], off
	v_lshlrev_b64 v[4:5], 2, v[10:11]
	v_mov_b32_e32 v13, s25
	v_add_co_u32_e32 v4, vcc, s24, v4
	v_addc_co_u32_e32 v5, vcc, v13, v5, vcc
	global_load_dword v13, v[4:5], off
	ds_read_b32 v14, v16 offset:1024
	s_mov_b64 s[40:41], 0
	s_waitcnt vmcnt(1)
	v_cvt_f32_i32_e32 v12, v12
	s_waitcnt lgkmcnt(0)
	v_mul_f32_e32 v14, v14, v12
.LBB59_103:                             ; =>This Inner Loop Header: Depth=1
	s_waitcnt vmcnt(0)
	v_add_f32_e32 v12, v13, v14
	global_atomic_cmpswap v12, v[4:5], v[12:13], off glc
	s_waitcnt vmcnt(0)
	v_cmp_eq_u32_e32 vcc, v12, v13
	s_or_b64 s[40:41], vcc, s[40:41]
	v_mov_b32_e32 v13, v12
	s_andn2_b64 exec, exec, s[40:41]
	s_cbranch_execnz .LBB59_103
; %bb.104:
	s_or_b64 exec, exec, s[40:41]
                                        ; implicit-def: $vgpr12_vgpr13
.LBB59_105:
	s_andn2_saveexec_b64 s[2:3], s[2:3]
	s_cbranch_execz .LBB59_107
; %bb.106:
	v_mov_b32_e32 v5, s19
	v_add_co_u32_e32 v4, vcc, s18, v12
	v_addc_co_u32_e32 v5, vcc, v5, v13, vcc
	global_load_sbyte v4, v[4:5], off
	ds_read_b32 v5, v16 offset:1024
	v_subrev_u32_e32 v12, s4, v10
	v_mov_b32_e32 v13, 0x1000
	v_lshl_add_u32 v12, v12, 2, v13
	s_waitcnt vmcnt(0)
	v_cvt_f32_i32_e32 v4, v4
	s_waitcnt lgkmcnt(0)
	v_mul_f32_e32 v4, v5, v4
	ds_add_f32 v12, v4
.LBB59_107:
	s_or_b64 exec, exec, s[38:39]
	v_mov_b32_e32 v5, s19
	v_add_co_u32_e32 v4, vcc, s18, v10
	v_addc_co_u32_e32 v5, vcc, v5, v11, vcc
	global_load_sbyte v5, v[4:5], off
	ds_read_b32 v12, v16 offset:1024
	v_add_co_u32_e32 v4, vcc, 0x200, v6
	v_pk_mov_b32 v[10:11], s[20:21], s[20:21] op_sel:[0,1]
	s_waitcnt vmcnt(0)
	v_cvt_f32_i32_e32 v6, v5
	v_addc_co_u32_e32 v5, vcc, 0, v7, vcc
	s_and_b64 vcc, exec, s[0:1]
	s_waitcnt lgkmcnt(0)
	v_mul_f32_e32 v6, v12, v6
	v_pk_mov_b32 v[12:13], s[36:37], s[36:37] op_sel:[0,1]
	ds_write_b32 v16, v6 offset:1024
	s_cbranch_vccnz .LBB59_111
; %bb.108:
	s_mov_b64 s[38:39], 0
	v_pk_mov_b32 v[10:11], s[20:21], s[20:21] op_sel:[0,1]
	v_pk_mov_b32 v[12:13], s[36:37], s[36:37] op_sel:[0,1]
	v_mov_b32_e32 v6, s13
	v_mov_b32_e32 v7, s29
.LBB59_109:                             ; =>This Inner Loop Header: Depth=1
	v_add_co_u32_e32 v14, vcc, v12, v10
	v_addc_co_u32_e32 v15, vcc, v13, v11, vcc
	v_lshrrev_b32_e32 v17, 31, v15
	v_add_co_u32_e32 v14, vcc, v14, v17
	v_addc_co_u32_e32 v15, vcc, 0, v15, vcc
	v_ashrrev_i64 v[14:15], 1, v[14:15]
	v_lshlrev_b64 v[18:19], 3, v[14:15]
	v_add_co_u32_e32 v18, vcc, s12, v18
	v_addc_co_u32_e32 v19, vcc, v6, v19, vcc
	global_load_dwordx2 v[18:19], v[18:19], off
	s_waitcnt vmcnt(0)
	v_subrev_co_u32_e32 v18, vcc, s28, v18
	v_subb_co_u32_e32 v19, vcc, v19, v7, vcc
	v_cmp_gt_i64_e32 vcc, v[18:19], v[4:5]
	v_cndmask_b32_e32 v12, v12, v14, vcc
	v_cndmask_b32_e32 v13, v13, v15, vcc
	;; [unrolled: 1-line block ×3, first 2 shown]
	v_add_co_u32_e64 v14, s[2:3], -1, v12
	v_cndmask_b32_e32 v11, v15, v11, vcc
	v_addc_co_u32_e64 v15, s[2:3], -1, v13, s[2:3]
	v_cmp_ge_i64_e32 vcc, v[10:11], v[12:13]
	v_cmp_eq_u64_e64 s[2:3], v[10:11], v[14:15]
	s_or_b64 s[2:3], vcc, s[2:3]
	s_and_b64 s[2:3], exec, s[2:3]
	s_or_b64 s[38:39], s[2:3], s[38:39]
	s_andn2_b64 exec, exec, s[38:39]
	s_cbranch_execnz .LBB59_109
; %bb.110:
	s_or_b64 exec, exec, s[38:39]
.LBB59_111:
	v_lshlrev_b64 v[6:7], 3, v[12:13]
	v_mov_b32_e32 v14, s13
	v_add_co_u32_e32 v6, vcc, s12, v6
	v_addc_co_u32_e32 v7, vcc, v14, v7, vcc
	global_load_dwordx2 v[14:15], v[6:7], off
	global_load_dword v17, v[2:3], off offset:2048
	v_mov_b32_e32 v7, s29
	s_waitcnt vmcnt(1)
	v_subrev_co_u32_e32 v14, vcc, s28, v14
	v_subb_co_u32_e32 v15, vcc, v15, v7, vcc
	s_waitcnt vmcnt(0)
	v_subrev_u32_e32 v6, s28, v17
	v_cmp_gt_i64_e32 vcc, v[14:15], v[4:5]
	v_cndmask_b32_e32 v11, v13, v11, vcc
	v_cndmask_b32_e32 v10, v12, v10, vcc
	v_ashrrev_i32_e32 v7, 31, v6
	v_cmp_ne_u64_e32 vcc, v[10:11], v[6:7]
	s_and_saveexec_b64 s[38:39], vcc
	s_cbranch_execz .LBB59_119
; %bb.112:
	s_load_dwordx2 s[2:3], s[14:15], 0x0
	s_waitcnt lgkmcnt(0)
	s_sub_u32 s2, s2, s28
	s_subb_u32 s3, s3, 0
	v_cmp_gt_i64_e32 vcc, s[2:3], v[4:5]
	s_and_b64 exec, exec, vcc
	s_cbranch_execz .LBB59_119
; %bb.113:
	v_cmp_gt_i64_e32 vcc, s[4:5], v[6:7]
	v_cmp_le_i64_e64 s[2:3], s[22:23], v[6:7]
	s_or_b64 s[2:3], vcc, s[2:3]
	s_and_saveexec_b64 s[40:41], s[2:3]
	s_xor_b64 s[2:3], exec, s[40:41]
	s_cbranch_execz .LBB59_117
; %bb.114:
	v_mov_b32_e32 v12, s19
	v_add_co_u32_e32 v10, vcc, s18, v10
	v_addc_co_u32_e32 v11, vcc, v12, v11, vcc
	global_load_sbyte v10, v[10:11], off
	v_lshlrev_b64 v[4:5], 2, v[6:7]
	v_mov_b32_e32 v11, s25
	v_add_co_u32_e32 v4, vcc, s24, v4
	v_addc_co_u32_e32 v5, vcc, v11, v5, vcc
	global_load_dword v11, v[4:5], off
	ds_read_b32 v12, v16 offset:2048
	s_mov_b64 s[40:41], 0
	s_waitcnt vmcnt(1)
	v_cvt_f32_i32_e32 v10, v10
	s_waitcnt lgkmcnt(0)
	v_mul_f32_e32 v12, v12, v10
.LBB59_115:                             ; =>This Inner Loop Header: Depth=1
	s_waitcnt vmcnt(0)
	v_add_f32_e32 v10, v11, v12
	global_atomic_cmpswap v10, v[4:5], v[10:11], off glc
	s_waitcnt vmcnt(0)
	v_cmp_eq_u32_e32 vcc, v10, v11
	s_or_b64 s[40:41], vcc, s[40:41]
	v_mov_b32_e32 v11, v10
	s_andn2_b64 exec, exec, s[40:41]
	s_cbranch_execnz .LBB59_115
; %bb.116:
	s_or_b64 exec, exec, s[40:41]
                                        ; implicit-def: $vgpr10_vgpr11
.LBB59_117:
	s_andn2_saveexec_b64 s[2:3], s[2:3]
	s_cbranch_execz .LBB59_119
; %bb.118:
	v_mov_b32_e32 v5, s19
	v_add_co_u32_e32 v4, vcc, s18, v10
	v_addc_co_u32_e32 v5, vcc, v5, v11, vcc
	global_load_sbyte v4, v[4:5], off
	ds_read_b32 v5, v16 offset:2048
	v_subrev_u32_e32 v10, s4, v6
	v_mov_b32_e32 v11, 0x1000
	v_lshl_add_u32 v10, v10, 2, v11
	s_waitcnt vmcnt(0)
	v_cvt_f32_i32_e32 v4, v4
	s_waitcnt lgkmcnt(0)
	v_mul_f32_e32 v4, v5, v4
	ds_add_f32 v10, v4
.LBB59_119:
	s_or_b64 exec, exec, s[38:39]
	v_mov_b32_e32 v5, s19
	v_add_co_u32_e32 v4, vcc, s18, v6
	v_addc_co_u32_e32 v5, vcc, v5, v7, vcc
	global_load_sbyte v4, v[4:5], off
	ds_read_b32 v6, v16 offset:2048
	s_and_b64 vcc, exec, s[0:1]
	s_waitcnt vmcnt(0)
	v_cvt_f32_i32_e32 v7, v4
	v_pk_mov_b32 v[4:5], s[20:21], s[20:21] op_sel:[0,1]
	s_waitcnt lgkmcnt(0)
	v_mul_f32_e32 v6, v6, v7
	ds_write_b32 v16, v6 offset:2048
	v_pk_mov_b32 v[6:7], s[36:37], s[36:37] op_sel:[0,1]
	s_cbranch_vccnz .LBB59_123
; %bb.120:
	s_mov_b64 s[2:3], 0
	v_pk_mov_b32 v[4:5], s[20:21], s[20:21] op_sel:[0,1]
	v_pk_mov_b32 v[6:7], s[36:37], s[36:37] op_sel:[0,1]
	v_mov_b32_e32 v10, s13
	v_mov_b32_e32 v11, s29
.LBB59_121:                             ; =>This Inner Loop Header: Depth=1
	v_add_co_u32_e32 v12, vcc, v6, v4
	v_addc_co_u32_e32 v13, vcc, v7, v5, vcc
	v_lshrrev_b32_e32 v14, 31, v13
	v_add_co_u32_e32 v12, vcc, v12, v14
	v_addc_co_u32_e32 v13, vcc, 0, v13, vcc
	v_ashrrev_i64 v[12:13], 1, v[12:13]
	v_lshlrev_b64 v[14:15], 3, v[12:13]
	v_add_co_u32_e32 v14, vcc, s12, v14
	v_addc_co_u32_e32 v15, vcc, v10, v15, vcc
	global_load_dwordx2 v[14:15], v[14:15], off
	s_waitcnt vmcnt(0)
	v_subrev_co_u32_e32 v14, vcc, s28, v14
	v_subb_co_u32_e32 v15, vcc, v15, v11, vcc
	v_cmp_gt_i64_e32 vcc, v[14:15], v[8:9]
	v_cndmask_b32_e32 v6, v6, v12, vcc
	v_cndmask_b32_e32 v7, v7, v13, vcc
	;; [unrolled: 1-line block ×3, first 2 shown]
	v_add_co_u32_e64 v12, s[0:1], -1, v6
	v_cndmask_b32_e32 v5, v13, v5, vcc
	v_addc_co_u32_e64 v13, s[0:1], -1, v7, s[0:1]
	v_cmp_ge_i64_e32 vcc, v[4:5], v[6:7]
	v_cmp_eq_u64_e64 s[0:1], v[4:5], v[12:13]
	s_or_b64 s[0:1], vcc, s[0:1]
	s_and_b64 s[0:1], exec, s[0:1]
	s_or_b64 s[2:3], s[0:1], s[2:3]
	s_andn2_b64 exec, exec, s[2:3]
	s_cbranch_execnz .LBB59_121
; %bb.122:
	s_or_b64 exec, exec, s[2:3]
.LBB59_123:
	v_lshlrev_b64 v[10:11], 3, v[6:7]
	v_mov_b32_e32 v12, s13
	global_load_dword v13, v[2:3], off offset:3072
	v_add_co_u32_e32 v2, vcc, s12, v10
	v_addc_co_u32_e32 v3, vcc, v12, v11, vcc
	global_load_dwordx2 v[10:11], v[2:3], off
	v_mov_b32_e32 v3, s29
	s_waitcnt vmcnt(1)
	v_subrev_u32_e32 v2, s28, v13
	s_waitcnt vmcnt(0)
	v_subrev_co_u32_e32 v10, vcc, s28, v10
	v_subb_co_u32_e32 v11, vcc, v11, v3, vcc
	v_cmp_gt_i64_e32 vcc, v[10:11], v[8:9]
	v_cndmask_b32_e32 v5, v7, v5, vcc
	v_cndmask_b32_e32 v4, v6, v4, vcc
	v_ashrrev_i32_e32 v3, 31, v2
	v_cmp_ne_u64_e32 vcc, v[4:5], v[2:3]
	s_and_saveexec_b64 s[2:3], vcc
	s_cbranch_execz .LBB59_131
; %bb.124:
	s_load_dwordx2 s[0:1], s[14:15], 0x0
	s_waitcnt lgkmcnt(0)
	s_sub_u32 s0, s0, s28
	s_subb_u32 s1, s1, 0
	v_cmp_gt_i64_e32 vcc, s[0:1], v[8:9]
	s_and_b64 exec, exec, vcc
	s_cbranch_execz .LBB59_131
; %bb.125:
	v_cmp_gt_i64_e32 vcc, s[4:5], v[2:3]
	v_cmp_le_i64_e64 s[0:1], s[22:23], v[2:3]
	s_or_b64 s[0:1], vcc, s[0:1]
	s_and_saveexec_b64 s[14:15], s[0:1]
	s_xor_b64 s[0:1], exec, s[14:15]
	s_cbranch_execz .LBB59_129
; %bb.126:
	v_mov_b32_e32 v8, s19
	v_add_co_u32_e32 v4, vcc, s18, v4
	v_addc_co_u32_e32 v5, vcc, v8, v5, vcc
	global_load_sbyte v8, v[4:5], off
	v_lshlrev_b64 v[6:7], 2, v[2:3]
	v_mov_b32_e32 v5, s25
	v_add_co_u32_e32 v4, vcc, s24, v6
	v_addc_co_u32_e32 v5, vcc, v5, v7, vcc
	global_load_dword v7, v[4:5], off
	ds_read_b32 v6, v16 offset:3072
	s_mov_b64 s[14:15], 0
	s_waitcnt vmcnt(1)
	v_cvt_f32_i32_e32 v8, v8
	s_waitcnt lgkmcnt(0)
	v_mul_f32_e32 v8, v6, v8
.LBB59_127:                             ; =>This Inner Loop Header: Depth=1
	s_waitcnt vmcnt(0)
	v_add_f32_e32 v6, v7, v8
	global_atomic_cmpswap v6, v[4:5], v[6:7], off glc
	s_waitcnt vmcnt(0)
	v_cmp_eq_u32_e32 vcc, v6, v7
	s_or_b64 s[14:15], vcc, s[14:15]
	v_mov_b32_e32 v7, v6
	s_andn2_b64 exec, exec, s[14:15]
	s_cbranch_execnz .LBB59_127
; %bb.128:
	s_or_b64 exec, exec, s[14:15]
                                        ; implicit-def: $vgpr4_vgpr5
.LBB59_129:
	s_andn2_saveexec_b64 s[0:1], s[0:1]
	s_cbranch_execz .LBB59_131
; %bb.130:
	v_mov_b32_e32 v6, s19
	v_add_co_u32_e32 v4, vcc, s18, v4
	v_addc_co_u32_e32 v5, vcc, v6, v5, vcc
	global_load_sbyte v4, v[4:5], off
	ds_read_b32 v5, v16 offset:3072
	v_subrev_u32_e32 v6, s4, v2
	v_mov_b32_e32 v7, 0x1000
	v_lshl_add_u32 v6, v6, 2, v7
	s_waitcnt vmcnt(0)
	v_cvt_f32_i32_e32 v4, v4
	s_waitcnt lgkmcnt(0)
	v_mul_f32_e32 v4, v5, v4
	ds_add_f32 v6, v4
.LBB59_131:
	s_or_b64 exec, exec, s[2:3]
	v_mov_b32_e32 v4, s19
	v_add_co_u32_e32 v2, vcc, s18, v2
	v_addc_co_u32_e32 v3, vcc, v4, v3, vcc
	global_load_sbyte v2, v[2:3], off
	ds_read_b32 v3, v16 offset:3072
	s_waitcnt vmcnt(0)
	v_cvt_f32_i32_e32 v2, v2
	s_waitcnt lgkmcnt(0)
	v_mul_f32_e32 v2, v3, v2
	ds_write_b32 v16, v2 offset:3072
.LBB59_132:
	s_or_b64 exec, exec, s[16:17]
	v_pk_mov_b32 v[2:3], s[6:7], s[6:7] op_sel:[0,1]
	v_cmp_lt_i64_e32 vcc, s[22:23], v[2:3]
	s_and_b64 s[0:1], vcc, exec
	s_cselect_b32 s14, s22, s6
	s_cselect_b32 s0, s23, s7
	s_sub_u32 s2, s14, s26
	s_subb_u32 s3, s0, s27
	v_cmp_gt_i64_e32 vcc, s[2:3], v[0:1]
	s_waitcnt lgkmcnt(0)
	s_barrier
	s_and_saveexec_b64 s[0:1], vcc
	s_cbranch_execz .LBB59_137
; %bb.133:
	s_lshl_b64 s[4:5], s[4:5], 2
	s_add_u32 s15, s24, s4
	s_addc_u32 s6, s25, s5
	s_mov_b64 s[4:5], 0
	v_mov_b32_e32 v8, s6
	v_mov_b32_e32 v9, 0x1000
	v_pk_mov_b32 v[2:3], v[0:1], v[0:1] op_sel:[0,1]
.LBB59_134:                             ; =>This Loop Header: Depth=1
                                        ;     Child Loop BB59_135 Depth 2
	v_lshlrev_b64 v[4:5], 2, v[2:3]
	v_add_co_u32_e32 v4, vcc, s15, v4
	v_addc_co_u32_e32 v5, vcc, v8, v5, vcc
	global_load_dword v7, v[4:5], off
	v_lshl_add_u32 v6, v2, 2, v9
	ds_read_b32 v10, v6
	s_mov_b64 s[6:7], 0
.LBB59_135:                             ;   Parent Loop BB59_134 Depth=1
                                        ; =>  This Inner Loop Header: Depth=2
	s_waitcnt vmcnt(0) lgkmcnt(0)
	v_add_f32_e32 v6, v7, v10
	global_atomic_cmpswap v6, v[4:5], v[6:7], off glc
	s_waitcnt vmcnt(0)
	v_cmp_eq_u32_e32 vcc, v6, v7
	s_or_b64 s[6:7], vcc, s[6:7]
	v_mov_b32_e32 v7, v6
	s_andn2_b64 exec, exec, s[6:7]
	s_cbranch_execnz .LBB59_135
; %bb.136:                              ;   in Loop: Header=BB59_134 Depth=1
	s_or_b64 exec, exec, s[6:7]
	v_add_co_u32_e32 v2, vcc, 0x100, v2
	v_addc_co_u32_e32 v3, vcc, 0, v3, vcc
	v_cmp_le_i64_e32 vcc, s[2:3], v[2:3]
	s_or_b64 s[4:5], vcc, s[4:5]
	s_andn2_b64 exec, exec, s[4:5]
	s_cbranch_execnz .LBB59_134
.LBB59_137:
	s_or_b64 exec, exec, s[0:1]
	s_add_i32 s0, s34, -1
	s_ashr_i32 s1, s0, 1
	s_or_b32 s0, s1, s0
	s_ashr_i32 s1, s0, 2
	s_or_b32 s0, s1, s0
	;; [unrolled: 2-line block ×5, first 2 shown]
	s_add_i32 s3, s3, 1
	s_ashr_i32 s16, s3, 1
	v_mov_b32_e32 v2, s21
	v_add_co_u32_e32 v6, vcc, s20, v0
	v_addc_co_u32_e32 v7, vcc, 0, v2, vcc
	s_cmp_gt_i32 s16, 1
	s_mov_b64 s[0:1], -1
	s_barrier
	s_cbranch_scc1 .LBB59_148
; %bb.138:
	v_cmp_gt_i64_e32 vcc, s[22:23], v[6:7]
	s_and_saveexec_b64 s[0:1], vcc
	s_cbranch_execz .LBB59_147
; %bb.139:
	s_sub_i32 s4, s14, s22
	s_lshl_b32 s4, s4, 2
	s_add_i32 s17, s4, 0x1000
	s_lshl_b32 s4, s8, 2
	s_sub_i32 s18, 0, s4
	s_mov_b64 s[4:5], 0
	v_mov_b32_e32 v12, s13
	v_mov_b32_e32 v13, s25
	;; [unrolled: 1-line block ×3, first 2 shown]
	v_pk_mov_b32 v[8:9], v[6:7], v[6:7] op_sel:[0,1]
.LBB59_140:                             ; =>This Loop Header: Depth=1
                                        ;     Child Loop BB59_142 Depth 2
                                        ;     Child Loop BB59_145 Depth 2
	v_lshlrev_b64 v[2:3], 3, v[8:9]
	v_add_co_u32_e32 v2, vcc, s12, v2
	v_addc_co_u32_e32 v3, vcc, v12, v3, vcc
	global_load_dwordx4 v[2:5], v[2:3], off
	v_mov_b32_e32 v15, 0
	s_waitcnt vmcnt(0)
	v_cmp_lt_i64_e32 vcc, v[2:3], v[4:5]
	s_and_saveexec_b64 s[6:7], vcc
	s_cbranch_execz .LBB59_144
; %bb.141:                              ;   in Loop: Header=BB59_140 Depth=1
	v_mov_b32_e32 v11, s9
	v_subrev_co_u32_e32 v4, vcc, s8, v4
	v_subb_co_u32_e32 v5, vcc, v5, v11, vcc
	v_subrev_co_u32_e32 v10, vcc, s8, v2
	v_subb_co_u32_e32 v11, vcc, v3, v11, vcc
	v_lshl_add_u32 v2, v2, 2, s18
	s_mov_b64 s[14:15], 0
	v_mov_b32_e32 v15, 0
.LBB59_142:                             ;   Parent Loop BB59_140 Depth=1
                                        ; =>  This Inner Loop Header: Depth=2
	ds_read_b32 v3, v2
	v_add_co_u32_e32 v10, vcc, 1, v10
	v_addc_co_u32_e32 v11, vcc, 0, v11, vcc
	v_cmp_ge_i64_e32 vcc, v[10:11], v[4:5]
	v_add_u32_e32 v2, 4, v2
	s_or_b64 s[14:15], vcc, s[14:15]
	s_waitcnt lgkmcnt(0)
	v_add_f32_e32 v15, v15, v3
	s_andn2_b64 exec, exec, s[14:15]
	s_cbranch_execnz .LBB59_142
; %bb.143:                              ;   in Loop: Header=BB59_140 Depth=1
	s_or_b64 exec, exec, s[14:15]
.LBB59_144:                             ;   in Loop: Header=BB59_140 Depth=1
	s_or_b64 exec, exec, s[6:7]
	v_lshlrev_b64 v[2:3], 2, v[8:9]
	v_add_co_u32_e32 v2, vcc, s24, v2
	v_addc_co_u32_e32 v3, vcc, v13, v3, vcc
	global_load_dword v5, v[2:3], off
	v_lshl_add_u32 v4, v8, 2, s17
	ds_read_b32 v4, v4
	s_mov_b64 s[6:7], 0
	s_waitcnt lgkmcnt(0)
	v_add_f32_e32 v10, v15, v4
.LBB59_145:                             ;   Parent Loop BB59_140 Depth=1
                                        ; =>  This Inner Loop Header: Depth=2
	s_waitcnt vmcnt(0)
	v_add_f32_e32 v4, v5, v10
	global_atomic_cmpswap v4, v[2:3], v[4:5], off glc
	s_waitcnt vmcnt(0)
	v_cmp_eq_u32_e32 vcc, v4, v5
	s_or_b64 s[6:7], vcc, s[6:7]
	v_mov_b32_e32 v5, v4
	s_andn2_b64 exec, exec, s[6:7]
	s_cbranch_execnz .LBB59_145
; %bb.146:                              ;   in Loop: Header=BB59_140 Depth=1
	s_or_b64 exec, exec, s[6:7]
	v_add_co_u32_e32 v8, vcc, s30, v8
	v_addc_co_u32_e32 v9, vcc, v9, v14, vcc
	v_cmp_le_i64_e32 vcc, s[22:23], v[8:9]
	s_or_b64 s[4:5], vcc, s[4:5]
	s_andn2_b64 exec, exec, s[4:5]
	s_cbranch_execnz .LBB59_140
.LBB59_147:
	s_or_b64 exec, exec, s[0:1]
	s_mov_b64 s[0:1], 0
.LBB59_148:
	s_andn2_b64 vcc, exec, s[0:1]
	s_cbranch_vccnz .LBB59_177
; %bb.149:
	v_cvt_f32_u32_e32 v14, s16
	s_sub_i32 s6, 0, s16
	v_mov_b32_e32 v11, 0
	v_mov_b32_e32 v4, s11
	v_rcp_iflag_f32_e32 v2, v14
	v_mov_b32_e32 v12, s9
	v_mul_f32_e32 v2, 0x4f7ffffe, v2
	v_cvt_u32_f32_e32 v2, v2
	v_mul_lo_u32 v3, s6, v2
	v_mul_hi_u32 v3, v2, v3
	v_add_u32_e32 v2, v2, v3
	v_mul_hi_u32 v2, v0, v2
	v_mul_lo_u32 v3, v2, s16
	v_sub_u32_e32 v3, v0, v3
	v_add_u32_e32 v5, 1, v2
	v_cmp_le_u32_e32 vcc, s16, v3
	v_cndmask_b32_e32 v2, v2, v5, vcc
	v_subrev_u32_e32 v5, s16, v3
	v_cndmask_b32_e32 v3, v3, v5, vcc
	v_add_u32_e32 v5, 1, v2
	v_cmp_le_u32_e32 vcc, s16, v3
	v_cndmask_b32_e32 v10, v2, v5, vcc
	v_lshlrev_b64 v[2:3], 3, v[10:11]
	v_add_co_u32_e32 v2, vcc, s10, v2
	v_addc_co_u32_e32 v3, vcc, v4, v3, vcc
	global_load_dwordx4 v[2:5], v[2:3], off
	s_waitcnt vmcnt(0)
	v_subrev_co_u32_e32 v8, vcc, s8, v2
	v_subb_co_u32_e32 v9, vcc, v3, v12, vcc
	v_subrev_co_u32_e32 v17, vcc, s8, v4
	v_subb_co_u32_e32 v18, vcc, v5, v12, vcc
	v_sub_co_u32_e32 v3, vcc, v17, v8
	v_subb_co_u32_e32 v13, vcc, v18, v9, vcc
	v_mov_b32_e32 v12, v11
	v_cmp_ne_u64_e32 vcc, 0, v[12:13]
                                        ; implicit-def: $vgpr4_vgpr5
	s_and_saveexec_b64 s[0:1], vcc
	s_xor_b64 s[4:5], exec, s[0:1]
	s_cbranch_execz .LBB59_151
; %bb.150:
	v_cvt_f32_ubyte0_e32 v4, 0
	v_madmk_f32 v4, v4, 0x4f800000, v14
	v_rcp_f32_e32 v4, v4
	s_sub_u32 s0, 0, s16
	s_subb_u32 s1, 0, 0
	v_mul_f32_e32 v4, 0x5f7ffffc, v4
	v_mul_f32_e32 v5, 0x2f800000, v4
	v_trunc_f32_e32 v5, v5
	v_madmk_f32 v4, v5, 0xcf800000, v4
	v_cvt_u32_f32_e32 v5, v5
	v_cvt_u32_f32_e32 v4, v4
	v_mul_lo_u32 v12, s0, v5
	v_mul_hi_u32 v15, s0, v4
	v_mul_lo_u32 v14, s1, v4
	v_add_u32_e32 v12, v15, v12
	v_add_u32_e32 v12, v12, v14
	v_mul_lo_u32 v19, s0, v4
	v_mul_lo_u32 v15, v4, v12
	v_mul_hi_u32 v20, v4, v19
	v_mul_hi_u32 v14, v4, v12
	v_add_co_u32_e32 v15, vcc, v20, v15
	v_addc_co_u32_e32 v14, vcc, 0, v14, vcc
	v_mul_hi_u32 v21, v5, v19
	v_mul_lo_u32 v19, v5, v19
	v_add_co_u32_e32 v15, vcc, v15, v19
	v_mul_hi_u32 v20, v5, v12
	v_addc_co_u32_e32 v14, vcc, v14, v21, vcc
	v_addc_co_u32_e32 v15, vcc, 0, v20, vcc
	v_mul_lo_u32 v12, v5, v12
	v_add_co_u32_e32 v12, vcc, v14, v12
	v_addc_co_u32_e32 v14, vcc, 0, v15, vcc
	v_add_co_u32_e32 v4, vcc, v4, v12
	v_addc_co_u32_e32 v5, vcc, v5, v14, vcc
	v_mul_lo_u32 v12, s0, v5
	v_mul_hi_u32 v14, s0, v4
	v_add_u32_e32 v12, v14, v12
	v_mul_lo_u32 v14, s1, v4
	v_add_u32_e32 v12, v12, v14
	v_mul_lo_u32 v15, s0, v4
	v_mul_hi_u32 v19, v5, v15
	v_mul_lo_u32 v20, v5, v15
	v_mul_lo_u32 v22, v4, v12
	v_mul_hi_u32 v15, v4, v15
	v_mul_hi_u32 v21, v4, v12
	v_add_co_u32_e32 v15, vcc, v15, v22
	v_addc_co_u32_e32 v21, vcc, 0, v21, vcc
	v_add_co_u32_e32 v15, vcc, v15, v20
	v_mul_hi_u32 v14, v5, v12
	v_addc_co_u32_e32 v15, vcc, v21, v19, vcc
	v_addc_co_u32_e32 v14, vcc, 0, v14, vcc
	v_mul_lo_u32 v12, v5, v12
	v_add_co_u32_e32 v12, vcc, v15, v12
	v_addc_co_u32_e32 v14, vcc, 0, v14, vcc
	v_add_co_u32_e32 v12, vcc, v4, v12
	v_addc_co_u32_e32 v14, vcc, v5, v14, vcc
	v_ashrrev_i32_e32 v15, 31, v13
	v_add_co_u32_e32 v3, vcc, v3, v15
	v_addc_co_u32_e32 v4, vcc, v13, v15, vcc
	v_xor_b32_e32 v3, v3, v15
	v_xor_b32_e32 v19, v4, v15
	v_mad_u64_u32 v[4:5], s[0:1], v3, v14, 0
	v_mul_hi_u32 v13, v3, v12
	v_add_co_u32_e32 v20, vcc, v13, v4
	v_addc_co_u32_e32 v21, vcc, 0, v5, vcc
	v_mad_u64_u32 v[12:13], s[0:1], v19, v12, 0
	v_add_co_u32_e32 v12, vcc, v20, v12
	v_mad_u64_u32 v[4:5], s[0:1], v19, v14, 0
	v_addc_co_u32_e32 v12, vcc, v21, v13, vcc
	v_addc_co_u32_e32 v5, vcc, 0, v5, vcc
	v_add_co_u32_e32 v14, vcc, v12, v4
	v_addc_co_u32_e32 v20, vcc, 0, v5, vcc
	v_mad_u64_u32 v[4:5], s[0:1], s16, v14, 0
	v_mov_b32_e32 v12, v5
	v_mad_u64_u32 v[12:13], s[0:1], s16, v20, v[12:13]
	v_sub_co_u32_e32 v3, vcc, v3, v4
	v_subb_co_u32_e32 v4, vcc, v19, v12, vcc
	v_subrev_co_u32_e32 v5, vcc, s16, v3
	v_subbrev_co_u32_e32 v12, vcc, 0, v4, vcc
	v_cmp_le_u32_e32 vcc, s16, v5
	v_cndmask_b32_e64 v5, 0, -1, vcc
	v_cmp_eq_u32_e32 vcc, 0, v12
	v_cndmask_b32_e32 v5, -1, v5, vcc
	v_add_co_u32_e32 v12, vcc, 2, v14
	v_addc_co_u32_e32 v13, vcc, 0, v20, vcc
	v_add_co_u32_e32 v19, vcc, 1, v14
	v_cmp_le_u32_e64 s[0:1], s16, v3
	v_addc_co_u32_e32 v21, vcc, 0, v20, vcc
	v_cndmask_b32_e64 v3, 0, -1, s[0:1]
	v_cmp_eq_u32_e64 s[0:1], 0, v4
	v_cmp_ne_u32_e32 vcc, 0, v5
	v_cndmask_b32_e64 v3, -1, v3, s[0:1]
	v_cmp_ne_u32_e64 s[0:1], 0, v3
	v_cndmask_b32_e32 v4, v19, v12, vcc
	v_cndmask_b32_e32 v5, v21, v13, vcc
	v_cndmask_b32_e64 v4, v14, v4, s[0:1]
	v_cndmask_b32_e64 v3, v20, v5, s[0:1]
	v_xor_b32_e32 v4, v4, v15
	v_xor_b32_e32 v3, v3, v15
	v_sub_co_u32_e32 v4, vcc, v4, v15
	v_subb_co_u32_e32 v5, vcc, v3, v15, vcc
                                        ; implicit-def: $vgpr3
.LBB59_151:
	s_andn2_saveexec_b64 s[0:1], s[4:5]
	s_cbranch_execz .LBB59_153
; %bb.152:
	v_cvt_f32_u32_e32 v4, s16
	v_rcp_iflag_f32_e32 v4, v4
	v_mul_f32_e32 v4, 0x4f7ffffe, v4
	v_cvt_u32_f32_e32 v4, v4
	v_mul_lo_u32 v5, s6, v4
	v_mul_hi_u32 v5, v4, v5
	v_add_u32_e32 v4, v4, v5
	v_mul_hi_u32 v4, v3, v4
	v_mul_lo_u32 v5, v4, s16
	v_sub_u32_e32 v3, v3, v5
	v_add_u32_e32 v12, 1, v4
	v_subrev_u32_e32 v5, s16, v3
	v_cmp_le_u32_e32 vcc, s16, v3
	v_cndmask_b32_e32 v3, v3, v5, vcc
	v_cndmask_b32_e32 v4, v4, v12, vcc
	v_add_u32_e32 v5, 1, v4
	v_cmp_le_u32_e32 vcc, s16, v3
	v_cndmask_b32_e32 v4, v4, v5, vcc
	v_mov_b32_e32 v5, 0
.LBB59_153:
	s_or_b64 exec, exec, s[0:1]
	v_cmp_gt_i64_e32 vcc, s[26:27], v[10:11]
	v_mov_b32_e32 v19, 0
	s_and_saveexec_b64 s[0:1], vcc
	s_cbranch_execz .LBB59_167
; %bb.154:
	s_add_i32 s4, s16, -1
	v_and_b32_e32 v10, s4, v0
	v_cmp_lt_i64_e32 vcc, 0, v[4:5]
	v_mov_b32_e32 v19, 0
	s_and_saveexec_b64 s[4:5], vcc
	s_cbranch_execz .LBB59_164
; %bb.155:
	v_cmp_lt_u64_e32 vcc, 3, v[4:5]
	v_pk_mov_b32 v[12:13], 0, 0
	v_mov_b32_e32 v19, 0
	s_and_saveexec_b64 s[6:7], vcc
	s_cbranch_execz .LBB59_159
; %bb.156:
	s_lshl_b32 s10, s8, 2
	s_lshl_b32 s11, s16, 3
	;; [unrolled: 1-line block ×3, first 2 shown]
	v_lshlrev_b32_e32 v3, 2, v2
	s_sub_i32 s15, s11, s10
	s_mul_i32 s11, s16, 12
	v_and_b32_e32 v13, 0x7fffffff, v5
	v_and_b32_e32 v12, -4, v4
	s_sub_i32 s9, s9, s10
	v_lshl_add_u32 v3, v10, 2, v3
	s_lshl_b32 s14, s16, 4
	s_sub_i32 s17, s11, s10
	s_sub_i32 s18, 0, s10
	s_mov_b64 s[10:11], 0
	v_mov_b32_e32 v19, 0
	s_mov_b64 s[12:13], 0
.LBB59_157:                             ; =>This Inner Loop Header: Depth=1
	v_add_u32_e32 v11, s18, v3
	v_add_u32_e32 v14, s9, v3
	;; [unrolled: 1-line block ×4, first 2 shown]
	ds_read_b32 v11, v11
	ds_read_b32 v14, v14
	;; [unrolled: 1-line block ×4, first 2 shown]
	s_add_u32 s12, s12, 4
	s_waitcnt lgkmcnt(3)
	v_add_f32_e32 v11, v19, v11
	s_addc_u32 s13, s13, 0
	s_waitcnt lgkmcnt(2)
	v_add_f32_e32 v11, v11, v14
	v_cmp_eq_u64_e32 vcc, s[12:13], v[12:13]
	s_waitcnt lgkmcnt(1)
	v_add_f32_e32 v11, v11, v15
	v_add_u32_e32 v3, s14, v3
	s_or_b64 s[10:11], vcc, s[10:11]
	s_waitcnt lgkmcnt(0)
	v_add_f32_e32 v19, v11, v20
	s_andn2_b64 exec, exec, s[10:11]
	s_cbranch_execnz .LBB59_157
; %bb.158:
	s_or_b64 exec, exec, s[10:11]
.LBB59_159:
	s_or_b64 exec, exec, s[6:7]
	v_and_b32_e32 v14, 3, v4
	v_mov_b32_e32 v15, 0
	s_mov_b64 s[10:11], 0
	v_cmp_ne_u64_e32 vcc, 0, v[14:15]
	s_and_saveexec_b64 s[6:7], vcc
	s_cbranch_execz .LBB59_163
; %bb.160:
	v_mul_lo_u32 v3, s16, v12
	v_add3_u32 v2, v10, v3, v2
	v_subrev_u32_e32 v2, s8, v2
	v_lshlrev_b32_e32 v2, 2, v2
	s_lshl_b32 s8, s16, 2
.LBB59_161:                             ; =>This Inner Loop Header: Depth=1
	ds_read_b32 v3, v2
	v_add_co_u32_e32 v14, vcc, -1, v14
	v_addc_co_u32_e32 v15, vcc, -1, v15, vcc
	v_cmp_eq_u64_e32 vcc, 0, v[14:15]
	v_add_u32_e32 v2, s8, v2
	s_or_b64 s[10:11], vcc, s[10:11]
	s_waitcnt lgkmcnt(0)
	v_add_f32_e32 v19, v19, v3
	s_andn2_b64 exec, exec, s[10:11]
	s_cbranch_execnz .LBB59_161
; %bb.162:
	s_or_b64 exec, exec, s[10:11]
.LBB59_163:
	s_or_b64 exec, exec, s[6:7]
.LBB59_164:
	s_or_b64 exec, exec, s[4:5]
	v_mad_u64_u32 v[2:3], s[4:5], v4, s16, v[8:9]
	v_mov_b32_e32 v4, v3
	v_mad_u64_u32 v[4:5], s[4:5], v5, s16, v[4:5]
	v_mov_b32_e32 v3, v4
	v_sub_co_u32_e32 v4, vcc, v17, v2
	v_mov_b32_e32 v11, 0
	v_subb_co_u32_e32 v5, vcc, v18, v3, vcc
	v_cmp_gt_i64_e32 vcc, v[4:5], v[10:11]
	s_and_saveexec_b64 s[4:5], vcc
	s_cbranch_execz .LBB59_166
; %bb.165:
	v_add_lshl_u32 v2, v10, v2, 2
	ds_read_b32 v2, v2
	s_waitcnt lgkmcnt(0)
	v_add_f32_e32 v19, v19, v2
.LBB59_166:
	s_or_b64 exec, exec, s[4:5]
.LBB59_167:
	s_or_b64 exec, exec, s[0:1]
	v_cmp_gt_i64_e32 vcc, s[26:27], v[0:1]
	s_barrier
	ds_write_b32 v16, v19
	s_waitcnt lgkmcnt(0)
	s_barrier
	s_and_saveexec_b64 s[0:1], vcc
	s_cbranch_execz .LBB59_177
; %bb.168:
	s_cmp_lt_u32 s16, 8
	v_mul_lo_u32 v1, s16, v0
	s_cbranch_scc1 .LBB59_171
; %bb.169:
	s_and_b32 s0, s16, 0x7ffffff8
	v_lshlrev_b32_e32 v2, 2, v1
	s_mov_b32 s1, 0
	v_mov_b32_e32 v4, 0
.LBB59_170:                             ; =>This Inner Loop Header: Depth=1
	ds_read2_b32 v[8:9], v2 offset1:1
	ds_read2_b32 v[10:11], v2 offset0:2 offset1:3
	ds_read2_b32 v[12:13], v2 offset0:4 offset1:5
	;; [unrolled: 1-line block ×3, first 2 shown]
	s_add_i32 s1, s1, 8
	s_waitcnt lgkmcnt(3)
	v_add_f32_e32 v3, v4, v8
	v_add_f32_e32 v3, v3, v9
	s_waitcnt lgkmcnt(2)
	v_add_f32_e32 v3, v3, v10
	v_add_f32_e32 v3, v3, v11
	;; [unrolled: 3-line block ×3, first 2 shown]
	s_waitcnt lgkmcnt(0)
	v_add_f32_e32 v3, v3, v14
	v_add_u32_e32 v2, 32, v2
	s_cmp_eq_u32 s0, s1
	v_add_f32_e32 v4, v3, v15
	s_cbranch_scc0 .LBB59_170
	s_branch .LBB59_172
.LBB59_171:
	s_mov_b32 s0, 0
	v_mov_b32_e32 v4, 0
.LBB59_172:
	s_bfe_u32 s1, s3, 0x30001
	s_cmp_eq_u32 s1, 0
	s_cbranch_scc1 .LBB59_175
; %bb.173:
	v_add_lshl_u32 v1, s0, v1, 2
.LBB59_174:                             ; =>This Inner Loop Header: Depth=1
	ds_read_b32 v2, v1
	s_add_i32 s1, s1, -1
	v_add_u32_e32 v1, 4, v1
	s_cmp_lg_u32 s1, 0
	s_waitcnt lgkmcnt(0)
	v_add_f32_e32 v4, v4, v2
	s_cbranch_scc1 .LBB59_174
.LBB59_175:
	v_lshlrev_b64 v[2:3], 2, v[6:7]
	v_mov_b32_e32 v1, s25
	v_add_co_u32_e32 v2, vcc, s24, v2
	v_addc_co_u32_e32 v3, vcc, v1, v3, vcc
	global_load_dword v1, v[2:3], off
	s_lshl_b32 s0, s2, 2
	s_addk_i32 s0, 0x1000
	v_lshl_add_u32 v0, v0, 2, s0
	ds_read_b32 v0, v0
	s_mov_b64 s[0:1], 0
	s_waitcnt lgkmcnt(0)
	v_add_f32_e32 v4, v4, v0
.LBB59_176:                             ; =>This Inner Loop Header: Depth=1
	s_waitcnt vmcnt(0)
	v_add_f32_e32 v0, v1, v4
	global_atomic_cmpswap v0, v[2:3], v[0:1], off glc
	s_waitcnt vmcnt(0)
	v_cmp_eq_u32_e32 vcc, v0, v1
	s_or_b64 s[0:1], vcc, s[0:1]
	v_mov_b32_e32 v1, v0
	s_andn2_b64 exec, exec, s[0:1]
	s_cbranch_execnz .LBB59_176
.LBB59_177:
	s_endpgm
	.section	.rodata,"a",@progbits
	.p2align	6, 0x0
	.amdhsa_kernel _ZN9rocsparseL27csrmvn_symm_adaptive_kernelIliaaffEEvbT_S1_PKS1_NS_24const_host_device_scalarIT4_EES3_PKT0_PKT1_PKT2_S6_PT3_21rocsparse_index_base_b
		.amdhsa_group_segment_fixed_size 4096
		.amdhsa_private_segment_fixed_size 0
		.amdhsa_kernarg_size 352
		.amdhsa_user_sgpr_count 6
		.amdhsa_user_sgpr_private_segment_buffer 1
		.amdhsa_user_sgpr_dispatch_ptr 0
		.amdhsa_user_sgpr_queue_ptr 0
		.amdhsa_user_sgpr_kernarg_segment_ptr 1
		.amdhsa_user_sgpr_dispatch_id 0
		.amdhsa_user_sgpr_flat_scratch_init 0
		.amdhsa_user_sgpr_kernarg_preload_length 0
		.amdhsa_user_sgpr_kernarg_preload_offset 0
		.amdhsa_user_sgpr_private_segment_size 0
		.amdhsa_uses_dynamic_stack 0
		.amdhsa_system_sgpr_private_segment_wavefront_offset 0
		.amdhsa_system_sgpr_workgroup_id_x 1
		.amdhsa_system_sgpr_workgroup_id_y 0
		.amdhsa_system_sgpr_workgroup_id_z 0
		.amdhsa_system_sgpr_workgroup_info 0
		.amdhsa_system_vgpr_workitem_id 0
		.amdhsa_next_free_vgpr 23
		.amdhsa_next_free_sgpr 52
		.amdhsa_accum_offset 24
		.amdhsa_reserve_vcc 1
		.amdhsa_reserve_flat_scratch 0
		.amdhsa_float_round_mode_32 0
		.amdhsa_float_round_mode_16_64 0
		.amdhsa_float_denorm_mode_32 3
		.amdhsa_float_denorm_mode_16_64 3
		.amdhsa_dx10_clamp 1
		.amdhsa_ieee_mode 1
		.amdhsa_fp16_overflow 0
		.amdhsa_tg_split 0
		.amdhsa_exception_fp_ieee_invalid_op 0
		.amdhsa_exception_fp_denorm_src 0
		.amdhsa_exception_fp_ieee_div_zero 0
		.amdhsa_exception_fp_ieee_overflow 0
		.amdhsa_exception_fp_ieee_underflow 0
		.amdhsa_exception_fp_ieee_inexact 0
		.amdhsa_exception_int_div_zero 0
	.end_amdhsa_kernel
	.section	.text._ZN9rocsparseL27csrmvn_symm_adaptive_kernelIliaaffEEvbT_S1_PKS1_NS_24const_host_device_scalarIT4_EES3_PKT0_PKT1_PKT2_S6_PT3_21rocsparse_index_base_b,"axG",@progbits,_ZN9rocsparseL27csrmvn_symm_adaptive_kernelIliaaffEEvbT_S1_PKS1_NS_24const_host_device_scalarIT4_EES3_PKT0_PKT1_PKT2_S6_PT3_21rocsparse_index_base_b,comdat
.Lfunc_end59:
	.size	_ZN9rocsparseL27csrmvn_symm_adaptive_kernelIliaaffEEvbT_S1_PKS1_NS_24const_host_device_scalarIT4_EES3_PKT0_PKT1_PKT2_S6_PT3_21rocsparse_index_base_b, .Lfunc_end59-_ZN9rocsparseL27csrmvn_symm_adaptive_kernelIliaaffEEvbT_S1_PKS1_NS_24const_host_device_scalarIT4_EES3_PKT0_PKT1_PKT2_S6_PT3_21rocsparse_index_base_b
                                        ; -- End function
	.section	.AMDGPU.csdata,"",@progbits
; Kernel info:
; codeLenInByte = 8556
; NumSgprs: 56
; NumVgprs: 23
; NumAgprs: 0
; TotalNumVgprs: 23
; ScratchSize: 0
; MemoryBound: 0
; FloatMode: 240
; IeeeMode: 1
; LDSByteSize: 4096 bytes/workgroup (compile time only)
; SGPRBlocks: 6
; VGPRBlocks: 2
; NumSGPRsForWavesPerEU: 56
; NumVGPRsForWavesPerEU: 23
; AccumOffset: 24
; Occupancy: 8
; WaveLimiterHint : 1
; COMPUTE_PGM_RSRC2:SCRATCH_EN: 0
; COMPUTE_PGM_RSRC2:USER_SGPR: 6
; COMPUTE_PGM_RSRC2:TRAP_HANDLER: 0
; COMPUTE_PGM_RSRC2:TGID_X_EN: 1
; COMPUTE_PGM_RSRC2:TGID_Y_EN: 0
; COMPUTE_PGM_RSRC2:TGID_Z_EN: 0
; COMPUTE_PGM_RSRC2:TIDIG_COMP_CNT: 0
; COMPUTE_PGM_RSRC3_GFX90A:ACCUM_OFFSET: 5
; COMPUTE_PGM_RSRC3_GFX90A:TG_SPLIT: 0
	.section	.text._ZL33csrmvn_symm_large_adaptive_kernelIliaaffEvbT_PKS0_N9rocsparse24const_host_device_scalarIT4_EES2_PKT0_PKT1_PKT2_S6_PT3_21rocsparse_index_base_b,"axG",@progbits,_ZL33csrmvn_symm_large_adaptive_kernelIliaaffEvbT_PKS0_N9rocsparse24const_host_device_scalarIT4_EES2_PKT0_PKT1_PKT2_S6_PT3_21rocsparse_index_base_b,comdat
	.globl	_ZL33csrmvn_symm_large_adaptive_kernelIliaaffEvbT_PKS0_N9rocsparse24const_host_device_scalarIT4_EES2_PKT0_PKT1_PKT2_S6_PT3_21rocsparse_index_base_b ; -- Begin function _ZL33csrmvn_symm_large_adaptive_kernelIliaaffEvbT_PKS0_N9rocsparse24const_host_device_scalarIT4_EES2_PKT0_PKT1_PKT2_S6_PT3_21rocsparse_index_base_b
	.p2align	8
	.type	_ZL33csrmvn_symm_large_adaptive_kernelIliaaffEvbT_PKS0_N9rocsparse24const_host_device_scalarIT4_EES2_PKT0_PKT1_PKT2_S6_PT3_21rocsparse_index_base_b,@function
_ZL33csrmvn_symm_large_adaptive_kernelIliaaffEvbT_PKS0_N9rocsparse24const_host_device_scalarIT4_EES2_PKT0_PKT1_PKT2_S6_PT3_21rocsparse_index_base_b: ; @_ZL33csrmvn_symm_large_adaptive_kernelIliaaffEvbT_PKS0_N9rocsparse24const_host_device_scalarIT4_EES2_PKT0_PKT1_PKT2_S6_PT3_21rocsparse_index_base_b
; %bb.0:
	s_load_dwordx2 s[10:11], s[4:5], 0x50
	s_load_dwordx2 s[24:25], s[4:5], 0x18
	;; [unrolled: 1-line block ×3, first 2 shown]
	s_waitcnt lgkmcnt(0)
	s_bitcmp1_b32 s11, 0
	s_cselect_b64 s[8:9], -1, 0
	s_xor_b64 s[2:3], s[8:9], -1
	s_and_b64 vcc, exec, s[8:9]
	s_cbranch_vccnz .LBB60_2
; %bb.1:
	s_load_dword s24, s[24:25], 0x0
.LBB60_2:
	s_andn2_b64 vcc, exec, s[2:3]
	s_cbranch_vccnz .LBB60_4
; %bb.3:
	s_load_dword s0, s[0:1], 0x0
.LBB60_4:
	s_waitcnt lgkmcnt(0)
	v_cmp_neq_f32_e64 s[2:3], s24, 0
	v_cmp_neq_f32_e64 s[0:1], s0, 1.0
	s_or_b64 s[0:1], s[2:3], s[0:1]
	s_andn2_b64 vcc, exec, s[0:1]
	s_mov_b32 s11, 0
	s_cbranch_vccnz .LBB60_38
; %bb.5:
	s_load_dwordx2 s[0:1], s[4:5], 0x10
	s_ashr_i32 s7, s6, 31
	s_lshl_b64 s[2:3], s[6:7], 3
	v_lshlrev_b32_e32 v6, 2, v0
	v_mov_b32_e32 v1, 0
	s_waitcnt lgkmcnt(0)
	s_add_u32 s0, s0, s2
	s_addc_u32 s1, s1, s3
	ds_write2st64_b32 v6, v1, v1 offset1:4
	ds_write2st64_b32 v6, v1, v1 offset0:8 offset1:12
	s_waitcnt lgkmcnt(0)
	s_barrier
	s_load_dwordx4 s[20:23], s[0:1], 0x0
	s_load_dwordx8 s[12:19], s[4:5], 0x20
	s_load_dwordx2 s[26:27], s[4:5], 0x48
	v_subrev_co_u32_e64 v7, s[0:1], s10, v0
	s_waitcnt lgkmcnt(0)
	v_pk_mov_b32 v[2:3], s[22:23], s[22:23] op_sel:[0,1]
	v_cmp_lt_i64_e32 vcc, s[20:21], v[2:3]
	v_subb_co_u32_e64 v8, s[0:1], 0, 0, s[0:1]
	s_cbranch_vccnz .LBB60_7
; %bb.6:
	s_lshl_b64 s[0:1], s[20:21], 3
	s_add_u32 s0, s12, s0
	s_addc_u32 s1, s13, s1
	s_load_dwordx2 s[28:29], s[0:1], 0x0
	s_cbranch_execz .LBB60_8
	s_branch .LBB60_28
.LBB60_7:
                                        ; implicit-def: $sgpr28_sgpr29
.LBB60_8:
	s_waitcnt lgkmcnt(0)
	s_lshl_b64 s[28:29], s[20:21], 3
	s_add_u32 s28, s12, s28
	s_addc_u32 s29, s13, s29
	s_load_dwordx2 s[28:29], s[28:29], 0x0
	s_movk_i32 s0, 0x100
	s_add_u32 s25, s12, 8
	v_cmp_gt_u32_e64 s[0:1], s0, v0
	v_cmp_gt_u32_e64 s[2:3], 64, v0
	;; [unrolled: 1-line block ×4, first 2 shown]
	v_cmp_eq_u32_e64 s[8:9], 0, v0
	s_addc_u32 s33, s13, 0
	v_mov_b32_e32 v9, s17
	v_mov_b32_e32 v10, s19
	;; [unrolled: 1-line block ×3, first 2 shown]
	v_pk_mov_b32 v[0:1], s[22:23], s[22:23] op_sel:[0,1]
	s_waitcnt lgkmcnt(0)
	s_mov_b64 s[34:35], s[28:29]
	s_mov_b64 s[30:31], s[20:21]
	s_branch .LBB60_10
.LBB60_9:                               ;   in Loop: Header=BB60_10 Depth=1
	s_or_b64 exec, exec, s[36:37]
	s_add_u32 s30, s30, 1
	s_addc_u32 s31, s31, 0
	v_cmp_ge_i64_e32 vcc, s[30:31], v[0:1]
	s_cbranch_vccnz .LBB60_28
.LBB60_10:                              ; =>This Loop Header: Depth=1
                                        ;     Child Loop BB60_12 Depth 2
                                        ;     Child Loop BB60_27 Depth 2
	s_mov_b64 s[38:39], s[34:35]
	s_lshl_b64 s[34:35], s[30:31], 3
	s_add_u32 s34, s25, s34
	s_addc_u32 s35, s33, s35
	s_load_dwordx2 s[34:35], s[34:35], 0x0
	v_mov_b32_e32 v3, s39
	v_add_co_u32_e32 v2, vcc, s38, v7
	v_addc_co_u32_e32 v3, vcc, v3, v8, vcc
	s_waitcnt lgkmcnt(0)
	s_sub_u32 s36, s34, s10
	s_subb_u32 s37, s35, 0
	v_cmp_gt_i64_e32 vcc, s[36:37], v[2:3]
	v_mov_b32_e32 v12, 0
	s_and_saveexec_b64 s[38:39], vcc
	s_cbranch_execz .LBB60_14
; %bb.11:                               ;   in Loop: Header=BB60_10 Depth=1
	v_lshlrev_b64 v[4:5], 2, v[2:3]
	v_mov_b32_e32 v12, s15
	v_add_co_u32_e32 v4, vcc, s14, v4
	v_addc_co_u32_e32 v5, vcc, v12, v5, vcc
	s_mov_b64 s[40:41], 0
	v_mov_b32_e32 v12, 0
.LBB60_12:                              ;   Parent Loop BB60_10 Depth=1
                                        ; =>  This Inner Loop Header: Depth=2
	global_load_dword v13, v[4:5], off
	v_add_co_u32_e32 v14, vcc, s16, v2
	v_addc_co_u32_e32 v15, vcc, v9, v3, vcc
	global_load_sbyte v16, v[14:15], off
	s_waitcnt vmcnt(1)
	v_subrev_u32_e32 v13, s10, v13
	v_ashrrev_i32_e32 v15, 31, v13
	v_add_co_u32_e32 v14, vcc, s18, v13
	v_addc_co_u32_e32 v15, vcc, v10, v15, vcc
	global_load_sbyte v13, v[14:15], off
	v_add_co_u32_e32 v2, vcc, 0x100, v2
	v_addc_co_u32_e32 v3, vcc, 0, v3, vcc
	s_waitcnt vmcnt(1)
	v_cvt_f32_i32_e32 v14, v16
	v_add_co_u32_e32 v4, vcc, 0x400, v4
	v_addc_co_u32_e32 v5, vcc, 0, v5, vcc
	v_cmp_le_i64_e32 vcc, s[36:37], v[2:3]
	s_or_b64 s[40:41], vcc, s[40:41]
	s_waitcnt vmcnt(0)
	v_cvt_f32_i32_e32 v13, v13
	v_fmac_f32_e32 v12, v14, v13
	s_andn2_b64 exec, exec, s[40:41]
	s_cbranch_execnz .LBB60_12
; %bb.13:                               ;   in Loop: Header=BB60_10 Depth=1
	s_or_b64 exec, exec, s[40:41]
.LBB60_14:                              ;   in Loop: Header=BB60_10 Depth=1
	s_or_b64 exec, exec, s[38:39]
	ds_write_b32 v6, v12
	s_waitcnt lgkmcnt(0)
	s_barrier
	s_and_saveexec_b64 s[36:37], s[0:1]
	s_cbranch_execz .LBB60_16
; %bb.15:                               ;   in Loop: Header=BB60_10 Depth=1
	ds_read2st64_b32 v[2:3], v6 offset1:4
	ds_read2st64_b32 v[4:5], v6 offset0:8 offset1:12
	s_waitcnt lgkmcnt(0)
	v_add_f32_e32 v3, v3, v4
	v_add_f32_e32 v3, v3, v5
	;; [unrolled: 1-line block ×3, first 2 shown]
	ds_write_b32 v6, v2
.LBB60_16:                              ;   in Loop: Header=BB60_10 Depth=1
	s_or_b64 exec, exec, s[36:37]
	s_waitcnt lgkmcnt(0)
	s_barrier
	s_and_saveexec_b64 s[36:37], s[2:3]
	s_cbranch_execz .LBB60_18
; %bb.17:                               ;   in Loop: Header=BB60_10 Depth=1
	ds_read2st64_b32 v[2:3], v6 offset1:1
	ds_read2st64_b32 v[4:5], v6 offset0:2 offset1:3
	s_waitcnt lgkmcnt(0)
	v_add_f32_e32 v3, v3, v4
	v_add_f32_e32 v3, v3, v5
	;; [unrolled: 1-line block ×3, first 2 shown]
	ds_write_b32 v6, v2
.LBB60_18:                              ;   in Loop: Header=BB60_10 Depth=1
	s_or_b64 exec, exec, s[36:37]
	s_waitcnt lgkmcnt(0)
	s_barrier
	s_and_saveexec_b64 s[36:37], s[4:5]
	s_cbranch_execz .LBB60_20
; %bb.19:                               ;   in Loop: Header=BB60_10 Depth=1
	ds_read2_b32 v[2:3], v6 offset1:16
	ds_read2_b32 v[4:5], v6 offset0:32 offset1:48
	s_waitcnt lgkmcnt(0)
	v_add_f32_e32 v3, v3, v4
	v_add_f32_e32 v3, v3, v5
	;; [unrolled: 1-line block ×3, first 2 shown]
	ds_write_b32 v6, v2
.LBB60_20:                              ;   in Loop: Header=BB60_10 Depth=1
	s_or_b64 exec, exec, s[36:37]
	s_waitcnt lgkmcnt(0)
	s_barrier
	s_and_saveexec_b64 s[36:37], s[6:7]
	s_cbranch_execz .LBB60_22
; %bb.21:                               ;   in Loop: Header=BB60_10 Depth=1
	ds_read2_b32 v[2:3], v6 offset1:4
	ds_read2_b32 v[4:5], v6 offset0:8 offset1:12
	s_waitcnt lgkmcnt(0)
	v_add_f32_e32 v3, v3, v4
	v_add_f32_e32 v3, v3, v5
	;; [unrolled: 1-line block ×3, first 2 shown]
	ds_write_b32 v6, v2
.LBB60_22:                              ;   in Loop: Header=BB60_10 Depth=1
	s_or_b64 exec, exec, s[36:37]
	s_waitcnt lgkmcnt(0)
	s_barrier
	s_and_saveexec_b64 s[36:37], s[8:9]
	s_cbranch_execz .LBB60_24
; %bb.23:                               ;   in Loop: Header=BB60_10 Depth=1
	ds_read2_b32 v[2:3], v11 offset0:1 offset1:2
	ds_read_b32 v4, v11 offset:12
	ds_read_b32 v5, v6
	s_waitcnt lgkmcnt(2)
	v_add_f32_e32 v2, v2, v3
	s_waitcnt lgkmcnt(1)
	v_add_f32_e32 v2, v2, v4
	;; [unrolled: 2-line block ×3, first 2 shown]
	ds_write_b32 v6, v2
.LBB60_24:                              ;   in Loop: Header=BB60_10 Depth=1
	s_or_b64 exec, exec, s[36:37]
	s_waitcnt lgkmcnt(0)
	s_barrier
	s_and_saveexec_b64 s[36:37], s[8:9]
	s_cbranch_execz .LBB60_9
; %bb.25:                               ;   in Loop: Header=BB60_10 Depth=1
	s_mov_b64 s[40:41], exec
	v_mbcnt_lo_u32_b32 v2, s40, 0
	v_mbcnt_hi_u32_b32 v2, s41, v2
	v_cmp_eq_u32_e32 vcc, 0, v2
	s_and_b64 s[38:39], exec, vcc
	s_mov_b64 exec, s[38:39]
	s_cbranch_execz .LBB60_9
; %bb.26:                               ;   in Loop: Header=BB60_10 Depth=1
	s_lshl_b64 s[38:39], s[30:31], 2
	s_add_u32 s38, s26, s38
	s_addc_u32 s39, s27, s39
	global_load_dword v3, v11, s[38:39]
	ds_read_b32 v2, v11
	s_bcnt1_i32_b64 s40, s[40:41]
	v_cvt_f32_ubyte0_e32 v4, s40
	s_mov_b64 s[40:41], 0
	s_waitcnt lgkmcnt(0)
	v_mul_f32_e32 v2, s24, v2
	v_mul_f32_e32 v4, v2, v4
.LBB60_27:                              ;   Parent Loop BB60_10 Depth=1
                                        ; =>  This Inner Loop Header: Depth=2
	s_waitcnt vmcnt(0)
	v_add_f32_e32 v2, v3, v4
	global_atomic_cmpswap v2, v11, v[2:3], s[38:39] glc
	s_waitcnt vmcnt(0)
	v_cmp_eq_u32_e32 vcc, v2, v3
	s_or_b64 s[40:41], vcc, s[40:41]
	v_mov_b32_e32 v3, v2
	s_andn2_b64 exec, exec, s[40:41]
	s_cbranch_execnz .LBB60_27
	s_branch .LBB60_9
.LBB60_28:
	s_lshl_b64 s[0:1], s[22:23], 3
	s_add_u32 s0, s12, s0
	s_addc_u32 s1, s13, s1
	s_load_dwordx2 s[0:1], s[0:1], 0x0
	s_waitcnt lgkmcnt(0)
	v_mov_b32_e32 v1, s29
	v_add_co_u32_e32 v0, vcc, s28, v7
	v_addc_co_u32_e32 v1, vcc, v1, v8, vcc
	s_sub_u32 s4, s0, s10
	s_subb_u32 s5, s1, 0
	v_cmp_gt_i64_e32 vcc, s[4:5], v[0:1]
	s_and_saveexec_b64 s[0:1], vcc
	s_cbranch_execz .LBB60_38
; %bb.29:
	s_add_u32 s6, s22, -1
	s_addc_u32 s7, s23, -1
	s_add_u32 s0, s22, -2
	s_addc_u32 s1, s23, -1
	v_pk_mov_b32 v[2:3], s[20:21], s[20:21] op_sel:[0,1]
	s_cmp_lg_u64 s[0:1], s[20:21]
	v_cmp_gt_i64_e32 vcc, s[6:7], v[2:3]
	s_cselect_b64 s[0:1], -1, 0
	s_and_b64 s[0:1], vcc, s[0:1]
	v_cndmask_b32_e64 v2, 0, 1, s[0:1]
	s_mov_b64 s[8:9], 0
	v_cmp_ne_u32_e64 s[0:1], 1, v2
	v_mov_b32_e32 v8, s13
	v_mov_b32_e32 v9, s11
	;; [unrolled: 1-line block ×3, first 2 shown]
	s_branch .LBB60_31
.LBB60_30:                              ;   in Loop: Header=BB60_31 Depth=1
	s_or_b64 exec, exec, s[2:3]
	v_add_co_u32_e32 v0, vcc, 0x100, v0
	v_addc_co_u32_e32 v1, vcc, 0, v1, vcc
	v_cmp_le_i64_e32 vcc, s[4:5], v[0:1]
	s_or_b64 s[8:9], vcc, s[8:9]
	s_andn2_b64 exec, exec, s[8:9]
	s_cbranch_execz .LBB60_38
.LBB60_31:                              ; =>This Loop Header: Depth=1
                                        ;     Child Loop BB60_33 Depth 2
                                        ;     Child Loop BB60_37 Depth 2
	s_and_b64 vcc, exec, s[0:1]
	v_pk_mov_b32 v[2:3], s[20:21], s[20:21] op_sel:[0,1]
	v_pk_mov_b32 v[4:5], s[6:7], s[6:7] op_sel:[0,1]
	s_cbranch_vccnz .LBB60_35
; %bb.32:                               ;   in Loop: Header=BB60_31 Depth=1
	s_mov_b64 s[22:23], 0
	v_pk_mov_b32 v[2:3], s[20:21], s[20:21] op_sel:[0,1]
	v_pk_mov_b32 v[4:5], s[6:7], s[6:7] op_sel:[0,1]
.LBB60_33:                              ;   Parent Loop BB60_31 Depth=1
                                        ; =>  This Inner Loop Header: Depth=2
	v_add_co_u32_e32 v6, vcc, v4, v2
	v_addc_co_u32_e32 v7, vcc, v5, v3, vcc
	v_lshrrev_b32_e32 v12, 31, v7
	v_add_co_u32_e32 v6, vcc, v6, v12
	v_addc_co_u32_e32 v7, vcc, 0, v7, vcc
	v_ashrrev_i64 v[6:7], 1, v[6:7]
	v_lshlrev_b64 v[12:13], 3, v[6:7]
	v_mov_b32_e32 v11, s13
	v_add_co_u32_e32 v12, vcc, s12, v12
	v_addc_co_u32_e32 v13, vcc, v11, v13, vcc
	global_load_dwordx2 v[12:13], v[12:13], off
	v_mov_b32_e32 v11, s11
	s_waitcnt vmcnt(0)
	v_subrev_co_u32_e32 v12, vcc, s10, v12
	v_subb_co_u32_e32 v13, vcc, v13, v11, vcc
	v_cmp_gt_i64_e32 vcc, v[12:13], v[0:1]
	v_cndmask_b32_e32 v4, v4, v6, vcc
	v_cndmask_b32_e32 v5, v5, v7, vcc
	;; [unrolled: 1-line block ×3, first 2 shown]
	v_add_co_u32_e64 v6, s[2:3], -1, v4
	v_cndmask_b32_e32 v3, v7, v3, vcc
	v_addc_co_u32_e64 v7, s[2:3], -1, v5, s[2:3]
	v_cmp_ge_i64_e32 vcc, v[2:3], v[4:5]
	v_cmp_eq_u64_e64 s[2:3], v[2:3], v[6:7]
	s_or_b64 s[2:3], vcc, s[2:3]
	s_and_b64 s[2:3], exec, s[2:3]
	s_or_b64 s[22:23], s[2:3], s[22:23]
	s_andn2_b64 exec, exec, s[22:23]
	s_cbranch_execnz .LBB60_33
; %bb.34:                               ;   in Loop: Header=BB60_31 Depth=1
	s_or_b64 exec, exec, s[22:23]
.LBB60_35:                              ;   in Loop: Header=BB60_31 Depth=1
	v_lshlrev_b64 v[6:7], 3, v[4:5]
	v_add_co_u32_e32 v6, vcc, s12, v6
	v_addc_co_u32_e32 v7, vcc, v8, v7, vcc
	v_lshlrev_b64 v[12:13], 2, v[0:1]
	global_load_dwordx2 v[6:7], v[6:7], off
	v_add_co_u32_e32 v12, vcc, s14, v12
	v_addc_co_u32_e32 v13, vcc, v10, v13, vcc
	global_load_dword v11, v[12:13], off
	s_waitcnt vmcnt(1)
	v_subrev_co_u32_e32 v12, vcc, s10, v6
	v_subb_co_u32_e32 v13, vcc, v7, v9, vcc
	v_cmp_gt_i64_e32 vcc, v[12:13], v[0:1]
	s_waitcnt vmcnt(0)
	v_subrev_u32_e32 v6, s10, v11
	v_cndmask_b32_e32 v3, v5, v3, vcc
	v_cndmask_b32_e32 v2, v4, v2, vcc
	v_ashrrev_i32_e32 v7, 31, v6
	v_cmp_ne_u64_e32 vcc, v[2:3], v[6:7]
	s_and_saveexec_b64 s[2:3], vcc
	s_cbranch_execz .LBB60_30
; %bb.36:                               ;   in Loop: Header=BB60_31 Depth=1
	v_lshlrev_b64 v[4:5], 2, v[6:7]
	v_mov_b32_e32 v7, s17
	v_add_co_u32_e32 v6, vcc, s16, v0
	v_addc_co_u32_e32 v7, vcc, v7, v1, vcc
	global_load_sbyte v6, v[6:7], off
	v_mov_b32_e32 v7, s19
	v_add_co_u32_e32 v2, vcc, s18, v2
	v_addc_co_u32_e32 v3, vcc, v7, v3, vcc
	global_load_sbyte v7, v[2:3], off
	v_mov_b32_e32 v3, s27
	v_add_co_u32_e32 v2, vcc, s26, v4
	v_addc_co_u32_e32 v3, vcc, v3, v5, vcc
	global_load_dword v5, v[2:3], off
	s_mov_b64 s[22:23], 0
	s_waitcnt vmcnt(2)
	v_cvt_f32_i32_e32 v4, v6
	v_mul_f32_e32 v4, s24, v4
	s_waitcnt vmcnt(1)
	v_cvt_f32_i32_e32 v6, v7
	v_mul_f32_e32 v6, v4, v6
.LBB60_37:                              ;   Parent Loop BB60_31 Depth=1
                                        ; =>  This Inner Loop Header: Depth=2
	s_waitcnt vmcnt(0)
	v_add_f32_e32 v4, v5, v6
	global_atomic_cmpswap v4, v[2:3], v[4:5], off glc
	s_waitcnt vmcnt(0)
	v_cmp_eq_u32_e32 vcc, v4, v5
	s_or_b64 s[22:23], vcc, s[22:23]
	v_mov_b32_e32 v5, v4
	s_andn2_b64 exec, exec, s[22:23]
	s_cbranch_execnz .LBB60_37
	s_branch .LBB60_30
.LBB60_38:
	s_endpgm
	.section	.rodata,"a",@progbits
	.p2align	6, 0x0
	.amdhsa_kernel _ZL33csrmvn_symm_large_adaptive_kernelIliaaffEvbT_PKS0_N9rocsparse24const_host_device_scalarIT4_EES2_PKT0_PKT1_PKT2_S6_PT3_21rocsparse_index_base_b
		.amdhsa_group_segment_fixed_size 4096
		.amdhsa_private_segment_fixed_size 0
		.amdhsa_kernarg_size 88
		.amdhsa_user_sgpr_count 6
		.amdhsa_user_sgpr_private_segment_buffer 1
		.amdhsa_user_sgpr_dispatch_ptr 0
		.amdhsa_user_sgpr_queue_ptr 0
		.amdhsa_user_sgpr_kernarg_segment_ptr 1
		.amdhsa_user_sgpr_dispatch_id 0
		.amdhsa_user_sgpr_flat_scratch_init 0
		.amdhsa_user_sgpr_kernarg_preload_length 0
		.amdhsa_user_sgpr_kernarg_preload_offset 0
		.amdhsa_user_sgpr_private_segment_size 0
		.amdhsa_uses_dynamic_stack 0
		.amdhsa_system_sgpr_private_segment_wavefront_offset 0
		.amdhsa_system_sgpr_workgroup_id_x 1
		.amdhsa_system_sgpr_workgroup_id_y 0
		.amdhsa_system_sgpr_workgroup_id_z 0
		.amdhsa_system_sgpr_workgroup_info 0
		.amdhsa_system_vgpr_workitem_id 0
		.amdhsa_next_free_vgpr 17
		.amdhsa_next_free_sgpr 42
		.amdhsa_accum_offset 20
		.amdhsa_reserve_vcc 1
		.amdhsa_reserve_flat_scratch 0
		.amdhsa_float_round_mode_32 0
		.amdhsa_float_round_mode_16_64 0
		.amdhsa_float_denorm_mode_32 3
		.amdhsa_float_denorm_mode_16_64 3
		.amdhsa_dx10_clamp 1
		.amdhsa_ieee_mode 1
		.amdhsa_fp16_overflow 0
		.amdhsa_tg_split 0
		.amdhsa_exception_fp_ieee_invalid_op 0
		.amdhsa_exception_fp_denorm_src 0
		.amdhsa_exception_fp_ieee_div_zero 0
		.amdhsa_exception_fp_ieee_overflow 0
		.amdhsa_exception_fp_ieee_underflow 0
		.amdhsa_exception_fp_ieee_inexact 0
		.amdhsa_exception_int_div_zero 0
	.end_amdhsa_kernel
	.section	.text._ZL33csrmvn_symm_large_adaptive_kernelIliaaffEvbT_PKS0_N9rocsparse24const_host_device_scalarIT4_EES2_PKT0_PKT1_PKT2_S6_PT3_21rocsparse_index_base_b,"axG",@progbits,_ZL33csrmvn_symm_large_adaptive_kernelIliaaffEvbT_PKS0_N9rocsparse24const_host_device_scalarIT4_EES2_PKT0_PKT1_PKT2_S6_PT3_21rocsparse_index_base_b,comdat
.Lfunc_end60:
	.size	_ZL33csrmvn_symm_large_adaptive_kernelIliaaffEvbT_PKS0_N9rocsparse24const_host_device_scalarIT4_EES2_PKT0_PKT1_PKT2_S6_PT3_21rocsparse_index_base_b, .Lfunc_end60-_ZL33csrmvn_symm_large_adaptive_kernelIliaaffEvbT_PKS0_N9rocsparse24const_host_device_scalarIT4_EES2_PKT0_PKT1_PKT2_S6_PT3_21rocsparse_index_base_b
                                        ; -- End function
	.section	.AMDGPU.csdata,"",@progbits
; Kernel info:
; codeLenInByte = 1664
; NumSgprs: 46
; NumVgprs: 17
; NumAgprs: 0
; TotalNumVgprs: 17
; ScratchSize: 0
; MemoryBound: 0
; FloatMode: 240
; IeeeMode: 1
; LDSByteSize: 4096 bytes/workgroup (compile time only)
; SGPRBlocks: 5
; VGPRBlocks: 2
; NumSGPRsForWavesPerEU: 46
; NumVGPRsForWavesPerEU: 17
; AccumOffset: 20
; Occupancy: 8
; WaveLimiterHint : 1
; COMPUTE_PGM_RSRC2:SCRATCH_EN: 0
; COMPUTE_PGM_RSRC2:USER_SGPR: 6
; COMPUTE_PGM_RSRC2:TRAP_HANDLER: 0
; COMPUTE_PGM_RSRC2:TGID_X_EN: 1
; COMPUTE_PGM_RSRC2:TGID_Y_EN: 0
; COMPUTE_PGM_RSRC2:TGID_Z_EN: 0
; COMPUTE_PGM_RSRC2:TIDIG_COMP_CNT: 0
; COMPUTE_PGM_RSRC3_GFX90A:ACCUM_OFFSET: 4
; COMPUTE_PGM_RSRC3_GFX90A:TG_SPLIT: 0
	.section	.text._ZN9rocsparseL22csrmvn_adaptive_kernelIllaaffEEvbT_PKS1_PjPKT0_NS_24const_host_device_scalarIT4_EES3_S7_PKT1_PKT2_SA_PT3_21rocsparse_index_base_b,"axG",@progbits,_ZN9rocsparseL22csrmvn_adaptive_kernelIllaaffEEvbT_PKS1_PjPKT0_NS_24const_host_device_scalarIT4_EES3_S7_PKT1_PKT2_SA_PT3_21rocsparse_index_base_b,comdat
	.globl	_ZN9rocsparseL22csrmvn_adaptive_kernelIllaaffEEvbT_PKS1_PjPKT0_NS_24const_host_device_scalarIT4_EES3_S7_PKT1_PKT2_SA_PT3_21rocsparse_index_base_b ; -- Begin function _ZN9rocsparseL22csrmvn_adaptive_kernelIllaaffEEvbT_PKS1_PjPKT0_NS_24const_host_device_scalarIT4_EES3_S7_PKT1_PKT2_SA_PT3_21rocsparse_index_base_b
	.p2align	8
	.type	_ZN9rocsparseL22csrmvn_adaptive_kernelIllaaffEEvbT_PKS1_PjPKT0_NS_24const_host_device_scalarIT4_EES3_S7_PKT1_PKT2_SA_PT3_21rocsparse_index_base_b,@function
_ZN9rocsparseL22csrmvn_adaptive_kernelIllaaffEEvbT_PKS1_PjPKT0_NS_24const_host_device_scalarIT4_EES3_S7_PKT1_PKT2_SA_PT3_21rocsparse_index_base_b: ; @_ZN9rocsparseL22csrmvn_adaptive_kernelIllaaffEEvbT_PKS1_PjPKT0_NS_24const_host_device_scalarIT4_EES3_S7_PKT1_PKT2_SA_PT3_21rocsparse_index_base_b
; %bb.0:
	s_load_dwordx2 s[48:49], s[4:5], 0x60
	s_load_dwordx2 s[46:47], s[4:5], 0x28
	;; [unrolled: 1-line block ×3, first 2 shown]
	s_waitcnt lgkmcnt(0)
	s_bitcmp1_b32 s49, 0
	s_cselect_b64 s[2:3], -1, 0
	s_xor_b64 s[0:1], s[2:3], -1
	s_and_b64 vcc, exec, s[2:3]
	s_cbranch_vccnz .LBB61_2
; %bb.1:
	s_load_dword s46, s[46:47], 0x0
.LBB61_2:
	s_andn2_b64 vcc, exec, s[0:1]
	s_cbranch_vccnz .LBB61_4
; %bb.3:
	s_load_dword s22, s[22:23], 0x0
.LBB61_4:
	s_waitcnt lgkmcnt(0)
	v_cmp_neq_f32_e64 s[0:1], s46, 0
	v_cmp_neq_f32_e64 s[2:3], s22, 1.0
	s_or_b64 s[0:1], s[0:1], s[2:3]
	s_andn2_b64 vcc, exec, s[0:1]
	s_cbranch_vccnz .LBB61_116
; %bb.5:
	s_load_dwordx2 s[0:1], s[4:5], 0x10
	s_load_dwordx2 s[2:3], s[4:5], 0x20
	s_ashr_i32 s7, s6, 31
	s_lshl_b64 s[8:9], s[6:7], 3
	s_waitcnt lgkmcnt(0)
	s_add_u32 s0, s0, s8
	s_addc_u32 s1, s1, s9
	s_load_dwordx4 s[36:39], s[0:1], 0x0
	s_load_dwordx2 s[34:35], s[4:5], 0x58
	s_load_dwordx8 s[24:31], s[4:5], 0x30
	s_waitcnt lgkmcnt(0)
	s_sub_u32 s0, s38, s36
	s_subb_u32 s1, s39, s37
	s_add_u32 s2, s2, s8
	s_addc_u32 s3, s3, s9
	s_lshl_b64 s[8:9], s[36:37], 3
	s_add_u32 s44, s24, s8
	s_addc_u32 s45, s25, s9
	s_load_dwordx2 s[40:41], s[2:3], 0x0
	s_load_dwordx2 s[42:43], s[44:45], 0x0
	v_cmp_lt_i64_e64 s[8:9], s[0:1], 2
	s_mov_b64 s[2:3], -1
	s_and_b64 vcc, exec, s[8:9]
	s_cbranch_vccz .LBB61_72
; %bb.6:
	s_cmp_lg_u64 s[0:1], 1
	s_cselect_b64 s[0:1], -1, 0
	s_waitcnt lgkmcnt(0)
	s_cmp_lg_u64 s[40:41], 0
	s_cselect_b64 s[2:3], -1, 0
	s_or_b64 s[2:3], s[0:1], s[2:3]
	s_mov_b64 s[0:1], -1
	s_and_b64 vcc, exec, s[2:3]
	s_cbranch_vccnz .LBB61_35
; %bb.7:
	v_pk_mov_b32 v[2:3], s[36:37], s[36:37] op_sel:[0,1]
	v_cmp_le_i64_e32 vcc, s[38:39], v[2:3]
	s_cbranch_vccnz .LBB61_34
; %bb.8:
	v_subrev_co_u32_e32 v1, vcc, s48, v0
	v_subb_co_u32_e64 v8, s[0:1], 0, 0, vcc
	v_cmp_neq_f32_e64 s[20:21], s22, 0
	s_movk_i32 s0, 0x80
	s_add_u32 s33, s24, 8
	v_cndmask_b32_e64 v2, 0, 1, s[20:21]
	s_mov_b32 s23, 0
	v_lshlrev_b32_e32 v9, 2, v0
	v_cmp_gt_u32_e64 s[0:1], s0, v0
	v_cmp_gt_u32_e64 s[2:3], 64, v0
	;; [unrolled: 1-line block ×7, first 2 shown]
	v_cmp_eq_u32_e64 s[18:19], 0, v0
	s_addc_u32 s47, s25, 0
	v_mov_b32_e32 v10, 0
	v_cmp_ne_u32_e64 s[20:21], 1, v2
	v_pk_mov_b32 v[2:3], s[38:39], s[38:39] op_sel:[0,1]
	s_mov_b64 s[52:53], s[42:43]
	s_mov_b64 s[50:51], s[36:37]
	s_branch .LBB61_11
.LBB61_9:                               ;   in Loop: Header=BB61_11 Depth=1
	s_lshl_b64 s[56:57], s[50:51], 2
	s_add_u32 s56, s34, s56
	s_addc_u32 s57, s35, s57
	s_waitcnt lgkmcnt(0)
	global_store_dword v10, v4, s[56:57]
.LBB61_10:                              ;   in Loop: Header=BB61_11 Depth=1
	s_or_b64 exec, exec, s[54:55]
	s_add_u32 s50, s50, 1
	s_addc_u32 s51, s51, 0
	v_cmp_ge_i64_e32 vcc, s[50:51], v[2:3]
	s_cbranch_vccnz .LBB61_34
.LBB61_11:                              ; =>This Loop Header: Depth=1
                                        ;     Child Loop BB61_13 Depth 2
	s_mov_b64 s[56:57], s[52:53]
	s_lshl_b64 s[52:53], s[50:51], 3
	s_add_u32 s52, s33, s52
	s_addc_u32 s53, s47, s53
	s_load_dwordx2 s[52:53], s[52:53], 0x0
	v_mov_b32_e32 v5, s57
	v_add_co_u32_e32 v4, vcc, s56, v1
	v_addc_co_u32_e32 v5, vcc, v5, v8, vcc
	s_waitcnt lgkmcnt(0)
	s_sub_u32 s54, s52, s48
	s_subb_u32 s55, s53, 0
	v_cmp_gt_i64_e32 vcc, s[54:55], v[4:5]
	v_mov_b32_e32 v11, 0
	s_and_saveexec_b64 s[56:57], vcc
	s_cbranch_execz .LBB61_15
; %bb.12:                               ;   in Loop: Header=BB61_11 Depth=1
	v_lshlrev_b64 v[6:7], 3, v[4:5]
	v_mov_b32_e32 v11, s27
	v_add_co_u32_e32 v6, vcc, s26, v6
	v_addc_co_u32_e32 v7, vcc, v11, v7, vcc
	s_mov_b64 s[58:59], 0
	v_mov_b32_e32 v11, 0
.LBB61_13:                              ;   Parent Loop BB61_11 Depth=1
                                        ; =>  This Inner Loop Header: Depth=2
	global_load_dwordx2 v[12:13], v[6:7], off
	v_mov_b32_e32 v15, s29
	v_add_co_u32_e32 v14, vcc, s28, v4
	v_addc_co_u32_e32 v15, vcc, v15, v5, vcc
	v_mov_b32_e32 v16, s23
	v_mov_b32_e32 v17, s31
	global_load_sbyte v14, v[14:15], off
	s_waitcnt vmcnt(1)
	v_subrev_co_u32_e32 v12, vcc, s48, v12
	v_subb_co_u32_e32 v13, vcc, v13, v16, vcc
	v_add_co_u32_e32 v12, vcc, s30, v12
	v_addc_co_u32_e32 v13, vcc, v17, v13, vcc
	global_load_sbyte v12, v[12:13], off
	v_add_co_u32_e32 v4, vcc, 0x100, v4
	s_waitcnt vmcnt(1)
	v_cvt_f32_i32_e32 v13, v14
	v_addc_co_u32_e32 v5, vcc, 0, v5, vcc
	v_add_co_u32_e32 v6, vcc, 0x800, v6
	v_addc_co_u32_e32 v7, vcc, 0, v7, vcc
	v_cmp_le_i64_e32 vcc, s[54:55], v[4:5]
	v_mul_f32_e32 v13, s46, v13
	s_or_b64 s[58:59], vcc, s[58:59]
	s_waitcnt vmcnt(0)
	v_cvt_f32_i32_e32 v12, v12
	v_fmac_f32_e32 v11, v13, v12
	s_andn2_b64 exec, exec, s[58:59]
	s_cbranch_execnz .LBB61_13
; %bb.14:                               ;   in Loop: Header=BB61_11 Depth=1
	s_or_b64 exec, exec, s[58:59]
.LBB61_15:                              ;   in Loop: Header=BB61_11 Depth=1
	s_or_b64 exec, exec, s[56:57]
	ds_write_b32 v9, v11
	s_waitcnt lgkmcnt(0)
	s_barrier
	s_and_saveexec_b64 s[54:55], s[0:1]
	s_cbranch_execz .LBB61_17
; %bb.16:                               ;   in Loop: Header=BB61_11 Depth=1
	ds_read2st64_b32 v[4:5], v9 offset1:2
	s_waitcnt lgkmcnt(0)
	v_add_f32_e32 v4, v4, v5
	ds_write_b32 v9, v4
.LBB61_17:                              ;   in Loop: Header=BB61_11 Depth=1
	s_or_b64 exec, exec, s[54:55]
	s_waitcnt lgkmcnt(0)
	s_barrier
	s_and_saveexec_b64 s[54:55], s[2:3]
	s_cbranch_execz .LBB61_19
; %bb.18:                               ;   in Loop: Header=BB61_11 Depth=1
	ds_read2st64_b32 v[4:5], v9 offset1:1
	s_waitcnt lgkmcnt(0)
	v_add_f32_e32 v4, v4, v5
	ds_write_b32 v9, v4
.LBB61_19:                              ;   in Loop: Header=BB61_11 Depth=1
	s_or_b64 exec, exec, s[54:55]
	s_waitcnt lgkmcnt(0)
	s_barrier
	s_and_saveexec_b64 s[54:55], s[8:9]
	s_cbranch_execz .LBB61_21
; %bb.20:                               ;   in Loop: Header=BB61_11 Depth=1
	ds_read2_b32 v[4:5], v9 offset1:32
	s_waitcnt lgkmcnt(0)
	v_add_f32_e32 v4, v4, v5
	ds_write_b32 v9, v4
.LBB61_21:                              ;   in Loop: Header=BB61_11 Depth=1
	s_or_b64 exec, exec, s[54:55]
	s_waitcnt lgkmcnt(0)
	s_barrier
	s_and_saveexec_b64 s[54:55], s[10:11]
	s_cbranch_execz .LBB61_23
; %bb.22:                               ;   in Loop: Header=BB61_11 Depth=1
	ds_read2_b32 v[4:5], v9 offset1:16
	s_waitcnt lgkmcnt(0)
	v_add_f32_e32 v4, v4, v5
	ds_write_b32 v9, v4
.LBB61_23:                              ;   in Loop: Header=BB61_11 Depth=1
	;; [unrolled: 11-line block ×5, first 2 shown]
	s_or_b64 exec, exec, s[54:55]
	s_waitcnt lgkmcnt(0)
	s_barrier
	s_and_saveexec_b64 s[54:55], s[18:19]
	s_cbranch_execz .LBB61_31
; %bb.30:                               ;   in Loop: Header=BB61_11 Depth=1
	ds_read_b64 v[4:5], v10
	s_waitcnt lgkmcnt(0)
	v_add_f32_e32 v4, v4, v5
	ds_write_b32 v10, v4
.LBB61_31:                              ;   in Loop: Header=BB61_11 Depth=1
	s_or_b64 exec, exec, s[54:55]
	s_waitcnt lgkmcnt(0)
	s_barrier
	s_and_saveexec_b64 s[54:55], s[18:19]
	s_cbranch_execz .LBB61_10
; %bb.32:                               ;   in Loop: Header=BB61_11 Depth=1
	ds_read_b32 v4, v10
	s_and_b64 vcc, exec, s[20:21]
	s_cbranch_vccnz .LBB61_9
; %bb.33:                               ;   in Loop: Header=BB61_11 Depth=1
	s_lshl_b64 s[56:57], s[50:51], 2
	s_add_u32 s56, s34, s56
	s_addc_u32 s57, s35, s57
	global_load_dword v5, v10, s[56:57]
	s_waitcnt vmcnt(0) lgkmcnt(0)
	v_fmac_f32_e32 v4, s22, v5
	s_branch .LBB61_9
.LBB61_34:
	s_mov_b64 s[0:1], 0
.LBB61_35:
	s_andn2_b64 vcc, exec, s[0:1]
	s_cbranch_vccnz .LBB61_71
; %bb.36:
	s_load_dwordx2 s[8:9], s[4:5], 0x18
	s_sub_u32 s10, s6, s40
	s_subb_u32 s11, s7, s41
	s_lshl_b64 s[0:1], s[6:7], 2
	s_mov_b32 s19, 0
	s_waitcnt lgkmcnt(0)
	s_add_u32 s2, s8, s0
	s_addc_u32 s3, s9, s1
	s_load_dword s18, s[2:3], 0x0
	s_cmp_eq_u64 s[40:41], 0
	s_cselect_b64 s[12:13], -1, 0
	s_cmp_lg_u64 s[40:41], 0
	v_cmp_eq_u32_e64 s[0:1], 0, v0
	s_cselect_b64 s[6:7], -1, 0
	s_and_b64 s[14:15], s[0:1], s[12:13]
	v_mov_b32_e32 v1, 0
	s_and_saveexec_b64 s[12:13], s[14:15]
	s_cbranch_execz .LBB61_40
; %bb.37:
	s_lshl_b64 s[16:17], s[36:37], 2
	s_add_u32 s16, s34, s16
	s_addc_u32 s17, s35, s17
	s_load_dword s20, s[16:17], 0x0
	s_mov_b64 s[14:15], exec
	v_mbcnt_lo_u32_b32 v2, s14, 0
	v_mbcnt_hi_u32_b32 v2, s15, v2
	v_add_f32_e64 v1, s22, -1.0
	v_cmp_eq_u32_e32 vcc, 0, v2
	s_waitcnt vmcnt(0) expcnt(0) lgkmcnt(0)
	s_and_saveexec_b64 s[16:17], vcc
	s_cbranch_execz .LBB61_39
; %bb.38:
	s_lshl_b64 s[50:51], s[10:11], 2
	s_add_u32 s50, s8, s50
	s_addc_u32 s51, s9, s51
	s_bcnt1_i32_b64 s14, s[14:15]
	s_and_b32 s14, s14, 1
	v_mov_b32_e32 v2, 0
	v_mov_b32_e32 v3, s14
	global_atomic_xor v2, v3, s[50:51]
.LBB61_39:
	s_or_b64 exec, exec, s[16:17]
	v_mul_f32_e32 v1, s20, v1
.LBB61_40:
	s_or_b64 exec, exec, s[12:13]
	s_mul_i32 s12, s41, 0xc00
	s_mul_hi_u32 s13, s40, 0xc00
	s_add_i32 s14, s13, s12
	s_load_dwordx2 s[12:13], s[44:45], 0x8
	s_sub_u32 s16, s42, s48
	s_mul_i32 s15, s40, 0xc00
	s_subb_u32 s17, s43, 0
	s_add_u32 s16, s16, s15
	s_addc_u32 s17, s17, s14
	s_waitcnt lgkmcnt(0)
	s_sub_u32 s14, s12, s48
	v_mov_b32_e32 v3, s17
	v_add_co_u32_e32 v2, vcc, s16, v0
	s_subb_u32 s15, s13, 0
	v_addc_co_u32_e32 v3, vcc, 0, v3, vcc
	v_cmp_gt_i64_e32 vcc, s[14:15], v[2:3]
	s_and_saveexec_b64 s[12:13], vcc
	s_cbranch_execz .LBB61_44
; %bb.41:
	s_add_u32 s16, s16, 0xc00
	s_addc_u32 s17, s17, 0
	v_pk_mov_b32 v[4:5], s[14:15], s[14:15] op_sel:[0,1]
	v_cmp_lt_i64_e32 vcc, s[16:17], v[4:5]
	v_lshlrev_b64 v[4:5], 3, v[2:3]
	s_and_b64 s[20:21], vcc, exec
	v_mov_b32_e32 v6, s27
	v_add_co_u32_e32 v4, vcc, s26, v4
	s_cselect_b32 s15, s17, s15
	s_cselect_b32 s14, s16, s14
	v_addc_co_u32_e32 v5, vcc, v6, v5, vcc
	s_mov_b64 s[16:17], 0
	v_mov_b32_e32 v6, s29
	v_mov_b32_e32 v7, s19
	;; [unrolled: 1-line block ×3, first 2 shown]
.LBB61_42:                              ; =>This Inner Loop Header: Depth=1
	global_load_dwordx2 v[10:11], v[4:5], off
	v_add_co_u32_e32 v12, vcc, s28, v2
	v_addc_co_u32_e32 v13, vcc, v6, v3, vcc
	global_load_sbyte v9, v[12:13], off
	s_waitcnt vmcnt(1)
	v_subrev_co_u32_e32 v10, vcc, s48, v10
	v_subb_co_u32_e32 v11, vcc, v11, v7, vcc
	v_add_co_u32_e32 v10, vcc, s30, v10
	v_addc_co_u32_e32 v11, vcc, v8, v11, vcc
	global_load_sbyte v10, v[10:11], off
	v_add_co_u32_e32 v2, vcc, 0x100, v2
	s_waitcnt vmcnt(1)
	v_cvt_f32_i32_e32 v9, v9
	v_addc_co_u32_e32 v3, vcc, 0, v3, vcc
	v_add_co_u32_e32 v4, vcc, 0x800, v4
	v_addc_co_u32_e32 v5, vcc, 0, v5, vcc
	v_cmp_le_i64_e32 vcc, s[14:15], v[2:3]
	v_mul_f32_e32 v9, s46, v9
	s_or_b64 s[16:17], vcc, s[16:17]
	s_waitcnt vmcnt(0)
	v_cvt_f32_i32_e32 v10, v10
	v_fmac_f32_e32 v1, v9, v10
	s_andn2_b64 exec, exec, s[16:17]
	s_cbranch_execnz .LBB61_42
; %bb.43:
	s_or_b64 exec, exec, s[16:17]
.LBB61_44:
	s_or_b64 exec, exec, s[12:13]
	s_movk_i32 s12, 0x80
	v_lshlrev_b32_e32 v2, 2, v0
	v_cmp_gt_u32_e32 vcc, s12, v0
	ds_write_b32 v2, v1
	s_waitcnt lgkmcnt(0)
	s_barrier
	s_and_saveexec_b64 s[12:13], vcc
	s_cbranch_execz .LBB61_46
; %bb.45:
	ds_read2st64_b32 v[4:5], v2 offset1:2
	s_waitcnt lgkmcnt(0)
	v_add_f32_e32 v1, v4, v5
	ds_write_b32 v2, v1
.LBB61_46:
	s_or_b64 exec, exec, s[12:13]
	v_cmp_gt_u32_e32 vcc, 64, v0
	s_waitcnt lgkmcnt(0)
	s_barrier
	s_and_saveexec_b64 s[12:13], vcc
	s_cbranch_execz .LBB61_48
; %bb.47:
	ds_read2st64_b32 v[4:5], v2 offset1:1
	s_waitcnt lgkmcnt(0)
	v_add_f32_e32 v1, v4, v5
	ds_write_b32 v2, v1
.LBB61_48:
	s_or_b64 exec, exec, s[12:13]
	v_cmp_gt_u32_e32 vcc, 32, v0
	s_waitcnt lgkmcnt(0)
	s_barrier
	s_and_saveexec_b64 s[12:13], vcc
	s_cbranch_execz .LBB61_50
; %bb.49:
	ds_read2_b32 v[4:5], v2 offset1:32
	s_waitcnt lgkmcnt(0)
	v_add_f32_e32 v1, v4, v5
	ds_write_b32 v2, v1
.LBB61_50:
	s_or_b64 exec, exec, s[12:13]
	v_cmp_gt_u32_e32 vcc, 16, v0
	s_waitcnt lgkmcnt(0)
	s_barrier
	s_and_saveexec_b64 s[12:13], vcc
	s_cbranch_execz .LBB61_52
; %bb.51:
	ds_read2_b32 v[4:5], v2 offset1:16
	s_waitcnt lgkmcnt(0)
	v_add_f32_e32 v1, v4, v5
	ds_write_b32 v2, v1
.LBB61_52:
	;; [unrolled: 12-line block ×5, first 2 shown]
	s_or_b64 exec, exec, s[12:13]
	s_waitcnt lgkmcnt(0)
	s_barrier
	s_and_saveexec_b64 s[12:13], s[0:1]
	s_cbranch_execz .LBB61_60
; %bb.59:
	v_mov_b32_e32 v1, 0
	ds_read_b64 v[2:3], v1
	s_waitcnt lgkmcnt(0)
	v_add_f32_e32 v2, v2, v3
	ds_write_b32 v1, v2
.LBB61_60:
	s_or_b64 exec, exec, s[12:13]
	s_waitcnt lgkmcnt(0)
	s_barrier
	s_and_saveexec_b64 s[12:13], s[0:1]
	s_cbranch_execz .LBB61_70
; %bb.61:
	s_andn2_b64 vcc, exec, s[6:7]
	s_cbranch_vccnz .LBB61_67
; %bb.62:
	s_lshl_b64 s[0:1], s[10:11], 2
	s_add_u32 s0, s8, s0
	s_addc_u32 s1, s9, s1
	v_mov_b32_e32 v1, 0
	s_branch .LBB61_64
.LBB61_63:                              ;   in Loop: Header=BB61_64 Depth=1
	s_or_b64 exec, exec, s[6:7]
	s_waitcnt vmcnt(0)
	v_readfirstlane_b32 s6, v2
	s_cmp_eq_u32 s6, s18
	s_cbranch_scc0 .LBB61_66
.LBB61_64:                              ; =>This Inner Loop Header: Depth=1
	v_mbcnt_lo_u32_b32 v2, exec_lo, 0
	v_mbcnt_hi_u32_b32 v2, exec_hi, v2
	v_cmp_eq_u32_e32 vcc, 0, v2
                                        ; implicit-def: $vgpr2
	s_and_saveexec_b64 s[6:7], vcc
	s_cbranch_execz .LBB61_63
; %bb.65:                               ;   in Loop: Header=BB61_64 Depth=1
	global_load_dword v2, v1, s[0:1] glc
	s_branch .LBB61_63
.LBB61_66:
	v_mov_b32_e32 v1, 0
	global_load_dword v2, v1, s[2:3]
	s_waitcnt vmcnt(0)
	v_xor_b32_e32 v2, 1, v2
	global_store_dword v1, v2, s[2:3]
.LBB61_67:
	s_mov_b64 s[2:3], exec
	v_mbcnt_lo_u32_b32 v1, s2, 0
	v_mbcnt_hi_u32_b32 v1, s3, v1
	v_cmp_eq_u32_e32 vcc, 0, v1
	s_and_b64 s[0:1], exec, vcc
	s_mov_b64 exec, s[0:1]
	s_cbranch_execz .LBB61_70
; %bb.68:
	s_lshl_b64 s[0:1], s[36:37], 2
	s_add_u32 s0, s34, s0
	s_addc_u32 s1, s35, s1
	v_mov_b32_e32 v1, 0
	global_load_dword v3, v1, s[0:1]
	ds_read_b32 v2, v1
	s_bcnt1_i32_b64 s2, s[2:3]
	v_cvt_f32_ubyte0_e32 v4, s2
	s_mov_b64 s[2:3], 0
	s_waitcnt lgkmcnt(0)
	v_mul_f32_e32 v4, v2, v4
.LBB61_69:                              ; =>This Inner Loop Header: Depth=1
	s_waitcnt vmcnt(0)
	v_add_f32_e32 v2, v3, v4
	global_atomic_cmpswap v2, v1, v[2:3], s[0:1] glc
	s_waitcnt vmcnt(0)
	v_cmp_eq_u32_e32 vcc, v2, v3
	s_or_b64 s[2:3], vcc, s[2:3]
	v_mov_b32_e32 v3, v2
	s_andn2_b64 exec, exec, s[2:3]
	s_cbranch_execnz .LBB61_69
.LBB61_70:
	s_or_b64 exec, exec, s[12:13]
.LBB61_71:
	s_mov_b64 s[2:3], 0
.LBB61_72:
	s_andn2_b64 vcc, exec, s[2:3]
	s_cbranch_vccnz .LBB61_116
; %bb.73:
	s_load_dwordx2 s[0:1], s[4:5], 0x8
	v_subrev_co_u32_e32 v1, vcc, s48, v0
	v_subb_co_u32_e64 v3, s[2:3], 0, 0, vcc
	s_waitcnt lgkmcnt(0)
	v_mov_b32_e32 v4, s43
	v_add_co_u32_e32 v2, vcc, s42, v1
	v_addc_co_u32_e32 v3, vcc, v4, v3, vcc
	v_add_co_u32_e32 v4, vcc, 0x300, v2
	v_addc_co_u32_e32 v5, vcc, 0, v3, vcc
	s_mov_b32 s8, 0
	v_cmp_le_i64_e32 vcc, s[0:1], v[4:5]
	s_and_saveexec_b64 s[0:1], vcc
	s_xor_b64 s[0:1], exec, s[0:1]
	s_cbranch_execz .LBB61_78
; %bb.74:
	s_lshl_b64 s[2:3], s[38:39], 3
	s_add_u32 s2, s24, s2
	s_addc_u32 s3, s25, s3
	s_load_dwordx2 s[2:3], s[2:3], 0x0
	s_waitcnt lgkmcnt(0)
	s_sub_u32 s2, s2, s48
	s_subb_u32 s3, s3, 0
	v_cmp_gt_i64_e32 vcc, s[2:3], v[2:3]
	s_and_saveexec_b64 s[4:5], vcc
	s_cbranch_execz .LBB61_77
; %bb.75:
	v_lshlrev_b64 v[4:5], 3, v[2:3]
	v_mov_b32_e32 v6, s27
	v_add_co_u32_e32 v4, vcc, s26, v4
	v_lshlrev_b32_e32 v1, 2, v0
	v_addc_co_u32_e32 v5, vcc, v6, v5, vcc
	s_mov_b64 s[6:7], 0
	v_mov_b32_e32 v6, s29
	v_mov_b32_e32 v7, s8
	;; [unrolled: 1-line block ×3, first 2 shown]
.LBB61_76:                              ; =>This Inner Loop Header: Depth=1
	global_load_dwordx2 v[10:11], v[4:5], off
	v_add_co_u32_e32 v12, vcc, s28, v2
	v_addc_co_u32_e32 v13, vcc, v6, v3, vcc
	global_load_sbyte v9, v[12:13], off
	s_waitcnt vmcnt(1)
	v_subrev_co_u32_e32 v10, vcc, s48, v10
	v_subb_co_u32_e32 v11, vcc, v11, v7, vcc
	v_add_co_u32_e32 v10, vcc, s30, v10
	v_addc_co_u32_e32 v11, vcc, v8, v11, vcc
	global_load_sbyte v10, v[10:11], off
	s_waitcnt vmcnt(1)
	v_cvt_f32_i32_e32 v9, v9
	v_add_co_u32_e32 v2, vcc, 0x100, v2
	v_addc_co_u32_e32 v3, vcc, 0, v3, vcc
	v_add_co_u32_e32 v4, vcc, 0x800, v4
	v_addc_co_u32_e32 v5, vcc, 0, v5, vcc
	v_mul_f32_e32 v9, s46, v9
	v_cmp_le_i64_e32 vcc, s[2:3], v[2:3]
	s_or_b64 s[6:7], vcc, s[6:7]
	s_waitcnt vmcnt(0)
	v_cvt_f32_i32_e32 v10, v10
	v_mul_f32_e32 v9, v9, v10
	ds_write_b32 v1, v9
	v_add_u32_e32 v1, 0x400, v1
	s_andn2_b64 exec, exec, s[6:7]
	s_cbranch_execnz .LBB61_76
.LBB61_77:
	s_or_b64 exec, exec, s[4:5]
                                        ; implicit-def: $vgpr2
.LBB61_78:
	s_or_saveexec_b64 s[0:1], s[0:1]
	v_lshlrev_b32_e32 v10, 2, v0
	s_xor_b64 exec, exec, s[0:1]
	s_cbranch_execz .LBB61_80
; %bb.79:
	v_lshlrev_b64 v[4:5], 3, v[2:3]
	v_mov_b32_e32 v1, s27
	v_add_co_u32_e32 v4, vcc, s26, v4
	v_addc_co_u32_e32 v5, vcc, v1, v5, vcc
	global_load_dwordx2 v[6:7], v[4:5], off
	global_load_dwordx2 v[8:9], v[4:5], off offset:2048
	s_movk_i32 s2, 0x1000
	v_add_co_u32_e32 v4, vcc, s2, v4
	v_addc_co_u32_e32 v5, vcc, 0, v5, vcc
	global_load_dwordx2 v[12:13], v[4:5], off
	global_load_dwordx2 v[14:15], v[4:5], off offset:2048
	v_mov_b32_e32 v1, s29
	v_add_co_u32_e32 v2, vcc, s28, v2
	v_addc_co_u32_e32 v3, vcc, v1, v3, vcc
	v_mov_b32_e32 v11, s8
	global_load_sbyte v1, v[2:3], off
	global_load_sbyte v17, v[2:3], off offset:256
	global_load_sbyte v18, v[2:3], off offset:512
	;; [unrolled: 1-line block ×3, first 2 shown]
	v_mov_b32_e32 v16, s31
	s_waitcnt vmcnt(7)
	v_subrev_co_u32_e32 v2, vcc, s48, v6
	v_subb_co_u32_e32 v3, vcc, v7, v11, vcc
	s_waitcnt vmcnt(6)
	v_subrev_co_u32_e32 v4, vcc, s48, v8
	v_subb_co_u32_e32 v5, vcc, v9, v11, vcc
	v_add_co_u32_e32 v2, vcc, s30, v2
	v_addc_co_u32_e32 v3, vcc, v16, v3, vcc
	v_add_co_u32_e32 v4, vcc, s30, v4
	v_addc_co_u32_e32 v5, vcc, v16, v5, vcc
	s_waitcnt vmcnt(5)
	v_subrev_co_u32_e32 v6, vcc, s48, v12
	v_subb_co_u32_e32 v7, vcc, v13, v11, vcc
	s_waitcnt vmcnt(4)
	v_subrev_co_u32_e32 v8, vcc, s48, v14
	v_subb_co_u32_e32 v9, vcc, v15, v11, vcc
	global_load_sbyte v11, v[2:3], off
	global_load_sbyte v12, v[4:5], off
	v_add_co_u32_e32 v2, vcc, s30, v6
	v_addc_co_u32_e32 v3, vcc, v16, v7, vcc
	v_add_co_u32_e32 v4, vcc, s30, v8
	v_addc_co_u32_e32 v5, vcc, v16, v9, vcc
	global_load_sbyte v6, v[2:3], off
	global_load_sbyte v7, v[4:5], off
	s_waitcnt vmcnt(7)
	v_cvt_f32_i32_e32 v1, v1
	s_waitcnt vmcnt(6)
	v_cvt_f32_i32_e32 v2, v17
	;; [unrolled: 2-line block ×4, first 2 shown]
	v_mul_f32_e32 v1, s46, v1
	v_mul_f32_e32 v2, s46, v2
	;; [unrolled: 1-line block ×4, first 2 shown]
	s_waitcnt vmcnt(3)
	v_cvt_f32_i32_e32 v5, v11
	s_waitcnt vmcnt(2)
	v_cvt_f32_i32_e32 v8, v12
	v_mul_f32_e32 v1, v1, v5
	v_mul_f32_e32 v2, v2, v8
	ds_write2st64_b32 v10, v1, v2 offset1:4
	s_waitcnt vmcnt(1)
	v_cvt_f32_i32_e32 v6, v6
	s_waitcnt vmcnt(0)
	v_cvt_f32_i32_e32 v7, v7
	v_mul_f32_e32 v1, v3, v6
	v_mul_f32_e32 v2, v4, v7
	ds_write2st64_b32 v10, v1, v2 offset0:8 offset1:12
.LBB61_80:
	s_or_b64 exec, exec, s[0:1]
	v_cmp_lt_i64_e64 s[2:3], s[40:41], 2
	s_mov_b64 s[0:1], -1
	s_and_b64 vcc, exec, s[2:3]
	s_waitcnt lgkmcnt(0)
	s_barrier
	s_cbranch_vccz .LBB61_91
; %bb.81:
	v_mov_b32_e32 v1, s37
	v_add_co_u32_e32 v6, vcc, s36, v0
	v_addc_co_u32_e32 v7, vcc, 0, v1, vcc
	v_cmp_gt_i64_e32 vcc, s[38:39], v[6:7]
	s_and_saveexec_b64 s[0:1], vcc
	s_cbranch_execz .LBB61_90
; %bb.82:
	s_lshl_b32 s4, s42, 2
	v_cmp_neq_f32_e64 s[2:3], s22, 0
	s_sub_i32 s10, 0, s4
	s_mov_b64 s[4:5], 0
	v_mov_b32_e32 v1, s25
	v_mov_b32_e32 v11, s35
	s_branch .LBB61_84
.LBB61_83:                              ;   in Loop: Header=BB61_84 Depth=1
	v_add_co_u32_e32 v2, vcc, s34, v2
	v_addc_co_u32_e32 v3, vcc, v11, v3, vcc
	v_add_co_u32_e32 v6, vcc, 0x100, v6
	v_addc_co_u32_e32 v7, vcc, 0, v7, vcc
	v_cmp_le_i64_e32 vcc, s[38:39], v[6:7]
	s_or_b64 s[4:5], vcc, s[4:5]
	global_store_dword v[2:3], v12, off
	s_andn2_b64 exec, exec, s[4:5]
	s_cbranch_execz .LBB61_90
.LBB61_84:                              ; =>This Loop Header: Depth=1
                                        ;     Child Loop BB61_86 Depth 2
	v_lshlrev_b64 v[2:3], 3, v[6:7]
	v_add_co_u32_e32 v2, vcc, s24, v2
	v_addc_co_u32_e32 v3, vcc, v1, v3, vcc
	global_load_dwordx4 v[2:5], v[2:3], off
	v_mov_b32_e32 v12, 0
	s_waitcnt vmcnt(0)
	v_cmp_lt_i64_e32 vcc, v[2:3], v[4:5]
	s_and_saveexec_b64 s[6:7], vcc
	s_cbranch_execz .LBB61_88
; %bb.85:                               ;   in Loop: Header=BB61_84 Depth=1
	v_mov_b32_e32 v9, s43
	v_subrev_co_u32_e32 v4, vcc, s42, v4
	v_subb_co_u32_e32 v5, vcc, v5, v9, vcc
	v_subrev_co_u32_e32 v8, vcc, s42, v2
	v_subb_co_u32_e32 v9, vcc, v3, v9, vcc
	v_lshl_add_u32 v2, v2, 2, s10
	s_mov_b64 s[8:9], 0
	v_mov_b32_e32 v12, 0
.LBB61_86:                              ;   Parent Loop BB61_84 Depth=1
                                        ; =>  This Inner Loop Header: Depth=2
	ds_read_b32 v3, v2
	v_add_co_u32_e32 v8, vcc, 1, v8
	v_addc_co_u32_e32 v9, vcc, 0, v9, vcc
	v_cmp_ge_i64_e32 vcc, v[8:9], v[4:5]
	v_add_u32_e32 v2, 4, v2
	s_or_b64 s[8:9], vcc, s[8:9]
	s_waitcnt lgkmcnt(0)
	v_add_f32_e32 v12, v12, v3
	s_andn2_b64 exec, exec, s[8:9]
	s_cbranch_execnz .LBB61_86
; %bb.87:                               ;   in Loop: Header=BB61_84 Depth=1
	s_or_b64 exec, exec, s[8:9]
.LBB61_88:                              ;   in Loop: Header=BB61_84 Depth=1
	s_or_b64 exec, exec, s[6:7]
	s_and_b64 vcc, exec, s[2:3]
	v_lshlrev_b64 v[2:3], 2, v[6:7]
	s_cbranch_vccz .LBB61_83
; %bb.89:                               ;   in Loop: Header=BB61_84 Depth=1
	v_mov_b32_e32 v5, s35
	v_add_co_u32_e32 v4, vcc, s34, v2
	v_addc_co_u32_e32 v5, vcc, v5, v3, vcc
	global_load_dword v4, v[4:5], off
	s_waitcnt vmcnt(0)
	v_fmac_f32_e32 v12, s22, v4
	s_branch .LBB61_83
.LBB61_90:
	s_or_b64 exec, exec, s[0:1]
	s_mov_b64 s[0:1], 0
.LBB61_91:
	s_andn2_b64 vcc, exec, s[0:1]
	s_cbranch_vccnz .LBB61_116
; %bb.92:
	s_flbit_i32_b32 s0, s40
	s_min_u32 s0, s0, 32
	s_sub_i32 s0, 31, s0
	v_lshrrev_b32_e32 v4, s0, v0
	v_mov_b32_e32 v1, s37
	v_add_co_u32_e32 v2, vcc, s36, v4
	v_addc_co_u32_e32 v3, vcc, 0, v1, vcc
	s_add_i32 s0, s40, -1
	v_mov_b32_e32 v8, 0
	v_and_b32_e64 v1, s0, 0
	v_and_b32_e32 v0, s0, v0
	v_cmp_le_i64_e64 s[0:1], s[38:39], v[2:3]
	v_cmp_gt_i64_e32 vcc, s[38:39], v[2:3]
	s_and_saveexec_b64 s[2:3], vcc
	s_cbranch_execz .LBB61_98
; %bb.93:
	v_lshlrev_b32_e32 v4, 3, v4
	global_load_dwordx4 v[6:9], v4, s[44:45]
	v_mov_b32_e32 v5, s43
	v_subrev_co_u32_e32 v11, vcc, s42, v0
	v_subb_co_u32_e32 v12, vcc, v1, v5, vcc
	s_waitcnt vmcnt(0)
	v_subrev_co_u32_e32 v4, vcc, s42, v8
	v_subb_co_u32_e32 v5, vcc, v9, v5, vcc
	v_add_co_u32_e32 v6, vcc, v6, v11
	v_addc_co_u32_e32 v7, vcc, v7, v12, vcc
	v_cmp_lt_i64_e32 vcc, v[6:7], v[4:5]
	v_mov_b32_e32 v8, 0
	s_and_saveexec_b64 s[4:5], vcc
	s_cbranch_execz .LBB61_97
; %bb.94:
	v_lshlrev_b32_e32 v9, 2, v6
	s_lshl_b32 s8, s40, 2
	s_mov_b64 s[6:7], 0
	v_mov_b32_e32 v8, 0
	v_mov_b32_e32 v11, s41
.LBB61_95:                              ; =>This Inner Loop Header: Depth=1
	ds_read_b32 v12, v9
	v_add_co_u32_e32 v6, vcc, s40, v6
	v_addc_co_u32_e32 v7, vcc, v7, v11, vcc
	v_cmp_ge_i64_e32 vcc, v[6:7], v[4:5]
	v_add_u32_e32 v9, s8, v9
	s_or_b64 s[6:7], vcc, s[6:7]
	s_waitcnt lgkmcnt(0)
	v_add_f32_e32 v8, v8, v12
	s_andn2_b64 exec, exec, s[6:7]
	s_cbranch_execnz .LBB61_95
; %bb.96:
	s_or_b64 exec, exec, s[6:7]
.LBB61_97:
	s_or_b64 exec, exec, s[4:5]
.LBB61_98:
	s_or_b64 exec, exec, s[2:3]
	v_mov_b32_e32 v4, 0x81
	v_mov_b32_e32 v5, 0
	v_cmp_lt_i64_e32 vcc, s[40:41], v[4:5]
	s_and_b64 vcc, exec, vcc
	s_barrier
	ds_write_b32 v10, v8
	s_waitcnt lgkmcnt(0)
	s_barrier
	s_cbranch_vccnz .LBB61_100
; %bb.99:
	ds_read_b32 v4, v10 offset:512
	s_waitcnt lgkmcnt(0)
	s_barrier
	v_add_f32_e32 v8, v8, v4
	ds_write_b32 v10, v8
.LBB61_100:
	v_mov_b32_e32 v4, 0x41
	v_mov_b32_e32 v5, 0
	v_cmp_lt_i64_e32 vcc, s[40:41], v[4:5]
	s_waitcnt lgkmcnt(0)
	s_barrier
	s_cbranch_vccnz .LBB61_102
; %bb.101:
	ds_read_b32 v4, v10 offset:256
	s_waitcnt lgkmcnt(0)
	s_barrier
	v_add_f32_e32 v8, v8, v4
	ds_write_b32 v10, v8
.LBB61_102:
	v_cmp_lt_i64_e64 s[2:3], s[40:41], 33
	s_and_b64 vcc, exec, s[2:3]
	s_waitcnt lgkmcnt(0)
	s_barrier
	s_cbranch_vccnz .LBB61_104
; %bb.103:
	ds_read_b32 v4, v10 offset:128
	s_waitcnt lgkmcnt(0)
	s_barrier
	v_add_f32_e32 v8, v8, v4
	ds_write_b32 v10, v8
.LBB61_104:
	v_cmp_lt_i64_e64 s[2:3], s[40:41], 17
	s_and_b64 vcc, exec, s[2:3]
	;; [unrolled: 12-line block ×4, first 2 shown]
	s_waitcnt lgkmcnt(0)
	s_barrier
	s_cbranch_vccnz .LBB61_110
; %bb.109:
	ds_read_b32 v4, v10 offset:16
	s_waitcnt lgkmcnt(0)
	s_barrier
	v_add_f32_e32 v8, v8, v4
	ds_write_b32 v10, v8
.LBB61_110:
	s_cmp_eq_u64 s[40:41], 2
	s_waitcnt lgkmcnt(0)
	s_barrier
	s_cbranch_scc1 .LBB61_112
; %bb.111:
	ds_read_b32 v4, v10 offset:8
	s_waitcnt lgkmcnt(0)
	s_barrier
	v_add_f32_e32 v8, v8, v4
	ds_write_b32 v10, v8
.LBB61_112:
	s_waitcnt lgkmcnt(0)
	s_barrier
	ds_read_b32 v4, v10 offset:4
	v_cmp_eq_u64_e32 vcc, 0, v[0:1]
	s_xor_b64 s[0:1], s[0:1], -1
	s_and_b64 s[0:1], vcc, s[0:1]
	s_waitcnt lgkmcnt(0)
	v_add_f32_e32 v4, v8, v4
	s_barrier
	ds_write_b32 v10, v4
	s_and_saveexec_b64 s[2:3], s[0:1]
	s_cbranch_execz .LBB61_116
; %bb.113:
	v_cmp_eq_f32_e64 s[0:1], s22, 0
	s_and_b64 vcc, exec, s[0:1]
	v_lshlrev_b64 v[0:1], 2, v[2:3]
	s_cbranch_vccnz .LBB61_115
; %bb.114:
	v_mov_b32_e32 v3, s35
	v_add_co_u32_e32 v2, vcc, s34, v0
	v_addc_co_u32_e32 v3, vcc, v3, v1, vcc
	global_load_dword v2, v[2:3], off
	s_waitcnt vmcnt(0)
	v_fmac_f32_e32 v4, s22, v2
.LBB61_115:
	v_mov_b32_e32 v2, s35
	v_add_co_u32_e32 v0, vcc, s34, v0
	v_addc_co_u32_e32 v1, vcc, v2, v1, vcc
	global_store_dword v[0:1], v4, off
.LBB61_116:
	s_endpgm
	.section	.rodata,"a",@progbits
	.p2align	6, 0x0
	.amdhsa_kernel _ZN9rocsparseL22csrmvn_adaptive_kernelIllaaffEEvbT_PKS1_PjPKT0_NS_24const_host_device_scalarIT4_EES3_S7_PKT1_PKT2_SA_PT3_21rocsparse_index_base_b
		.amdhsa_group_segment_fixed_size 4096
		.amdhsa_private_segment_fixed_size 0
		.amdhsa_kernarg_size 104
		.amdhsa_user_sgpr_count 6
		.amdhsa_user_sgpr_private_segment_buffer 1
		.amdhsa_user_sgpr_dispatch_ptr 0
		.amdhsa_user_sgpr_queue_ptr 0
		.amdhsa_user_sgpr_kernarg_segment_ptr 1
		.amdhsa_user_sgpr_dispatch_id 0
		.amdhsa_user_sgpr_flat_scratch_init 0
		.amdhsa_user_sgpr_kernarg_preload_length 0
		.amdhsa_user_sgpr_kernarg_preload_offset 0
		.amdhsa_user_sgpr_private_segment_size 0
		.amdhsa_uses_dynamic_stack 0
		.amdhsa_system_sgpr_private_segment_wavefront_offset 0
		.amdhsa_system_sgpr_workgroup_id_x 1
		.amdhsa_system_sgpr_workgroup_id_y 0
		.amdhsa_system_sgpr_workgroup_id_z 0
		.amdhsa_system_sgpr_workgroup_info 0
		.amdhsa_system_vgpr_workitem_id 0
		.amdhsa_next_free_vgpr 20
		.amdhsa_next_free_sgpr 60
		.amdhsa_accum_offset 20
		.amdhsa_reserve_vcc 1
		.amdhsa_reserve_flat_scratch 0
		.amdhsa_float_round_mode_32 0
		.amdhsa_float_round_mode_16_64 0
		.amdhsa_float_denorm_mode_32 3
		.amdhsa_float_denorm_mode_16_64 3
		.amdhsa_dx10_clamp 1
		.amdhsa_ieee_mode 1
		.amdhsa_fp16_overflow 0
		.amdhsa_tg_split 0
		.amdhsa_exception_fp_ieee_invalid_op 0
		.amdhsa_exception_fp_denorm_src 0
		.amdhsa_exception_fp_ieee_div_zero 0
		.amdhsa_exception_fp_ieee_overflow 0
		.amdhsa_exception_fp_ieee_underflow 0
		.amdhsa_exception_fp_ieee_inexact 0
		.amdhsa_exception_int_div_zero 0
	.end_amdhsa_kernel
	.section	.text._ZN9rocsparseL22csrmvn_adaptive_kernelIllaaffEEvbT_PKS1_PjPKT0_NS_24const_host_device_scalarIT4_EES3_S7_PKT1_PKT2_SA_PT3_21rocsparse_index_base_b,"axG",@progbits,_ZN9rocsparseL22csrmvn_adaptive_kernelIllaaffEEvbT_PKS1_PjPKT0_NS_24const_host_device_scalarIT4_EES3_S7_PKT1_PKT2_SA_PT3_21rocsparse_index_base_b,comdat
.Lfunc_end61:
	.size	_ZN9rocsparseL22csrmvn_adaptive_kernelIllaaffEEvbT_PKS1_PjPKT0_NS_24const_host_device_scalarIT4_EES3_S7_PKT1_PKT2_SA_PT3_21rocsparse_index_base_b, .Lfunc_end61-_ZN9rocsparseL22csrmvn_adaptive_kernelIllaaffEEvbT_PKS1_PjPKT0_NS_24const_host_device_scalarIT4_EES3_S7_PKT1_PKT2_SA_PT3_21rocsparse_index_base_b
                                        ; -- End function
	.section	.AMDGPU.csdata,"",@progbits
; Kernel info:
; codeLenInByte = 3980
; NumSgprs: 64
; NumVgprs: 20
; NumAgprs: 0
; TotalNumVgprs: 20
; ScratchSize: 0
; MemoryBound: 0
; FloatMode: 240
; IeeeMode: 1
; LDSByteSize: 4096 bytes/workgroup (compile time only)
; SGPRBlocks: 7
; VGPRBlocks: 2
; NumSGPRsForWavesPerEU: 64
; NumVGPRsForWavesPerEU: 20
; AccumOffset: 20
; Occupancy: 8
; WaveLimiterHint : 1
; COMPUTE_PGM_RSRC2:SCRATCH_EN: 0
; COMPUTE_PGM_RSRC2:USER_SGPR: 6
; COMPUTE_PGM_RSRC2:TRAP_HANDLER: 0
; COMPUTE_PGM_RSRC2:TGID_X_EN: 1
; COMPUTE_PGM_RSRC2:TGID_Y_EN: 0
; COMPUTE_PGM_RSRC2:TGID_Z_EN: 0
; COMPUTE_PGM_RSRC2:TIDIG_COMP_CNT: 0
; COMPUTE_PGM_RSRC3_GFX90A:ACCUM_OFFSET: 4
; COMPUTE_PGM_RSRC3_GFX90A:TG_SPLIT: 0
	.section	.text._ZN9rocsparseL27csrmvn_symm_adaptive_kernelIllaaffEEvbT_S1_PKS1_NS_24const_host_device_scalarIT4_EES3_PKT0_PKT1_PKT2_S6_PT3_21rocsparse_index_base_b,"axG",@progbits,_ZN9rocsparseL27csrmvn_symm_adaptive_kernelIllaaffEEvbT_S1_PKS1_NS_24const_host_device_scalarIT4_EES3_PKT0_PKT1_PKT2_S6_PT3_21rocsparse_index_base_b,comdat
	.globl	_ZN9rocsparseL27csrmvn_symm_adaptive_kernelIllaaffEEvbT_S1_PKS1_NS_24const_host_device_scalarIT4_EES3_PKT0_PKT1_PKT2_S6_PT3_21rocsparse_index_base_b ; -- Begin function _ZN9rocsparseL27csrmvn_symm_adaptive_kernelIllaaffEEvbT_S1_PKS1_NS_24const_host_device_scalarIT4_EES3_PKT0_PKT1_PKT2_S6_PT3_21rocsparse_index_base_b
	.p2align	8
	.type	_ZN9rocsparseL27csrmvn_symm_adaptive_kernelIllaaffEEvbT_S1_PKS1_NS_24const_host_device_scalarIT4_EES3_PKT0_PKT1_PKT2_S6_PT3_21rocsparse_index_base_b,@function
_ZN9rocsparseL27csrmvn_symm_adaptive_kernelIllaaffEEvbT_S1_PKS1_NS_24const_host_device_scalarIT4_EES3_PKT0_PKT1_PKT2_S6_PT3_21rocsparse_index_base_b: ; @_ZN9rocsparseL27csrmvn_symm_adaptive_kernelIllaaffEEvbT_S1_PKS1_NS_24const_host_device_scalarIT4_EES3_PKT0_PKT1_PKT2_S6_PT3_21rocsparse_index_base_b
; %bb.0:
	s_load_dwordx2 s[28:29], s[4:5], 0x58
	s_load_dwordx2 s[36:37], s[4:5], 0x20
	;; [unrolled: 1-line block ×3, first 2 shown]
	s_waitcnt lgkmcnt(0)
	s_bitcmp1_b32 s29, 0
	s_cselect_b64 s[8:9], -1, 0
	s_xor_b64 s[2:3], s[8:9], -1
	s_and_b64 vcc, exec, s[8:9]
	s_cbranch_vccnz .LBB62_2
; %bb.1:
	s_load_dword s36, s[36:37], 0x0
.LBB62_2:
	s_andn2_b64 vcc, exec, s[2:3]
	s_cbranch_vccnz .LBB62_4
; %bb.3:
	s_load_dword s0, s[0:1], 0x0
.LBB62_4:
	s_waitcnt lgkmcnt(0)
	v_cmp_neq_f32_e64 s[2:3], s36, 0
	v_cmp_neq_f32_e64 s[0:1], s0, 1.0
	s_or_b64 s[0:1], s[2:3], s[0:1]
	s_andn2_b64 vcc, exec, s[0:1]
	s_cbranch_vccnz .LBB62_177
; %bb.5:
	s_load_dwordx2 s[0:1], s[4:5], 0x18
	s_ashr_i32 s7, s6, 31
	s_lshl_b64 s[2:3], s[6:7], 3
	v_lshlrev_b32_e32 v16, 2, v0
	v_mov_b32_e32 v1, 0
	s_waitcnt lgkmcnt(0)
	s_add_u32 s0, s0, s2
	s_addc_u32 s1, s1, s3
	ds_write2st64_b32 v16, v1, v1 offset1:4
	ds_write2st64_b32 v16, v1, v1 offset0:8 offset1:12
	s_waitcnt lgkmcnt(0)
	s_barrier
	s_load_dwordx4 s[20:23], s[0:1], 0x0
	s_load_dwordx8 s[12:19], s[4:5], 0x28
	s_load_dwordx2 s[24:25], s[4:5], 0x50
	s_mov_b64 s[0:1], -1
	s_waitcnt lgkmcnt(0)
	s_sub_u32 s26, s22, s20
	s_subb_u32 s27, s23, s21
	v_cmp_gt_i64_e64 s[2:3], s[26:27], 2
	s_and_b64 vcc, exec, s[2:3]
	s_cbranch_vccnz .LBB62_40
; %bb.6:
	v_pk_mov_b32 v[2:3], s[20:21], s[20:21] op_sel:[0,1]
	v_cmp_gt_i64_e32 vcc, s[22:23], v[2:3]
	v_subrev_co_u32_e64 v1, s[0:1], s28, v0
	s_mov_b32 s29, 0
	v_subb_co_u32_e64 v8, s[0:1], 0, 0, s[0:1]
	s_cbranch_vccnz .LBB62_8
; %bb.7:
	s_lshl_b64 s[0:1], s[20:21], 3
	s_add_u32 s0, s12, s0
	s_addc_u32 s1, s13, s1
	s_load_dwordx2 s[30:31], s[0:1], 0x0
	s_cbranch_execz .LBB62_9
	s_branch .LBB62_29
.LBB62_8:
                                        ; implicit-def: $sgpr30_sgpr31
.LBB62_9:
	s_waitcnt lgkmcnt(0)
	s_lshl_b64 s[30:31], s[20:21], 3
	s_add_u32 s30, s12, s30
	s_addc_u32 s31, s13, s31
	s_load_dwordx2 s[30:31], s[30:31], 0x0
	s_movk_i32 s0, 0x100
	s_add_u32 s33, s12, 8
	v_cmp_gt_u32_e64 s[0:1], s0, v0
	v_cmp_gt_u32_e64 s[2:3], 64, v0
	;; [unrolled: 1-line block ×4, first 2 shown]
	v_cmp_eq_u32_e64 s[10:11], 0, v0
	s_addc_u32 s37, s13, 0
	v_mov_b32_e32 v9, s29
	v_mov_b32_e32 v10, s17
	;; [unrolled: 1-line block ×4, first 2 shown]
	v_pk_mov_b32 v[2:3], s[22:23], s[22:23] op_sel:[0,1]
	s_waitcnt lgkmcnt(0)
	s_mov_b64 s[38:39], s[30:31]
	s_mov_b64 s[34:35], s[20:21]
	s_branch .LBB62_11
.LBB62_10:                              ;   in Loop: Header=BB62_11 Depth=1
	s_or_b64 exec, exec, s[40:41]
	s_add_u32 s34, s34, 1
	s_addc_u32 s35, s35, 0
	v_cmp_ge_i64_e32 vcc, s[34:35], v[2:3]
	s_cbranch_vccnz .LBB62_29
.LBB62_11:                              ; =>This Loop Header: Depth=1
                                        ;     Child Loop BB62_13 Depth 2
                                        ;     Child Loop BB62_28 Depth 2
	s_mov_b64 s[42:43], s[38:39]
	s_lshl_b64 s[38:39], s[34:35], 3
	s_add_u32 s38, s33, s38
	s_addc_u32 s39, s37, s39
	s_load_dwordx2 s[38:39], s[38:39], 0x0
	v_mov_b32_e32 v5, s43
	v_add_co_u32_e32 v4, vcc, s42, v1
	v_addc_co_u32_e32 v5, vcc, v5, v8, vcc
	s_waitcnt lgkmcnt(0)
	s_sub_u32 s40, s38, s28
	s_subb_u32 s41, s39, 0
	v_cmp_gt_i64_e32 vcc, s[40:41], v[4:5]
	v_mov_b32_e32 v13, 0
	s_and_saveexec_b64 s[42:43], vcc
	s_cbranch_execz .LBB62_15
; %bb.12:                               ;   in Loop: Header=BB62_11 Depth=1
	v_lshlrev_b64 v[6:7], 3, v[4:5]
	v_mov_b32_e32 v13, s15
	v_add_co_u32_e32 v6, vcc, s14, v6
	v_addc_co_u32_e32 v7, vcc, v13, v7, vcc
	s_mov_b64 s[44:45], 0
	v_mov_b32_e32 v13, 0
.LBB62_13:                              ;   Parent Loop BB62_11 Depth=1
                                        ; =>  This Inner Loop Header: Depth=2
	global_load_dwordx2 v[14:15], v[6:7], off
	v_add_co_u32_e32 v18, vcc, s16, v4
	v_addc_co_u32_e32 v19, vcc, v10, v5, vcc
	global_load_sbyte v17, v[18:19], off
	s_waitcnt vmcnt(1)
	v_subrev_co_u32_e32 v14, vcc, s28, v14
	v_subb_co_u32_e32 v15, vcc, v15, v9, vcc
	v_add_co_u32_e32 v14, vcc, s18, v14
	v_addc_co_u32_e32 v15, vcc, v11, v15, vcc
	global_load_sbyte v14, v[14:15], off
	v_add_co_u32_e32 v4, vcc, 0x100, v4
	v_addc_co_u32_e32 v5, vcc, 0, v5, vcc
	s_waitcnt vmcnt(1)
	v_cvt_f32_i32_e32 v15, v17
	v_add_co_u32_e32 v6, vcc, 0x800, v6
	v_addc_co_u32_e32 v7, vcc, 0, v7, vcc
	v_cmp_le_i64_e32 vcc, s[40:41], v[4:5]
	s_or_b64 s[44:45], vcc, s[44:45]
	s_waitcnt vmcnt(0)
	v_cvt_f32_i32_e32 v14, v14
	v_fmac_f32_e32 v13, v15, v14
	s_andn2_b64 exec, exec, s[44:45]
	s_cbranch_execnz .LBB62_13
; %bb.14:                               ;   in Loop: Header=BB62_11 Depth=1
	s_or_b64 exec, exec, s[44:45]
.LBB62_15:                              ;   in Loop: Header=BB62_11 Depth=1
	s_or_b64 exec, exec, s[42:43]
	ds_write_b32 v16, v13
	s_waitcnt lgkmcnt(0)
	s_barrier
	s_and_saveexec_b64 s[40:41], s[0:1]
	s_cbranch_execz .LBB62_17
; %bb.16:                               ;   in Loop: Header=BB62_11 Depth=1
	ds_read2st64_b32 v[4:5], v16 offset1:4
	ds_read2st64_b32 v[6:7], v16 offset0:8 offset1:12
	s_waitcnt lgkmcnt(0)
	v_add_f32_e32 v5, v5, v6
	v_add_f32_e32 v5, v5, v7
	;; [unrolled: 1-line block ×3, first 2 shown]
	ds_write_b32 v16, v4
.LBB62_17:                              ;   in Loop: Header=BB62_11 Depth=1
	s_or_b64 exec, exec, s[40:41]
	s_waitcnt lgkmcnt(0)
	s_barrier
	s_and_saveexec_b64 s[40:41], s[2:3]
	s_cbranch_execz .LBB62_19
; %bb.18:                               ;   in Loop: Header=BB62_11 Depth=1
	ds_read2st64_b32 v[4:5], v16 offset1:1
	ds_read2st64_b32 v[6:7], v16 offset0:2 offset1:3
	s_waitcnt lgkmcnt(0)
	v_add_f32_e32 v5, v5, v6
	v_add_f32_e32 v5, v5, v7
	;; [unrolled: 1-line block ×3, first 2 shown]
	ds_write_b32 v16, v4
.LBB62_19:                              ;   in Loop: Header=BB62_11 Depth=1
	s_or_b64 exec, exec, s[40:41]
	s_waitcnt lgkmcnt(0)
	s_barrier
	s_and_saveexec_b64 s[40:41], s[6:7]
	s_cbranch_execz .LBB62_21
; %bb.20:                               ;   in Loop: Header=BB62_11 Depth=1
	ds_read2_b32 v[4:5], v16 offset1:16
	ds_read2_b32 v[6:7], v16 offset0:32 offset1:48
	s_waitcnt lgkmcnt(0)
	v_add_f32_e32 v5, v5, v6
	v_add_f32_e32 v5, v5, v7
	;; [unrolled: 1-line block ×3, first 2 shown]
	ds_write_b32 v16, v4
.LBB62_21:                              ;   in Loop: Header=BB62_11 Depth=1
	s_or_b64 exec, exec, s[40:41]
	s_waitcnt lgkmcnt(0)
	s_barrier
	s_and_saveexec_b64 s[40:41], s[8:9]
	s_cbranch_execz .LBB62_23
; %bb.22:                               ;   in Loop: Header=BB62_11 Depth=1
	ds_read2_b32 v[4:5], v16 offset1:4
	ds_read2_b32 v[6:7], v16 offset0:8 offset1:12
	s_waitcnt lgkmcnt(0)
	v_add_f32_e32 v5, v5, v6
	v_add_f32_e32 v5, v5, v7
	;; [unrolled: 1-line block ×3, first 2 shown]
	ds_write_b32 v16, v4
.LBB62_23:                              ;   in Loop: Header=BB62_11 Depth=1
	s_or_b64 exec, exec, s[40:41]
	s_waitcnt lgkmcnt(0)
	s_barrier
	s_and_saveexec_b64 s[40:41], s[10:11]
	s_cbranch_execz .LBB62_25
; %bb.24:                               ;   in Loop: Header=BB62_11 Depth=1
	ds_read2_b32 v[4:5], v12 offset0:1 offset1:2
	ds_read_b32 v6, v12 offset:12
	ds_read_b32 v7, v16
	s_waitcnt lgkmcnt(2)
	v_add_f32_e32 v4, v4, v5
	s_waitcnt lgkmcnt(1)
	v_add_f32_e32 v4, v4, v6
	;; [unrolled: 2-line block ×3, first 2 shown]
	ds_write_b32 v16, v4
.LBB62_25:                              ;   in Loop: Header=BB62_11 Depth=1
	s_or_b64 exec, exec, s[40:41]
	s_waitcnt lgkmcnt(0)
	s_barrier
	s_and_saveexec_b64 s[40:41], s[10:11]
	s_cbranch_execz .LBB62_10
; %bb.26:                               ;   in Loop: Header=BB62_11 Depth=1
	s_mov_b64 s[44:45], exec
	v_mbcnt_lo_u32_b32 v4, s44, 0
	v_mbcnt_hi_u32_b32 v4, s45, v4
	v_cmp_eq_u32_e32 vcc, 0, v4
	s_and_b64 s[42:43], exec, vcc
	s_mov_b64 exec, s[42:43]
	s_cbranch_execz .LBB62_10
; %bb.27:                               ;   in Loop: Header=BB62_11 Depth=1
	s_lshl_b64 s[42:43], s[34:35], 2
	s_add_u32 s42, s24, s42
	s_addc_u32 s43, s25, s43
	global_load_dword v5, v12, s[42:43]
	ds_read_b32 v4, v12
	s_bcnt1_i32_b64 s44, s[44:45]
	v_cvt_f32_ubyte0_e32 v6, s44
	s_mov_b64 s[44:45], 0
	s_waitcnt lgkmcnt(0)
	v_mul_f32_e32 v4, s36, v4
	v_mul_f32_e32 v6, v4, v6
.LBB62_28:                              ;   Parent Loop BB62_11 Depth=1
                                        ; =>  This Inner Loop Header: Depth=2
	s_waitcnt vmcnt(0)
	v_add_f32_e32 v4, v5, v6
	global_atomic_cmpswap v4, v12, v[4:5], s[42:43] glc
	s_waitcnt vmcnt(0)
	v_cmp_eq_u32_e32 vcc, v4, v5
	s_or_b64 s[44:45], vcc, s[44:45]
	v_mov_b32_e32 v5, v4
	s_andn2_b64 exec, exec, s[44:45]
	s_cbranch_execnz .LBB62_28
	s_branch .LBB62_10
.LBB62_29:
	s_lshl_b64 s[0:1], s[22:23], 3
	s_add_u32 s0, s12, s0
	s_addc_u32 s1, s13, s1
	s_load_dwordx2 s[0:1], s[0:1], 0x0
	s_waitcnt lgkmcnt(0)
	v_mov_b32_e32 v3, s31
	v_add_co_u32_e32 v2, vcc, s30, v1
	v_addc_co_u32_e32 v3, vcc, v3, v8, vcc
	s_sub_u32 s6, s0, s28
	s_subb_u32 s7, s1, 0
	v_cmp_gt_i64_e32 vcc, s[6:7], v[2:3]
	s_and_saveexec_b64 s[8:9], vcc
	s_cbranch_execz .LBB62_39
; %bb.30:
	s_add_u32 s10, s22, -1
	s_addc_u32 s11, s23, -1
	s_add_u32 s0, s22, -2
	s_addc_u32 s1, s23, -1
	v_pk_mov_b32 v[4:5], s[20:21], s[20:21] op_sel:[0,1]
	s_cmp_lg_u64 s[0:1], s[20:21]
	v_cmp_gt_i64_e32 vcc, s[10:11], v[4:5]
	s_cselect_b64 s[0:1], -1, 0
	s_and_b64 s[0:1], vcc, s[0:1]
	v_cndmask_b32_e64 v1, 0, 1, s[0:1]
	s_mov_b64 s[30:31], 0
	v_cmp_ne_u32_e64 s[0:1], 1, v1
	v_mov_b32_e32 v1, s13
	v_mov_b32_e32 v8, s29
	;; [unrolled: 1-line block ×3, first 2 shown]
	s_branch .LBB62_32
.LBB62_31:                              ;   in Loop: Header=BB62_32 Depth=1
	s_or_b64 exec, exec, s[2:3]
	v_add_co_u32_e32 v2, vcc, 0x100, v2
	v_addc_co_u32_e32 v3, vcc, 0, v3, vcc
	v_cmp_le_i64_e32 vcc, s[6:7], v[2:3]
	s_or_b64 s[30:31], vcc, s[30:31]
	s_andn2_b64 exec, exec, s[30:31]
	s_cbranch_execz .LBB62_39
.LBB62_32:                              ; =>This Loop Header: Depth=1
                                        ;     Child Loop BB62_34 Depth 2
                                        ;     Child Loop BB62_38 Depth 2
	s_and_b64 vcc, exec, s[0:1]
	v_pk_mov_b32 v[4:5], s[20:21], s[20:21] op_sel:[0,1]
	v_pk_mov_b32 v[6:7], s[10:11], s[10:11] op_sel:[0,1]
	s_cbranch_vccnz .LBB62_36
; %bb.33:                               ;   in Loop: Header=BB62_32 Depth=1
	s_mov_b64 s[34:35], 0
	v_pk_mov_b32 v[4:5], s[20:21], s[20:21] op_sel:[0,1]
	v_pk_mov_b32 v[6:7], s[10:11], s[10:11] op_sel:[0,1]
.LBB62_34:                              ;   Parent Loop BB62_32 Depth=1
                                        ; =>  This Inner Loop Header: Depth=2
	v_add_co_u32_e32 v10, vcc, v6, v4
	v_addc_co_u32_e32 v11, vcc, v7, v5, vcc
	v_lshrrev_b32_e32 v12, 31, v11
	v_add_co_u32_e32 v10, vcc, v10, v12
	v_addc_co_u32_e32 v11, vcc, 0, v11, vcc
	v_ashrrev_i64 v[10:11], 1, v[10:11]
	v_lshlrev_b64 v[12:13], 3, v[10:11]
	v_mov_b32_e32 v14, s13
	v_add_co_u32_e32 v12, vcc, s12, v12
	v_addc_co_u32_e32 v13, vcc, v14, v13, vcc
	global_load_dwordx2 v[12:13], v[12:13], off
	v_mov_b32_e32 v14, s29
	s_waitcnt vmcnt(0)
	v_subrev_co_u32_e32 v12, vcc, s28, v12
	v_subb_co_u32_e32 v13, vcc, v13, v14, vcc
	v_cmp_gt_i64_e32 vcc, v[12:13], v[2:3]
	v_cndmask_b32_e32 v6, v6, v10, vcc
	v_cndmask_b32_e32 v7, v7, v11, vcc
	;; [unrolled: 1-line block ×3, first 2 shown]
	v_add_co_u32_e64 v10, s[2:3], -1, v6
	v_cndmask_b32_e32 v5, v11, v5, vcc
	v_addc_co_u32_e64 v11, s[2:3], -1, v7, s[2:3]
	v_cmp_ge_i64_e32 vcc, v[4:5], v[6:7]
	v_cmp_eq_u64_e64 s[2:3], v[4:5], v[10:11]
	s_or_b64 s[2:3], vcc, s[2:3]
	s_and_b64 s[2:3], exec, s[2:3]
	s_or_b64 s[34:35], s[2:3], s[34:35]
	s_andn2_b64 exec, exec, s[34:35]
	s_cbranch_execnz .LBB62_34
; %bb.35:                               ;   in Loop: Header=BB62_32 Depth=1
	s_or_b64 exec, exec, s[34:35]
.LBB62_36:                              ;   in Loop: Header=BB62_32 Depth=1
	v_lshlrev_b64 v[10:11], 3, v[6:7]
	v_add_co_u32_e32 v10, vcc, s12, v10
	v_addc_co_u32_e32 v11, vcc, v1, v11, vcc
	global_load_dwordx2 v[10:11], v[10:11], off
	v_lshlrev_b64 v[12:13], 3, v[2:3]
	v_add_co_u32_e32 v12, vcc, s14, v12
	v_addc_co_u32_e32 v13, vcc, v9, v13, vcc
	global_load_dwordx2 v[12:13], v[12:13], off
	s_waitcnt vmcnt(1)
	v_subrev_co_u32_e32 v10, vcc, s28, v10
	v_subb_co_u32_e32 v11, vcc, v11, v8, vcc
	v_cmp_gt_i64_e32 vcc, v[10:11], v[2:3]
	v_cndmask_b32_e32 v5, v7, v5, vcc
	v_cndmask_b32_e32 v4, v6, v4, vcc
	s_waitcnt vmcnt(0)
	v_subrev_co_u32_e32 v6, vcc, s28, v12
	v_subb_co_u32_e32 v7, vcc, v13, v8, vcc
	v_cmp_ne_u64_e32 vcc, v[6:7], v[4:5]
	s_and_saveexec_b64 s[2:3], vcc
	s_cbranch_execz .LBB62_31
; %bb.37:                               ;   in Loop: Header=BB62_32 Depth=1
	v_mov_b32_e32 v11, s17
	v_add_co_u32_e32 v10, vcc, s16, v2
	v_addc_co_u32_e32 v11, vcc, v11, v3, vcc
	global_load_sbyte v10, v[10:11], off
	v_mov_b32_e32 v11, s19
	v_add_co_u32_e32 v4, vcc, s18, v4
	v_addc_co_u32_e32 v5, vcc, v11, v5, vcc
	global_load_sbyte v11, v[4:5], off
	v_lshlrev_b64 v[6:7], 2, v[6:7]
	v_mov_b32_e32 v5, s25
	v_add_co_u32_e32 v4, vcc, s24, v6
	v_addc_co_u32_e32 v5, vcc, v5, v7, vcc
	global_load_dword v7, v[4:5], off
	s_mov_b64 s[34:35], 0
	s_waitcnt vmcnt(2)
	v_cvt_f32_i32_e32 v6, v10
	v_mul_f32_e32 v6, s36, v6
	s_waitcnt vmcnt(1)
	v_cvt_f32_i32_e32 v10, v11
	v_mul_f32_e32 v10, v6, v10
.LBB62_38:                              ;   Parent Loop BB62_32 Depth=1
                                        ; =>  This Inner Loop Header: Depth=2
	s_waitcnt vmcnt(0)
	v_add_f32_e32 v6, v7, v10
	global_atomic_cmpswap v6, v[4:5], v[6:7], off glc
	s_waitcnt vmcnt(0)
	v_cmp_eq_u32_e32 vcc, v6, v7
	s_or_b64 s[34:35], vcc, s[34:35]
	v_mov_b32_e32 v7, v6
	s_andn2_b64 exec, exec, s[34:35]
	s_cbranch_execnz .LBB62_38
	s_branch .LBB62_31
.LBB62_39:
	s_or_b64 exec, exec, s[8:9]
	s_mov_b64 s[0:1], 0
.LBB62_40:
	s_and_b64 vcc, exec, s[0:1]
	s_cbranch_vccz .LBB62_177
; %bb.41:
	s_load_dword s0, s[4:5], 0x6c
	s_mov_b32 s29, 0
	v_pk_mov_b32 v[2:3], s[26:27], s[26:27] op_sel:[0,1]
	s_mov_b32 s31, s29
	s_mov_b64 s[34:35], 0
	s_waitcnt lgkmcnt(0)
	s_and_b32 s30, s0, 0xffff
	v_cmp_lt_u64_e32 vcc, s[30:31], v[2:3]
	s_cbranch_vccnz .LBB62_43
; %bb.42:
	v_cvt_f32_u32_e32 v1, s26
	s_sub_i32 s0, 0, s26
	v_rcp_iflag_f32_e32 v1, v1
	v_mul_f32_e32 v1, 0x4f7ffffe, v1
	v_cvt_u32_f32_e32 v1, v1
	v_readfirstlane_b32 s1, v1
	s_mul_i32 s0, s0, s1
	s_mul_hi_u32 s0, s1, s0
	s_add_i32 s1, s1, s0
	s_mul_hi_u32 s0, s30, s1
	s_mul_i32 s2, s0, s26
	s_sub_i32 s2, s30, s2
	s_add_i32 s1, s0, 1
	s_sub_i32 s3, s2, s26
	s_cmp_ge_u32 s2, s26
	s_cselect_b32 s0, s1, s0
	s_cselect_b32 s2, s3, s2
	s_add_i32 s1, s0, 1
	s_cmp_ge_u32 s2, s26
	s_cselect_b32 s34, s1, s0
.LBB62_43:
	s_lshl_b64 s[0:1], s[20:21], 3
	s_add_u32 s10, s12, s0
	s_addc_u32 s11, s13, s1
	s_load_dwordx2 s[8:9], s[10:11], 0x0
	v_subrev_co_u32_e32 v2, vcc, s28, v0
	s_load_dwordx4 s[4:7], s[4:5], 0x8
	v_subb_co_u32_e64 v3, s[0:1], 0, 0, vcc
	s_waitcnt lgkmcnt(0)
	v_mov_b32_e32 v4, s9
	v_add_co_u32_e32 v6, vcc, s8, v2
	v_addc_co_u32_e32 v7, vcc, v4, v3, vcc
	v_add_co_u32_e32 v8, vcc, 0x300, v6
	v_addc_co_u32_e32 v9, vcc, 0, v7, vcc
	v_mov_b32_e32 v1, 0
	v_cmp_le_i64_e64 s[0:1], s[4:5], v[8:9]
	s_and_saveexec_b64 s[2:3], s[0:1]
	s_xor_b64 s[4:5], exec, s[2:3]
	s_cbranch_execnz .LBB62_46
; %bb.44:
	s_andn2_saveexec_b64 s[2:3], s[4:5]
	s_cbranch_execnz .LBB62_55
.LBB62_45:
	s_or_b64 exec, exec, s[2:3]
	v_cmp_gt_i64_e32 vcc, s[6:7], v[0:1]
	s_and_saveexec_b64 s[4:5], vcc
	s_cbranch_execnz .LBB62_56
	s_branch .LBB62_63
.LBB62_46:
	s_lshl_b64 s[2:3], s[22:23], 3
	s_add_u32 s2, s12, s2
	s_addc_u32 s3, s13, s3
	s_load_dwordx2 s[2:3], s[2:3], 0x0
	s_waitcnt lgkmcnt(0)
	s_sub_u32 s38, s2, s8
	s_subb_u32 s39, s3, s9
	v_cmp_gt_i64_e32 vcc, s[38:39], v[0:1]
	s_and_saveexec_b64 s[40:41], vcc
	s_cbranch_execz .LBB62_54
; %bb.47:
	s_not_b64 s[42:43], s[8:9]
	s_add_u32 s2, s2, s42
	s_addc_u32 s3, s3, s43
	v_mov_b32_e32 v3, s3
	v_sub_co_u32_e32 v2, vcc, s2, v0
	v_subbrev_co_u32_e32 v3, vcc, 0, v3, vcc
	s_mov_b64 s[2:3], 0xff
	v_cmp_lt_u64_e32 vcc, s[2:3], v[2:3]
	s_mov_b64 s[2:3], -1
	v_pk_mov_b32 v[10:11], 0, 0
	s_and_saveexec_b64 s[42:43], vcc
	s_cbranch_execz .LBB62_51
; %bb.48:
	v_lshrrev_b64 v[2:3], 8, v[2:3]
	v_add_co_u32_e32 v2, vcc, 1, v2
	v_addc_co_u32_e32 v3, vcc, 0, v3, vcc
	v_mov_b32_e32 v12, s9
	v_add_co_u32_e32 v13, vcc, s8, v0
	v_addc_co_u32_e32 v12, vcc, 0, v12, vcc
	v_mov_b32_e32 v14, s29
	v_subrev_co_u32_e32 v13, vcc, s28, v13
	v_subb_co_u32_e32 v12, vcc, v12, v14, vcc
	v_mov_b32_e32 v14, s17
	v_add_co_u32_e32 v13, vcc, s16, v13
	v_addc_co_u32_e32 v14, vcc, v12, v14, vcc
	s_movk_i32 s2, 0x100
	v_and_b32_e32 v4, -2, v2
	v_mov_b32_e32 v5, v3
	v_add_co_u32_e32 v12, vcc, s2, v13
	s_mov_b32 s37, s36
	v_mov_b32_e32 v10, v0
	v_mov_b32_e32 v11, v0
	s_mov_b64 s[44:45], 0x100
	v_addc_co_u32_e32 v13, vcc, 0, v14, vcc
	s_mov_b64 s[46:47], 0
	v_pk_mov_b32 v[14:15], v[4:5], v[4:5] op_sel:[0,1]
	s_mov_b64 s[48:49], 0
.LBB62_49:                              ; =>This Inner Loop Header: Depth=1
	global_load_sbyte v17, v[12:13], off
	global_load_sbyte v18, v[12:13], off offset:-256
	v_add_lshl_u32 v20, v10, s48, 2
	s_add_u32 s48, s48, 0x200
	v_add_co_u32_e32 v12, vcc, 0x200, v12
	v_add_co_u32_e64 v14, s[2:3], -2, v14
	s_addc_u32 s49, s49, 0
	v_add_lshl_u32 v21, v11, s44, 2
	v_addc_co_u32_e64 v15, s[2:3], -1, v15, s[2:3]
	v_addc_co_u32_e32 v13, vcc, 0, v13, vcc
	s_add_u32 s44, s44, 0x200
	v_cmp_eq_u64_e32 vcc, 0, v[14:15]
	s_addc_u32 s45, s45, 0
	s_or_b64 s[46:47], vcc, s[46:47]
	s_waitcnt vmcnt(1)
	v_cvt_f32_i32_e32 v19, v17
	s_waitcnt vmcnt(0)
	v_cvt_f32_i32_e32 v18, v18
	v_pk_mul_f32 v[18:19], s[36:37], v[18:19]
	ds_write_b32 v20, v18
	ds_write_b32 v21, v19
	s_andn2_b64 exec, exec, s[46:47]
	s_cbranch_execnz .LBB62_49
; %bb.50:
	s_or_b64 exec, exec, s[46:47]
	v_cmp_ne_u64_e32 vcc, v[2:3], v[4:5]
	v_lshlrev_b64 v[10:11], 8, v[4:5]
	s_orn2_b64 s[2:3], vcc, exec
.LBB62_51:
	s_or_b64 exec, exec, s[42:43]
	s_and_b64 exec, exec, s[2:3]
	s_cbranch_execz .LBB62_54
; %bb.52:
	s_sub_u32 s2, s8, s28
	s_subb_u32 s3, s9, 0
	s_add_u32 s33, s16, s2
	s_addc_u32 s35, s17, s3
	v_add_co_u32_e32 v2, vcc, v10, v0
	v_lshlrev_b32_e32 v4, 2, v10
	v_addc_co_u32_e32 v3, vcc, 0, v11, vcc
	v_lshl_add_u32 v4, v0, 2, v4
	s_mov_b64 s[2:3], 0
	v_mov_b32_e32 v5, s35
.LBB62_53:                              ; =>This Inner Loop Header: Depth=1
	v_add_co_u32_e32 v10, vcc, s33, v2
	v_addc_co_u32_e32 v11, vcc, v5, v3, vcc
	global_load_sbyte v10, v[10:11], off
	v_add_co_u32_e32 v2, vcc, 0x100, v2
	v_addc_co_u32_e32 v3, vcc, 0, v3, vcc
	v_cmp_le_i64_e32 vcc, s[38:39], v[2:3]
	s_or_b64 s[2:3], vcc, s[2:3]
	s_waitcnt vmcnt(0)
	v_cvt_f32_i32_e32 v10, v10
	v_mul_f32_e32 v10, s36, v10
	ds_write_b32 v4, v10
	v_add_u32_e32 v4, 0x400, v4
	s_andn2_b64 exec, exec, s[2:3]
	s_cbranch_execnz .LBB62_53
.LBB62_54:
	s_or_b64 exec, exec, s[40:41]
	s_andn2_saveexec_b64 s[2:3], s[4:5]
	s_cbranch_execz .LBB62_45
.LBB62_55:
	v_mov_b32_e32 v3, s17
	v_add_co_u32_e32 v2, vcc, s16, v6
	v_addc_co_u32_e32 v3, vcc, v3, v7, vcc
	global_load_sbyte v4, v[2:3], off
	global_load_sbyte v5, v[2:3], off offset:256
	global_load_sbyte v10, v[2:3], off offset:512
	;; [unrolled: 1-line block ×3, first 2 shown]
	s_waitcnt vmcnt(3)
	v_cvt_f32_i32_e32 v2, v4
	s_waitcnt vmcnt(2)
	v_cvt_f32_i32_e32 v3, v5
	;; [unrolled: 2-line block ×4, first 2 shown]
	v_mul_f32_e32 v2, s36, v2
	v_mul_f32_e32 v3, s36, v3
	;; [unrolled: 1-line block ×4, first 2 shown]
	ds_write2st64_b32 v16, v2, v3 offset1:4
	ds_write2st64_b32 v16, v4, v5 offset0:8 offset1:12
	s_or_b64 exec, exec, s[2:3]
	v_cmp_gt_i64_e32 vcc, s[6:7], v[0:1]
	s_and_saveexec_b64 s[4:5], vcc
	s_cbranch_execz .LBB62_63
.LBB62_56:
	v_not_b32_e32 v3, v0
	v_not_b32_e32 v2, 0
	v_mov_b32_e32 v5, s7
	v_add_co_u32_e32 v4, vcc, s6, v3
	v_addc_co_u32_e32 v5, vcc, v2, v5, vcc
	s_mov_b64 s[2:3], 0x2ff
	v_cmp_lt_u64_e32 vcc, s[2:3], v[4:5]
	s_mov_b64 s[2:3], -1
	v_pk_mov_b32 v[2:3], v[0:1], v[0:1] op_sel:[0,1]
	s_and_saveexec_b64 s[16:17], vcc
	s_cbranch_execz .LBB62_60
; %bb.57:
	v_lshrrev_b64 v[2:3], 8, v[4:5]
	v_add_co_u32_e32 v10, vcc, 1, v2
	v_addc_co_u32_e32 v11, vcc, 0, v3, vcc
	v_or_b32_e32 v2, 0x100, v0
	v_mov_b32_e32 v3, v1
	v_and_b32_e32 v12, -4, v10
	v_mov_b32_e32 v13, v11
	v_pk_mov_b32 v[4:5], v[2:3], v[2:3] op_sel:[0,1]
	s_mov_b64 s[36:37], 0
	v_mov_b32_e32 v17, 0x1000
	v_mov_b32_e32 v18, 0
	v_pk_mov_b32 v[14:15], v[12:13], v[12:13] op_sel:[0,1]
	v_pk_mov_b32 v[2:3], v[0:1], v[0:1] op_sel:[0,1]
.LBB62_58:                              ; =>This Inner Loop Header: Depth=1
	v_lshl_add_u32 v20, v4, 2, v17
	v_add_co_u32_e32 v4, vcc, 0x400, v4
	v_add_co_u32_e64 v14, s[2:3], -4, v14
	v_addc_co_u32_e32 v5, vcc, 0, v5, vcc
	v_addc_co_u32_e64 v15, s[2:3], -1, v15, s[2:3]
	v_lshl_add_u32 v19, v2, 2, v17
	v_add_co_u32_e32 v2, vcc, 0x400, v2
	v_cmp_eq_u64_e64 s[2:3], 0, v[14:15]
	s_or_b64 s[36:37], s[2:3], s[36:37]
	v_addc_co_u32_e32 v3, vcc, 0, v3, vcc
	ds_write_b32 v19, v18
	ds_write_b32 v20, v18
	ds_write_b32 v19, v18 offset:2048
	ds_write_b32 v20, v18 offset:2048
	s_andn2_b64 exec, exec, s[36:37]
	s_cbranch_execnz .LBB62_58
; %bb.59:
	s_or_b64 exec, exec, s[36:37]
	v_lshlrev_b64 v[2:3], 8, v[12:13]
	v_cmp_ne_u64_e32 vcc, v[10:11], v[12:13]
	v_or_b32_e32 v3, 0, v3
	v_or_b32_e32 v2, v2, v0
	s_orn2_b64 s[2:3], vcc, exec
.LBB62_60:
	s_or_b64 exec, exec, s[16:17]
	s_and_b64 exec, exec, s[2:3]
	s_cbranch_execz .LBB62_63
; %bb.61:
	v_mov_b32_e32 v4, 0x1000
	v_lshl_add_u32 v4, v2, 2, v4
	s_mov_b64 s[2:3], 0
	v_mov_b32_e32 v5, 0
.LBB62_62:                              ; =>This Inner Loop Header: Depth=1
	v_add_co_u32_e32 v2, vcc, 0x100, v2
	v_addc_co_u32_e32 v3, vcc, 0, v3, vcc
	v_cmp_le_i64_e32 vcc, s[6:7], v[2:3]
	ds_write_b32 v4, v5
	s_or_b64 s[2:3], vcc, s[2:3]
	v_add_u32_e32 v4, 0x400, v4
	s_andn2_b64 exec, exec, s[2:3]
	s_cbranch_execnz .LBB62_62
.LBB62_63:
	s_or_b64 exec, exec, s[4:5]
	s_sub_u32 s4, s22, s6
	v_pk_mov_b32 v[2:3], s[6:7], s[6:7] op_sel:[0,1]
	s_subb_u32 s5, s23, s7
	v_cmp_ge_i64_e32 vcc, s[22:23], v[2:3]
	s_and_b64 s[2:3], vcc, exec
	s_cselect_b32 s5, s5, 0
	s_cselect_b32 s4, s4, 0
	s_waitcnt lgkmcnt(0)
	s_barrier
	s_and_saveexec_b64 s[2:3], s[0:1]
	s_xor_b64 s[16:17], exec, s[2:3]
	s_cbranch_execz .LBB62_82
; %bb.64:
	s_lshl_b64 s[0:1], s[22:23], 3
	s_add_u32 s0, s12, s0
	s_addc_u32 s1, s13, s1
	s_load_dwordx2 s[0:1], s[0:1], 0x0
	s_waitcnt lgkmcnt(0)
	s_sub_u32 s36, s0, s8
	s_subb_u32 s37, s1, s9
	v_cmp_gt_i64_e32 vcc, s[36:37], v[0:1]
	s_and_saveexec_b64 s[38:39], vcc
	s_cbranch_execz .LBB62_81
; %bb.65:
	s_add_u32 s40, s22, -1
	s_addc_u32 s41, s23, -1
	s_add_u32 s2, s22, -2
	s_addc_u32 s3, s23, -1
	v_pk_mov_b32 v[2:3], s[20:21], s[20:21] op_sel:[0,1]
	s_cmp_lg_u64 s[2:3], s[20:21]
	v_cmp_gt_i64_e32 vcc, s[40:41], v[2:3]
	s_cselect_b64 s[2:3], -1, 0
	s_and_b64 s[2:3], vcc, s[2:3]
	s_sub_u32 s42, s0, s28
	v_cndmask_b32_e64 v2, 0, 1, s[2:3]
	s_subb_u32 s43, s1, 0
	s_mov_b64 s[44:45], 0
	v_cmp_ne_u32_e64 s[0:1], 1, v2
	v_mov_b32_e32 v12, s13
	v_mov_b32_e32 v13, s29
	;; [unrolled: 1-line block ×4, first 2 shown]
	s_mov_b64 s[46:47], 0
	s_branch .LBB62_68
.LBB62_66:                              ;   in Loop: Header=BB62_68 Depth=1
	s_or_b64 exec, exec, s[2:3]
.LBB62_67:                              ;   in Loop: Header=BB62_68 Depth=1
	s_or_b64 exec, exec, s[48:49]
	v_mov_b32_e32 v4, s19
	v_add_co_u32_e32 v2, vcc, s18, v2
	v_addc_co_u32_e32 v3, vcc, v4, v3, vcc
	global_load_sbyte v2, v[2:3], off
	s_add_u32 s46, s46, 0x100
	s_addc_u32 s47, s47, 0
	v_mov_b32_e32 v3, s47
	v_lshlrev_b32_e32 v4, 2, v17
	s_waitcnt vmcnt(0)
	v_cvt_f32_i32_e32 v5, v2
	v_add_co_u32_e32 v2, vcc, s46, v0
	v_addc_co_u32_e32 v3, vcc, 0, v3, vcc
	v_cmp_le_i64_e32 vcc, s[36:37], v[2:3]
	s_waitcnt lgkmcnt(0)
	v_mul_f32_e32 v2, v10, v5
	s_or_b64 s[44:45], vcc, s[44:45]
	ds_write_b32 v4, v2
	s_andn2_b64 exec, exec, s[44:45]
	s_cbranch_execz .LBB62_81
.LBB62_68:                              ; =>This Loop Header: Depth=1
                                        ;     Child Loop BB62_70 Depth 2
                                        ;     Child Loop BB62_77 Depth 2
	v_mov_b32_e32 v2, s47
	v_add_co_u32_e32 v4, vcc, s46, v6
	v_addc_co_u32_e32 v5, vcc, v2, v7, vcc
	s_and_b64 vcc, exec, s[0:1]
	v_pk_mov_b32 v[8:9], s[20:21], s[20:21] op_sel:[0,1]
	v_pk_mov_b32 v[10:11], s[40:41], s[40:41] op_sel:[0,1]
	s_cbranch_vccnz .LBB62_72
; %bb.69:                               ;   in Loop: Header=BB62_68 Depth=1
	s_mov_b64 s[48:49], 0
	v_pk_mov_b32 v[8:9], s[20:21], s[20:21] op_sel:[0,1]
	v_pk_mov_b32 v[10:11], s[40:41], s[40:41] op_sel:[0,1]
.LBB62_70:                              ;   Parent Loop BB62_68 Depth=1
                                        ; =>  This Inner Loop Header: Depth=2
	v_add_co_u32_e32 v2, vcc, v10, v8
	v_addc_co_u32_e32 v3, vcc, v11, v9, vcc
	v_lshrrev_b32_e32 v18, 31, v3
	v_add_co_u32_e32 v2, vcc, v2, v18
	v_addc_co_u32_e32 v3, vcc, 0, v3, vcc
	v_ashrrev_i64 v[2:3], 1, v[2:3]
	v_lshlrev_b64 v[18:19], 3, v[2:3]
	v_mov_b32_e32 v17, s13
	v_add_co_u32_e32 v18, vcc, s12, v18
	v_addc_co_u32_e32 v19, vcc, v17, v19, vcc
	global_load_dwordx2 v[18:19], v[18:19], off
	v_mov_b32_e32 v17, s29
	s_waitcnt vmcnt(0)
	v_subrev_co_u32_e32 v18, vcc, s28, v18
	v_subb_co_u32_e32 v19, vcc, v19, v17, vcc
	v_cmp_gt_i64_e32 vcc, v[18:19], v[4:5]
	v_cndmask_b32_e32 v10, v10, v2, vcc
	v_cndmask_b32_e32 v11, v11, v3, vcc
	;; [unrolled: 1-line block ×3, first 2 shown]
	v_add_co_u32_e64 v2, s[2:3], -1, v10
	v_cndmask_b32_e32 v9, v3, v9, vcc
	v_addc_co_u32_e64 v3, s[2:3], -1, v11, s[2:3]
	v_cmp_ge_i64_e32 vcc, v[8:9], v[10:11]
	v_cmp_eq_u64_e64 s[2:3], v[8:9], v[2:3]
	s_or_b64 s[2:3], vcc, s[2:3]
	s_and_b64 s[2:3], exec, s[2:3]
	s_or_b64 s[48:49], s[2:3], s[48:49]
	s_andn2_b64 exec, exec, s[48:49]
	s_cbranch_execnz .LBB62_70
; %bb.71:                               ;   in Loop: Header=BB62_68 Depth=1
	s_or_b64 exec, exec, s[48:49]
.LBB62_72:                              ;   in Loop: Header=BB62_68 Depth=1
	v_lshlrev_b64 v[2:3], 3, v[10:11]
	v_add_co_u32_e32 v2, vcc, s12, v2
	v_addc_co_u32_e32 v3, vcc, v12, v3, vcc
	v_lshlrev_b64 v[18:19], 3, v[4:5]
	global_load_dwordx2 v[2:3], v[2:3], off
	v_add_co_u32_e32 v18, vcc, s14, v18
	v_addc_co_u32_e32 v19, vcc, v14, v19, vcc
	global_load_dwordx2 v[18:19], v[18:19], off
	v_add_co_u32_e32 v17, vcc, s46, v0
	v_cmp_le_i64_e32 vcc, s[42:43], v[4:5]
	s_waitcnt vmcnt(1)
	v_subrev_co_u32_e64 v20, s[2:3], s28, v2
	v_subb_co_u32_e64 v21, s[2:3], v3, v13, s[2:3]
	s_waitcnt vmcnt(0)
	v_subrev_co_u32_e64 v2, s[2:3], s28, v18
	v_subb_co_u32_e64 v3, s[2:3], v19, v13, s[2:3]
	v_cmp_gt_i64_e64 s[2:3], v[20:21], v[4:5]
	v_cndmask_b32_e64 v5, v11, v9, s[2:3]
	v_cndmask_b32_e64 v4, v10, v8, s[2:3]
	v_cmp_eq_u64_e64 s[2:3], v[2:3], v[4:5]
	s_or_b64 s[2:3], s[2:3], vcc
	v_lshlrev_b32_e32 v8, 2, v17
                                        ; implicit-def: $vgpr10
	s_and_saveexec_b64 s[48:49], s[2:3]
	s_xor_b64 s[2:3], exec, s[48:49]
	s_cbranch_execz .LBB62_74
; %bb.73:                               ;   in Loop: Header=BB62_68 Depth=1
	ds_read_b32 v10, v8
                                        ; implicit-def: $vgpr8
                                        ; implicit-def: $vgpr4_vgpr5
.LBB62_74:                              ;   in Loop: Header=BB62_68 Depth=1
	s_andn2_saveexec_b64 s[48:49], s[2:3]
	s_cbranch_execz .LBB62_67
; %bb.75:                               ;   in Loop: Header=BB62_68 Depth=1
	v_cmp_gt_i64_e32 vcc, s[4:5], v[2:3]
	v_cmp_le_i64_e64 s[2:3], s[22:23], v[2:3]
	s_or_b64 s[2:3], vcc, s[2:3]
                                        ; implicit-def: $vgpr10
	s_and_saveexec_b64 s[50:51], s[2:3]
	s_xor_b64 s[2:3], exec, s[50:51]
	s_cbranch_execz .LBB62_79
; %bb.76:                               ;   in Loop: Header=BB62_68 Depth=1
	v_mov_b32_e32 v9, s19
	v_add_co_u32_e32 v4, vcc, s18, v4
	v_addc_co_u32_e32 v5, vcc, v9, v5, vcc
	global_load_sbyte v18, v[4:5], off
	s_waitcnt lgkmcnt(0)
	v_lshlrev_b64 v[10:11], 2, v[2:3]
	v_mov_b32_e32 v5, s25
	v_add_co_u32_e32 v4, vcc, s24, v10
	v_addc_co_u32_e32 v5, vcc, v5, v11, vcc
	global_load_dword v9, v[4:5], off
	ds_read_b32 v10, v8
	s_mov_b64 s[50:51], 0
	s_waitcnt vmcnt(1)
	v_cvt_f32_i32_e32 v8, v18
	s_waitcnt lgkmcnt(0)
	v_mul_f32_e32 v11, v10, v8
.LBB62_77:                              ;   Parent Loop BB62_68 Depth=1
                                        ; =>  This Inner Loop Header: Depth=2
	s_waitcnt vmcnt(0)
	v_add_f32_e32 v8, v9, v11
	global_atomic_cmpswap v8, v[4:5], v[8:9], off glc
	s_waitcnt vmcnt(0)
	v_cmp_eq_u32_e32 vcc, v8, v9
	s_or_b64 s[50:51], vcc, s[50:51]
	v_mov_b32_e32 v9, v8
	s_andn2_b64 exec, exec, s[50:51]
	s_cbranch_execnz .LBB62_77
; %bb.78:                               ;   in Loop: Header=BB62_68 Depth=1
	s_or_b64 exec, exec, s[50:51]
                                        ; implicit-def: $vgpr8
                                        ; implicit-def: $vgpr4_vgpr5
.LBB62_79:                              ;   in Loop: Header=BB62_68 Depth=1
	s_andn2_saveexec_b64 s[2:3], s[2:3]
	s_cbranch_execz .LBB62_66
; %bb.80:                               ;   in Loop: Header=BB62_68 Depth=1
	v_mov_b32_e32 v9, s19
	v_add_co_u32_e32 v4, vcc, s18, v4
	v_addc_co_u32_e32 v5, vcc, v9, v5, vcc
	global_load_sbyte v4, v[4:5], off
	s_waitcnt lgkmcnt(0)
	ds_read_b32 v10, v8
	v_subrev_u32_e32 v5, s4, v2
	v_lshl_add_u32 v5, v5, 2, v15
	s_waitcnt vmcnt(0)
	v_cvt_f32_i32_e32 v4, v4
	s_waitcnt lgkmcnt(0)
	v_mul_f32_e32 v4, v10, v4
	ds_add_f32 v5, v4
	s_branch .LBB62_66
.LBB62_81:
	s_or_b64 exec, exec, s[38:39]
                                        ; implicit-def: $vgpr8_vgpr9
                                        ; implicit-def: $vgpr6
.LBB62_82:
	s_andn2_saveexec_b64 s[16:17], s[16:17]
	s_cbranch_execz .LBB62_132
; %bb.83:
	s_add_u32 s36, s22, -1
	s_addc_u32 s37, s23, -1
	s_add_u32 s0, s22, -2
	s_addc_u32 s1, s23, -1
	v_pk_mov_b32 v[4:5], s[20:21], s[20:21] op_sel:[0,1]
	s_cmp_eq_u64 s[0:1], s[20:21]
	v_cmp_le_i64_e32 vcc, s[36:37], v[4:5]
	s_cselect_b64 s[0:1], -1, 0
	s_or_b64 s[2:3], vcc, s[0:1]
	s_and_b64 vcc, exec, s[2:3]
	v_pk_mov_b32 v[10:11], s[36:37], s[36:37] op_sel:[0,1]
	s_cbranch_vccnz .LBB62_87
; %bb.84:
	s_mov_b64 s[38:39], 0
	v_pk_mov_b32 v[4:5], s[20:21], s[20:21] op_sel:[0,1]
	v_pk_mov_b32 v[10:11], s[36:37], s[36:37] op_sel:[0,1]
	v_mov_b32_e32 v2, s13
	v_mov_b32_e32 v3, s29
.LBB62_85:                              ; =>This Inner Loop Header: Depth=1
	v_add_co_u32_e32 v12, vcc, v10, v4
	v_addc_co_u32_e32 v13, vcc, v11, v5, vcc
	v_lshrrev_b32_e32 v14, 31, v13
	v_add_co_u32_e32 v12, vcc, v12, v14
	v_addc_co_u32_e32 v13, vcc, 0, v13, vcc
	v_ashrrev_i64 v[12:13], 1, v[12:13]
	v_lshlrev_b64 v[14:15], 3, v[12:13]
	v_add_co_u32_e32 v14, vcc, s12, v14
	v_addc_co_u32_e32 v15, vcc, v2, v15, vcc
	global_load_dwordx2 v[14:15], v[14:15], off
	s_waitcnt vmcnt(0)
	v_subrev_co_u32_e32 v14, vcc, s28, v14
	v_subb_co_u32_e32 v15, vcc, v15, v3, vcc
	v_cmp_gt_i64_e32 vcc, v[14:15], v[6:7]
	v_cndmask_b32_e32 v10, v10, v12, vcc
	v_cndmask_b32_e32 v11, v11, v13, vcc
	;; [unrolled: 1-line block ×3, first 2 shown]
	v_add_co_u32_e64 v12, s[0:1], -1, v10
	v_cndmask_b32_e32 v5, v13, v5, vcc
	v_addc_co_u32_e64 v13, s[0:1], -1, v11, s[0:1]
	v_cmp_ge_i64_e32 vcc, v[4:5], v[10:11]
	v_cmp_eq_u64_e64 s[0:1], v[4:5], v[12:13]
	s_or_b64 s[0:1], vcc, s[0:1]
	s_and_b64 s[0:1], exec, s[0:1]
	s_or_b64 s[38:39], s[0:1], s[38:39]
	s_andn2_b64 exec, exec, s[38:39]
	s_cbranch_execnz .LBB62_85
; %bb.86:
	s_or_b64 exec, exec, s[38:39]
.LBB62_87:
	v_lshlrev_b64 v[2:3], 3, v[10:11]
	v_mov_b32_e32 v12, s13
	v_add_co_u32_e32 v2, vcc, s12, v2
	v_addc_co_u32_e32 v3, vcc, v12, v3, vcc
	global_load_dwordx2 v[12:13], v[2:3], off
	v_lshlrev_b64 v[2:3], 3, v[6:7]
	v_mov_b32_e32 v14, s15
	v_add_co_u32_e32 v2, vcc, s14, v2
	v_addc_co_u32_e32 v3, vcc, v14, v3, vcc
	global_load_dwordx2 v[14:15], v[2:3], off
	v_mov_b32_e32 v17, s29
	s_xor_b64 s[2:3], s[2:3], -1
	s_lshl_b64 s[0:1], s[22:23], 3
	s_add_u32 s14, s12, s0
	s_addc_u32 s15, s13, s1
	s_waitcnt vmcnt(1)
	v_subrev_co_u32_e32 v12, vcc, s28, v12
	v_subb_co_u32_e32 v13, vcc, v13, v17, vcc
	v_cmp_gt_i64_e32 vcc, v[12:13], v[6:7]
	v_cndmask_b32_e32 v11, v11, v5, vcc
	v_cndmask_b32_e32 v10, v10, v4, vcc
	s_waitcnt vmcnt(0)
	v_subrev_co_u32_e32 v4, vcc, s28, v14
	v_subb_co_u32_e32 v5, vcc, v15, v17, vcc
	v_cmp_ne_u64_e32 vcc, v[4:5], v[10:11]
	s_and_saveexec_b64 s[38:39], vcc
	s_cbranch_execz .LBB62_95
; %bb.88:
	s_load_dwordx2 s[0:1], s[14:15], 0x0
	s_waitcnt lgkmcnt(0)
	s_sub_u32 s0, s0, s28
	s_subb_u32 s1, s1, 0
	v_cmp_gt_i64_e32 vcc, s[0:1], v[6:7]
	s_and_b64 exec, exec, vcc
	s_cbranch_execz .LBB62_95
; %bb.89:
	v_cmp_gt_i64_e32 vcc, s[4:5], v[4:5]
	v_cmp_le_i64_e64 s[0:1], s[22:23], v[4:5]
	s_or_b64 s[0:1], vcc, s[0:1]
	s_and_saveexec_b64 s[40:41], s[0:1]
	s_xor_b64 s[0:1], exec, s[40:41]
	s_cbranch_execz .LBB62_93
; %bb.90:
	v_mov_b32_e32 v14, s19
	v_add_co_u32_e32 v10, vcc, s18, v10
	v_addc_co_u32_e32 v11, vcc, v14, v11, vcc
	global_load_sbyte v14, v[10:11], off
	v_lshlrev_b64 v[12:13], 2, v[4:5]
	v_mov_b32_e32 v11, s25
	v_add_co_u32_e32 v10, vcc, s24, v12
	v_addc_co_u32_e32 v11, vcc, v11, v13, vcc
	global_load_dword v13, v[10:11], off
	ds_read_b32 v12, v16
	s_mov_b64 s[40:41], 0
	s_waitcnt vmcnt(1)
	v_cvt_f32_i32_e32 v14, v14
	s_waitcnt lgkmcnt(0)
	v_mul_f32_e32 v14, v12, v14
.LBB62_91:                              ; =>This Inner Loop Header: Depth=1
	s_waitcnt vmcnt(0)
	v_add_f32_e32 v12, v13, v14
	global_atomic_cmpswap v12, v[10:11], v[12:13], off glc
	s_waitcnt vmcnt(0)
	v_cmp_eq_u32_e32 vcc, v12, v13
	s_or_b64 s[40:41], vcc, s[40:41]
	v_mov_b32_e32 v13, v12
	s_andn2_b64 exec, exec, s[40:41]
	s_cbranch_execnz .LBB62_91
; %bb.92:
	s_or_b64 exec, exec, s[40:41]
                                        ; implicit-def: $vgpr10_vgpr11
.LBB62_93:
	s_andn2_saveexec_b64 s[0:1], s[0:1]
	s_cbranch_execz .LBB62_95
; %bb.94:
	v_mov_b32_e32 v12, s19
	v_add_co_u32_e32 v10, vcc, s18, v10
	v_addc_co_u32_e32 v11, vcc, v12, v11, vcc
	global_load_sbyte v10, v[10:11], off
	ds_read_b32 v11, v16
	v_subrev_u32_e32 v12, s4, v4
	v_mov_b32_e32 v13, 0x1000
	v_lshl_add_u32 v12, v12, 2, v13
	s_waitcnt vmcnt(0)
	v_cvt_f32_i32_e32 v10, v10
	s_waitcnt lgkmcnt(0)
	v_mul_f32_e32 v10, v11, v10
	ds_add_f32 v12, v10
.LBB62_95:
	s_or_b64 exec, exec, s[38:39]
	v_mov_b32_e32 v10, s19
	v_add_co_u32_e32 v4, vcc, s18, v4
	v_addc_co_u32_e32 v5, vcc, v10, v5, vcc
	global_load_sbyte v5, v[4:5], off
	ds_read_b32 v12, v16
	v_add_co_u32_e32 v4, vcc, 0x100, v6
	v_cndmask_b32_e64 v13, 0, 1, s[2:3]
	v_pk_mov_b32 v[10:11], s[20:21], s[20:21] op_sel:[0,1]
	v_cmp_ne_u32_e64 s[0:1], 1, v13
	s_waitcnt vmcnt(0)
	v_cvt_f32_i32_e32 v14, v5
	v_addc_co_u32_e32 v5, vcc, 0, v7, vcc
	s_andn2_b64 vcc, exec, s[2:3]
	s_waitcnt lgkmcnt(0)
	v_mul_f32_e32 v12, v12, v14
	ds_write_b32 v16, v12
	v_pk_mov_b32 v[12:13], s[36:37], s[36:37] op_sel:[0,1]
	s_cbranch_vccnz .LBB62_99
; %bb.96:
	s_mov_b64 s[38:39], 0
	v_pk_mov_b32 v[10:11], s[20:21], s[20:21] op_sel:[0,1]
	v_pk_mov_b32 v[12:13], s[36:37], s[36:37] op_sel:[0,1]
	v_mov_b32_e32 v14, s13
	v_mov_b32_e32 v15, s29
.LBB62_97:                              ; =>This Inner Loop Header: Depth=1
	v_add_co_u32_e32 v17, vcc, v12, v10
	v_addc_co_u32_e32 v19, vcc, v13, v11, vcc
	v_lshrrev_b32_e32 v18, 31, v19
	v_add_co_u32_e32 v18, vcc, v17, v18
	v_addc_co_u32_e32 v19, vcc, 0, v19, vcc
	v_ashrrev_i64 v[18:19], 1, v[18:19]
	v_lshlrev_b64 v[20:21], 3, v[18:19]
	v_add_co_u32_e32 v20, vcc, s12, v20
	v_addc_co_u32_e32 v21, vcc, v14, v21, vcc
	global_load_dwordx2 v[20:21], v[20:21], off
	s_waitcnt vmcnt(0)
	v_subrev_co_u32_e32 v20, vcc, s28, v20
	v_subb_co_u32_e32 v21, vcc, v21, v15, vcc
	v_cmp_gt_i64_e32 vcc, v[20:21], v[4:5]
	v_cndmask_b32_e32 v12, v12, v18, vcc
	v_cndmask_b32_e32 v13, v13, v19, vcc
	;; [unrolled: 1-line block ×3, first 2 shown]
	v_add_co_u32_e64 v18, s[2:3], -1, v12
	v_cndmask_b32_e32 v11, v19, v11, vcc
	v_addc_co_u32_e64 v19, s[2:3], -1, v13, s[2:3]
	v_cmp_ge_i64_e32 vcc, v[10:11], v[12:13]
	v_cmp_eq_u64_e64 s[2:3], v[10:11], v[18:19]
	s_or_b64 s[2:3], vcc, s[2:3]
	s_and_b64 s[2:3], exec, s[2:3]
	s_or_b64 s[38:39], s[2:3], s[38:39]
	s_andn2_b64 exec, exec, s[38:39]
	s_cbranch_execnz .LBB62_97
; %bb.98:
	s_or_b64 exec, exec, s[38:39]
.LBB62_99:
	v_lshlrev_b64 v[14:15], 3, v[12:13]
	v_mov_b32_e32 v17, s13
	v_add_co_u32_e32 v14, vcc, s12, v14
	v_addc_co_u32_e32 v15, vcc, v17, v15, vcc
	global_load_dwordx2 v[18:19], v[14:15], off
	global_load_dwordx2 v[20:21], v[2:3], off offset:2048
	v_mov_b32_e32 v17, s29
	s_waitcnt vmcnt(1)
	v_subrev_co_u32_e32 v14, vcc, s28, v18
	v_subb_co_u32_e32 v15, vcc, v19, v17, vcc
	v_cmp_gt_i64_e32 vcc, v[14:15], v[4:5]
	v_cndmask_b32_e32 v13, v13, v11, vcc
	v_cndmask_b32_e32 v12, v12, v10, vcc
	s_waitcnt vmcnt(0)
	v_subrev_co_u32_e32 v10, vcc, s28, v20
	v_subb_co_u32_e32 v11, vcc, v21, v17, vcc
	v_cmp_ne_u64_e32 vcc, v[10:11], v[12:13]
	s_and_saveexec_b64 s[38:39], vcc
	s_cbranch_execz .LBB62_107
; %bb.100:
	s_load_dwordx2 s[2:3], s[14:15], 0x0
	s_waitcnt lgkmcnt(0)
	s_sub_u32 s2, s2, s28
	s_subb_u32 s3, s3, 0
	v_cmp_gt_i64_e32 vcc, s[2:3], v[4:5]
	s_and_b64 exec, exec, vcc
	s_cbranch_execz .LBB62_107
; %bb.101:
	v_cmp_gt_i64_e32 vcc, s[4:5], v[10:11]
	v_cmp_le_i64_e64 s[2:3], s[22:23], v[10:11]
	s_or_b64 s[2:3], vcc, s[2:3]
	s_and_saveexec_b64 s[40:41], s[2:3]
	s_xor_b64 s[2:3], exec, s[40:41]
	s_cbranch_execz .LBB62_105
; %bb.102:
	v_mov_b32_e32 v14, s19
	v_add_co_u32_e32 v12, vcc, s18, v12
	v_addc_co_u32_e32 v13, vcc, v14, v13, vcc
	global_load_sbyte v12, v[12:13], off
	v_lshlrev_b64 v[4:5], 2, v[10:11]
	v_mov_b32_e32 v13, s25
	v_add_co_u32_e32 v4, vcc, s24, v4
	v_addc_co_u32_e32 v5, vcc, v13, v5, vcc
	global_load_dword v13, v[4:5], off
	ds_read_b32 v14, v16 offset:1024
	s_mov_b64 s[40:41], 0
	s_waitcnt vmcnt(1)
	v_cvt_f32_i32_e32 v12, v12
	s_waitcnt lgkmcnt(0)
	v_mul_f32_e32 v14, v14, v12
.LBB62_103:                             ; =>This Inner Loop Header: Depth=1
	s_waitcnt vmcnt(0)
	v_add_f32_e32 v12, v13, v14
	global_atomic_cmpswap v12, v[4:5], v[12:13], off glc
	s_waitcnt vmcnt(0)
	v_cmp_eq_u32_e32 vcc, v12, v13
	s_or_b64 s[40:41], vcc, s[40:41]
	v_mov_b32_e32 v13, v12
	s_andn2_b64 exec, exec, s[40:41]
	s_cbranch_execnz .LBB62_103
; %bb.104:
	s_or_b64 exec, exec, s[40:41]
                                        ; implicit-def: $vgpr12_vgpr13
.LBB62_105:
	s_andn2_saveexec_b64 s[2:3], s[2:3]
	s_cbranch_execz .LBB62_107
; %bb.106:
	v_mov_b32_e32 v5, s19
	v_add_co_u32_e32 v4, vcc, s18, v12
	v_addc_co_u32_e32 v5, vcc, v5, v13, vcc
	global_load_sbyte v4, v[4:5], off
	ds_read_b32 v5, v16 offset:1024
	v_subrev_u32_e32 v12, s4, v10
	v_mov_b32_e32 v13, 0x1000
	v_lshl_add_u32 v12, v12, 2, v13
	s_waitcnt vmcnt(0)
	v_cvt_f32_i32_e32 v4, v4
	s_waitcnt lgkmcnt(0)
	v_mul_f32_e32 v4, v5, v4
	ds_add_f32 v12, v4
.LBB62_107:
	s_or_b64 exec, exec, s[38:39]
	v_mov_b32_e32 v5, s19
	v_add_co_u32_e32 v4, vcc, s18, v10
	v_addc_co_u32_e32 v5, vcc, v5, v11, vcc
	global_load_sbyte v5, v[4:5], off
	ds_read_b32 v12, v16 offset:1024
	v_add_co_u32_e32 v4, vcc, 0x200, v6
	v_pk_mov_b32 v[10:11], s[20:21], s[20:21] op_sel:[0,1]
	s_waitcnt vmcnt(0)
	v_cvt_f32_i32_e32 v6, v5
	v_addc_co_u32_e32 v5, vcc, 0, v7, vcc
	s_and_b64 vcc, exec, s[0:1]
	s_waitcnt lgkmcnt(0)
	v_mul_f32_e32 v6, v12, v6
	ds_write_b32 v16, v6 offset:1024
	v_pk_mov_b32 v[6:7], s[36:37], s[36:37] op_sel:[0,1]
	s_cbranch_vccnz .LBB62_111
; %bb.108:
	s_mov_b64 s[38:39], 0
	v_pk_mov_b32 v[10:11], s[20:21], s[20:21] op_sel:[0,1]
	v_pk_mov_b32 v[6:7], s[36:37], s[36:37] op_sel:[0,1]
	v_mov_b32_e32 v12, s13
	v_mov_b32_e32 v13, s29
.LBB62_109:                             ; =>This Inner Loop Header: Depth=1
	v_add_co_u32_e32 v14, vcc, v6, v10
	v_addc_co_u32_e32 v15, vcc, v7, v11, vcc
	v_lshrrev_b32_e32 v17, 31, v15
	v_add_co_u32_e32 v14, vcc, v14, v17
	v_addc_co_u32_e32 v15, vcc, 0, v15, vcc
	v_ashrrev_i64 v[14:15], 1, v[14:15]
	v_lshlrev_b64 v[18:19], 3, v[14:15]
	v_add_co_u32_e32 v18, vcc, s12, v18
	v_addc_co_u32_e32 v19, vcc, v12, v19, vcc
	global_load_dwordx2 v[18:19], v[18:19], off
	s_waitcnt vmcnt(0)
	v_subrev_co_u32_e32 v18, vcc, s28, v18
	v_subb_co_u32_e32 v19, vcc, v19, v13, vcc
	v_cmp_gt_i64_e32 vcc, v[18:19], v[4:5]
	v_cndmask_b32_e32 v6, v6, v14, vcc
	v_cndmask_b32_e32 v7, v7, v15, vcc
	;; [unrolled: 1-line block ×3, first 2 shown]
	v_add_co_u32_e64 v14, s[2:3], -1, v6
	v_cndmask_b32_e32 v11, v15, v11, vcc
	v_addc_co_u32_e64 v15, s[2:3], -1, v7, s[2:3]
	v_cmp_ge_i64_e32 vcc, v[10:11], v[6:7]
	v_cmp_eq_u64_e64 s[2:3], v[10:11], v[14:15]
	s_or_b64 s[2:3], vcc, s[2:3]
	s_and_b64 s[2:3], exec, s[2:3]
	s_or_b64 s[38:39], s[2:3], s[38:39]
	s_andn2_b64 exec, exec, s[38:39]
	s_cbranch_execnz .LBB62_109
; %bb.110:
	s_or_b64 exec, exec, s[38:39]
.LBB62_111:
	v_lshlrev_b64 v[12:13], 3, v[6:7]
	v_mov_b32_e32 v14, s13
	v_add_co_u32_e32 v12, vcc, s12, v12
	v_addc_co_u32_e32 v13, vcc, v14, v13, vcc
	global_load_dwordx2 v[12:13], v[12:13], off
	v_add_co_u32_e32 v14, vcc, 0x1000, v2
	v_addc_co_u32_e32 v15, vcc, 0, v3, vcc
	global_load_dwordx2 v[14:15], v[14:15], off
	v_mov_b32_e32 v17, s29
	s_waitcnt vmcnt(1)
	v_subrev_co_u32_e32 v12, vcc, s28, v12
	v_subb_co_u32_e32 v13, vcc, v13, v17, vcc
	v_cmp_gt_i64_e32 vcc, v[12:13], v[4:5]
	v_cndmask_b32_e32 v11, v7, v11, vcc
	v_cndmask_b32_e32 v10, v6, v10, vcc
	s_waitcnt vmcnt(0)
	v_subrev_co_u32_e32 v6, vcc, s28, v14
	v_subb_co_u32_e32 v7, vcc, v15, v17, vcc
	v_cmp_ne_u64_e32 vcc, v[6:7], v[10:11]
	s_and_saveexec_b64 s[38:39], vcc
	s_cbranch_execz .LBB62_119
; %bb.112:
	s_load_dwordx2 s[2:3], s[14:15], 0x0
	s_waitcnt lgkmcnt(0)
	s_sub_u32 s2, s2, s28
	s_subb_u32 s3, s3, 0
	v_cmp_gt_i64_e32 vcc, s[2:3], v[4:5]
	s_and_b64 exec, exec, vcc
	s_cbranch_execz .LBB62_119
; %bb.113:
	v_cmp_gt_i64_e32 vcc, s[4:5], v[6:7]
	v_cmp_le_i64_e64 s[2:3], s[22:23], v[6:7]
	s_or_b64 s[2:3], vcc, s[2:3]
	s_and_saveexec_b64 s[40:41], s[2:3]
	s_xor_b64 s[2:3], exec, s[40:41]
	s_cbranch_execz .LBB62_117
; %bb.114:
	v_mov_b32_e32 v12, s19
	v_add_co_u32_e32 v10, vcc, s18, v10
	v_addc_co_u32_e32 v11, vcc, v12, v11, vcc
	global_load_sbyte v10, v[10:11], off
	v_lshlrev_b64 v[4:5], 2, v[6:7]
	v_mov_b32_e32 v11, s25
	v_add_co_u32_e32 v4, vcc, s24, v4
	v_addc_co_u32_e32 v5, vcc, v11, v5, vcc
	global_load_dword v11, v[4:5], off
	ds_read_b32 v12, v16 offset:2048
	s_mov_b64 s[40:41], 0
	s_waitcnt vmcnt(1)
	v_cvt_f32_i32_e32 v10, v10
	s_waitcnt lgkmcnt(0)
	v_mul_f32_e32 v12, v12, v10
.LBB62_115:                             ; =>This Inner Loop Header: Depth=1
	s_waitcnt vmcnt(0)
	v_add_f32_e32 v10, v11, v12
	global_atomic_cmpswap v10, v[4:5], v[10:11], off glc
	s_waitcnt vmcnt(0)
	v_cmp_eq_u32_e32 vcc, v10, v11
	s_or_b64 s[40:41], vcc, s[40:41]
	v_mov_b32_e32 v11, v10
	s_andn2_b64 exec, exec, s[40:41]
	s_cbranch_execnz .LBB62_115
; %bb.116:
	s_or_b64 exec, exec, s[40:41]
                                        ; implicit-def: $vgpr10_vgpr11
.LBB62_117:
	s_andn2_saveexec_b64 s[2:3], s[2:3]
	s_cbranch_execz .LBB62_119
; %bb.118:
	v_mov_b32_e32 v5, s19
	v_add_co_u32_e32 v4, vcc, s18, v10
	v_addc_co_u32_e32 v5, vcc, v5, v11, vcc
	global_load_sbyte v4, v[4:5], off
	ds_read_b32 v5, v16 offset:2048
	v_subrev_u32_e32 v10, s4, v6
	v_mov_b32_e32 v11, 0x1000
	v_lshl_add_u32 v10, v10, 2, v11
	s_waitcnt vmcnt(0)
	v_cvt_f32_i32_e32 v4, v4
	s_waitcnt lgkmcnt(0)
	v_mul_f32_e32 v4, v5, v4
	ds_add_f32 v10, v4
.LBB62_119:
	s_or_b64 exec, exec, s[38:39]
	v_mov_b32_e32 v5, s19
	v_add_co_u32_e32 v4, vcc, s18, v6
	v_addc_co_u32_e32 v5, vcc, v5, v7, vcc
	global_load_sbyte v4, v[4:5], off
	ds_read_b32 v6, v16 offset:2048
	s_and_b64 vcc, exec, s[0:1]
	s_waitcnt vmcnt(0)
	v_cvt_f32_i32_e32 v7, v4
	v_pk_mov_b32 v[4:5], s[20:21], s[20:21] op_sel:[0,1]
	s_waitcnt lgkmcnt(0)
	v_mul_f32_e32 v6, v6, v7
	ds_write_b32 v16, v6 offset:2048
	v_pk_mov_b32 v[6:7], s[36:37], s[36:37] op_sel:[0,1]
	s_cbranch_vccnz .LBB62_123
; %bb.120:
	s_mov_b64 s[2:3], 0
	v_pk_mov_b32 v[4:5], s[20:21], s[20:21] op_sel:[0,1]
	v_pk_mov_b32 v[6:7], s[36:37], s[36:37] op_sel:[0,1]
	v_mov_b32_e32 v10, s13
	v_mov_b32_e32 v11, s29
.LBB62_121:                             ; =>This Inner Loop Header: Depth=1
	v_add_co_u32_e32 v12, vcc, v6, v4
	v_addc_co_u32_e32 v13, vcc, v7, v5, vcc
	v_lshrrev_b32_e32 v14, 31, v13
	v_add_co_u32_e32 v12, vcc, v12, v14
	v_addc_co_u32_e32 v13, vcc, 0, v13, vcc
	v_ashrrev_i64 v[12:13], 1, v[12:13]
	v_lshlrev_b64 v[14:15], 3, v[12:13]
	v_add_co_u32_e32 v14, vcc, s12, v14
	v_addc_co_u32_e32 v15, vcc, v10, v15, vcc
	global_load_dwordx2 v[14:15], v[14:15], off
	s_waitcnt vmcnt(0)
	v_subrev_co_u32_e32 v14, vcc, s28, v14
	v_subb_co_u32_e32 v15, vcc, v15, v11, vcc
	v_cmp_gt_i64_e32 vcc, v[14:15], v[8:9]
	v_cndmask_b32_e32 v6, v6, v12, vcc
	v_cndmask_b32_e32 v7, v7, v13, vcc
	;; [unrolled: 1-line block ×3, first 2 shown]
	v_add_co_u32_e64 v12, s[0:1], -1, v6
	v_cndmask_b32_e32 v5, v13, v5, vcc
	v_addc_co_u32_e64 v13, s[0:1], -1, v7, s[0:1]
	v_cmp_ge_i64_e32 vcc, v[4:5], v[6:7]
	v_cmp_eq_u64_e64 s[0:1], v[4:5], v[12:13]
	s_or_b64 s[0:1], vcc, s[0:1]
	s_and_b64 s[0:1], exec, s[0:1]
	s_or_b64 s[2:3], s[0:1], s[2:3]
	s_andn2_b64 exec, exec, s[2:3]
	s_cbranch_execnz .LBB62_121
; %bb.122:
	s_or_b64 exec, exec, s[2:3]
.LBB62_123:
	v_lshlrev_b64 v[10:11], 3, v[6:7]
	v_mov_b32_e32 v12, s13
	v_add_co_u32_e32 v10, vcc, s12, v10
	v_addc_co_u32_e32 v11, vcc, v12, v11, vcc
	global_load_dwordx2 v[10:11], v[10:11], off
	v_add_co_u32_e32 v2, vcc, 0x1000, v2
	v_addc_co_u32_e32 v3, vcc, 0, v3, vcc
	global_load_dwordx2 v[2:3], v[2:3], off offset:2048
	v_mov_b32_e32 v12, s29
	s_waitcnt vmcnt(1)
	v_subrev_co_u32_e32 v10, vcc, s28, v10
	v_subb_co_u32_e32 v11, vcc, v11, v12, vcc
	v_cmp_gt_i64_e32 vcc, v[10:11], v[8:9]
	v_cndmask_b32_e32 v5, v7, v5, vcc
	v_cndmask_b32_e32 v4, v6, v4, vcc
	s_waitcnt vmcnt(0)
	v_subrev_co_u32_e32 v2, vcc, s28, v2
	v_subb_co_u32_e32 v3, vcc, v3, v12, vcc
	v_cmp_ne_u64_e32 vcc, v[2:3], v[4:5]
	s_and_saveexec_b64 s[2:3], vcc
	s_cbranch_execz .LBB62_131
; %bb.124:
	s_load_dwordx2 s[0:1], s[14:15], 0x0
	s_waitcnt lgkmcnt(0)
	s_sub_u32 s0, s0, s28
	s_subb_u32 s1, s1, 0
	v_cmp_gt_i64_e32 vcc, s[0:1], v[8:9]
	s_and_b64 exec, exec, vcc
	s_cbranch_execz .LBB62_131
; %bb.125:
	v_cmp_gt_i64_e32 vcc, s[4:5], v[2:3]
	v_cmp_le_i64_e64 s[0:1], s[22:23], v[2:3]
	s_or_b64 s[0:1], vcc, s[0:1]
	s_and_saveexec_b64 s[14:15], s[0:1]
	s_xor_b64 s[0:1], exec, s[14:15]
	s_cbranch_execz .LBB62_129
; %bb.126:
	v_mov_b32_e32 v8, s19
	v_add_co_u32_e32 v4, vcc, s18, v4
	v_addc_co_u32_e32 v5, vcc, v8, v5, vcc
	global_load_sbyte v8, v[4:5], off
	v_lshlrev_b64 v[6:7], 2, v[2:3]
	v_mov_b32_e32 v5, s25
	v_add_co_u32_e32 v4, vcc, s24, v6
	v_addc_co_u32_e32 v5, vcc, v5, v7, vcc
	global_load_dword v7, v[4:5], off
	ds_read_b32 v6, v16 offset:3072
	s_mov_b64 s[14:15], 0
	s_waitcnt vmcnt(1)
	v_cvt_f32_i32_e32 v8, v8
	s_waitcnt lgkmcnt(0)
	v_mul_f32_e32 v8, v6, v8
.LBB62_127:                             ; =>This Inner Loop Header: Depth=1
	s_waitcnt vmcnt(0)
	v_add_f32_e32 v6, v7, v8
	global_atomic_cmpswap v6, v[4:5], v[6:7], off glc
	s_waitcnt vmcnt(0)
	v_cmp_eq_u32_e32 vcc, v6, v7
	s_or_b64 s[14:15], vcc, s[14:15]
	v_mov_b32_e32 v7, v6
	s_andn2_b64 exec, exec, s[14:15]
	s_cbranch_execnz .LBB62_127
; %bb.128:
	s_or_b64 exec, exec, s[14:15]
                                        ; implicit-def: $vgpr4_vgpr5
.LBB62_129:
	s_andn2_saveexec_b64 s[0:1], s[0:1]
	s_cbranch_execz .LBB62_131
; %bb.130:
	v_mov_b32_e32 v6, s19
	v_add_co_u32_e32 v4, vcc, s18, v4
	v_addc_co_u32_e32 v5, vcc, v6, v5, vcc
	global_load_sbyte v4, v[4:5], off
	ds_read_b32 v5, v16 offset:3072
	v_subrev_u32_e32 v6, s4, v2
	v_mov_b32_e32 v7, 0x1000
	v_lshl_add_u32 v6, v6, 2, v7
	s_waitcnt vmcnt(0)
	v_cvt_f32_i32_e32 v4, v4
	s_waitcnt lgkmcnt(0)
	v_mul_f32_e32 v4, v5, v4
	ds_add_f32 v6, v4
.LBB62_131:
	s_or_b64 exec, exec, s[2:3]
	v_mov_b32_e32 v4, s19
	v_add_co_u32_e32 v2, vcc, s18, v2
	v_addc_co_u32_e32 v3, vcc, v4, v3, vcc
	global_load_sbyte v2, v[2:3], off
	ds_read_b32 v3, v16 offset:3072
	s_waitcnt vmcnt(0)
	v_cvt_f32_i32_e32 v2, v2
	s_waitcnt lgkmcnt(0)
	v_mul_f32_e32 v2, v3, v2
	ds_write_b32 v16, v2 offset:3072
.LBB62_132:
	s_or_b64 exec, exec, s[16:17]
	v_pk_mov_b32 v[2:3], s[6:7], s[6:7] op_sel:[0,1]
	v_cmp_lt_i64_e32 vcc, s[22:23], v[2:3]
	s_and_b64 s[0:1], vcc, exec
	s_cselect_b32 s14, s22, s6
	s_cselect_b32 s0, s23, s7
	s_sub_u32 s2, s14, s26
	s_subb_u32 s3, s0, s27
	v_cmp_gt_i64_e32 vcc, s[2:3], v[0:1]
	s_waitcnt lgkmcnt(0)
	s_barrier
	s_and_saveexec_b64 s[0:1], vcc
	s_cbranch_execz .LBB62_137
; %bb.133:
	s_lshl_b64 s[4:5], s[4:5], 2
	s_add_u32 s15, s24, s4
	s_addc_u32 s6, s25, s5
	s_mov_b64 s[4:5], 0
	v_mov_b32_e32 v8, s6
	v_mov_b32_e32 v9, 0x1000
	v_pk_mov_b32 v[2:3], v[0:1], v[0:1] op_sel:[0,1]
.LBB62_134:                             ; =>This Loop Header: Depth=1
                                        ;     Child Loop BB62_135 Depth 2
	v_lshlrev_b64 v[4:5], 2, v[2:3]
	v_add_co_u32_e32 v4, vcc, s15, v4
	v_addc_co_u32_e32 v5, vcc, v8, v5, vcc
	global_load_dword v7, v[4:5], off
	v_lshl_add_u32 v6, v2, 2, v9
	ds_read_b32 v10, v6
	s_mov_b64 s[6:7], 0
.LBB62_135:                             ;   Parent Loop BB62_134 Depth=1
                                        ; =>  This Inner Loop Header: Depth=2
	s_waitcnt vmcnt(0) lgkmcnt(0)
	v_add_f32_e32 v6, v7, v10
	global_atomic_cmpswap v6, v[4:5], v[6:7], off glc
	s_waitcnt vmcnt(0)
	v_cmp_eq_u32_e32 vcc, v6, v7
	s_or_b64 s[6:7], vcc, s[6:7]
	v_mov_b32_e32 v7, v6
	s_andn2_b64 exec, exec, s[6:7]
	s_cbranch_execnz .LBB62_135
; %bb.136:                              ;   in Loop: Header=BB62_134 Depth=1
	s_or_b64 exec, exec, s[6:7]
	v_add_co_u32_e32 v2, vcc, 0x100, v2
	v_addc_co_u32_e32 v3, vcc, 0, v3, vcc
	v_cmp_le_i64_e32 vcc, s[2:3], v[2:3]
	s_or_b64 s[4:5], vcc, s[4:5]
	s_andn2_b64 exec, exec, s[4:5]
	s_cbranch_execnz .LBB62_134
.LBB62_137:
	s_or_b64 exec, exec, s[0:1]
	s_add_i32 s0, s34, -1
	s_ashr_i32 s1, s0, 1
	s_or_b32 s0, s1, s0
	s_ashr_i32 s1, s0, 2
	s_or_b32 s0, s1, s0
	;; [unrolled: 2-line block ×5, first 2 shown]
	s_add_i32 s3, s3, 1
	s_ashr_i32 s16, s3, 1
	v_mov_b32_e32 v2, s21
	v_add_co_u32_e32 v6, vcc, s20, v0
	v_addc_co_u32_e32 v7, vcc, 0, v2, vcc
	s_cmp_gt_i32 s16, 1
	s_mov_b64 s[0:1], -1
	s_barrier
	s_cbranch_scc1 .LBB62_148
; %bb.138:
	v_cmp_gt_i64_e32 vcc, s[22:23], v[6:7]
	s_and_saveexec_b64 s[0:1], vcc
	s_cbranch_execz .LBB62_147
; %bb.139:
	s_sub_i32 s4, s14, s22
	s_lshl_b32 s4, s4, 2
	s_add_i32 s17, s4, 0x1000
	s_lshl_b32 s4, s8, 2
	s_sub_i32 s18, 0, s4
	s_mov_b64 s[4:5], 0
	v_mov_b32_e32 v12, s13
	v_mov_b32_e32 v13, s25
	;; [unrolled: 1-line block ×3, first 2 shown]
	v_pk_mov_b32 v[8:9], v[6:7], v[6:7] op_sel:[0,1]
.LBB62_140:                             ; =>This Loop Header: Depth=1
                                        ;     Child Loop BB62_142 Depth 2
                                        ;     Child Loop BB62_145 Depth 2
	v_lshlrev_b64 v[2:3], 3, v[8:9]
	v_add_co_u32_e32 v2, vcc, s12, v2
	v_addc_co_u32_e32 v3, vcc, v12, v3, vcc
	global_load_dwordx4 v[2:5], v[2:3], off
	v_mov_b32_e32 v15, 0
	s_waitcnt vmcnt(0)
	v_cmp_lt_i64_e32 vcc, v[2:3], v[4:5]
	s_and_saveexec_b64 s[6:7], vcc
	s_cbranch_execz .LBB62_144
; %bb.141:                              ;   in Loop: Header=BB62_140 Depth=1
	v_mov_b32_e32 v11, s9
	v_subrev_co_u32_e32 v4, vcc, s8, v4
	v_subb_co_u32_e32 v5, vcc, v5, v11, vcc
	v_subrev_co_u32_e32 v10, vcc, s8, v2
	v_subb_co_u32_e32 v11, vcc, v3, v11, vcc
	v_lshl_add_u32 v2, v2, 2, s18
	s_mov_b64 s[14:15], 0
	v_mov_b32_e32 v15, 0
.LBB62_142:                             ;   Parent Loop BB62_140 Depth=1
                                        ; =>  This Inner Loop Header: Depth=2
	ds_read_b32 v3, v2
	v_add_co_u32_e32 v10, vcc, 1, v10
	v_addc_co_u32_e32 v11, vcc, 0, v11, vcc
	v_cmp_ge_i64_e32 vcc, v[10:11], v[4:5]
	v_add_u32_e32 v2, 4, v2
	s_or_b64 s[14:15], vcc, s[14:15]
	s_waitcnt lgkmcnt(0)
	v_add_f32_e32 v15, v15, v3
	s_andn2_b64 exec, exec, s[14:15]
	s_cbranch_execnz .LBB62_142
; %bb.143:                              ;   in Loop: Header=BB62_140 Depth=1
	s_or_b64 exec, exec, s[14:15]
.LBB62_144:                             ;   in Loop: Header=BB62_140 Depth=1
	s_or_b64 exec, exec, s[6:7]
	v_lshlrev_b64 v[2:3], 2, v[8:9]
	v_add_co_u32_e32 v2, vcc, s24, v2
	v_addc_co_u32_e32 v3, vcc, v13, v3, vcc
	global_load_dword v5, v[2:3], off
	v_lshl_add_u32 v4, v8, 2, s17
	ds_read_b32 v4, v4
	s_mov_b64 s[6:7], 0
	s_waitcnt lgkmcnt(0)
	v_add_f32_e32 v10, v15, v4
.LBB62_145:                             ;   Parent Loop BB62_140 Depth=1
                                        ; =>  This Inner Loop Header: Depth=2
	s_waitcnt vmcnt(0)
	v_add_f32_e32 v4, v5, v10
	global_atomic_cmpswap v4, v[2:3], v[4:5], off glc
	s_waitcnt vmcnt(0)
	v_cmp_eq_u32_e32 vcc, v4, v5
	s_or_b64 s[6:7], vcc, s[6:7]
	v_mov_b32_e32 v5, v4
	s_andn2_b64 exec, exec, s[6:7]
	s_cbranch_execnz .LBB62_145
; %bb.146:                              ;   in Loop: Header=BB62_140 Depth=1
	s_or_b64 exec, exec, s[6:7]
	v_add_co_u32_e32 v8, vcc, s30, v8
	v_addc_co_u32_e32 v9, vcc, v9, v14, vcc
	v_cmp_le_i64_e32 vcc, s[22:23], v[8:9]
	s_or_b64 s[4:5], vcc, s[4:5]
	s_andn2_b64 exec, exec, s[4:5]
	s_cbranch_execnz .LBB62_140
.LBB62_147:
	s_or_b64 exec, exec, s[0:1]
	s_mov_b64 s[0:1], 0
.LBB62_148:
	s_andn2_b64 vcc, exec, s[0:1]
	s_cbranch_vccnz .LBB62_177
; %bb.149:
	v_cvt_f32_u32_e32 v14, s16
	s_sub_i32 s6, 0, s16
	v_mov_b32_e32 v11, 0
	v_mov_b32_e32 v4, s11
	v_rcp_iflag_f32_e32 v2, v14
	v_mov_b32_e32 v12, s9
	v_mul_f32_e32 v2, 0x4f7ffffe, v2
	v_cvt_u32_f32_e32 v2, v2
	v_mul_lo_u32 v3, s6, v2
	v_mul_hi_u32 v3, v2, v3
	v_add_u32_e32 v2, v2, v3
	v_mul_hi_u32 v2, v0, v2
	v_mul_lo_u32 v3, v2, s16
	v_sub_u32_e32 v3, v0, v3
	v_add_u32_e32 v5, 1, v2
	v_cmp_le_u32_e32 vcc, s16, v3
	v_cndmask_b32_e32 v2, v2, v5, vcc
	v_subrev_u32_e32 v5, s16, v3
	v_cndmask_b32_e32 v3, v3, v5, vcc
	v_add_u32_e32 v5, 1, v2
	v_cmp_le_u32_e32 vcc, s16, v3
	v_cndmask_b32_e32 v10, v2, v5, vcc
	v_lshlrev_b64 v[2:3], 3, v[10:11]
	v_add_co_u32_e32 v2, vcc, s10, v2
	v_addc_co_u32_e32 v3, vcc, v4, v3, vcc
	global_load_dwordx4 v[2:5], v[2:3], off
	s_waitcnt vmcnt(0)
	v_subrev_co_u32_e32 v8, vcc, s8, v2
	v_subb_co_u32_e32 v9, vcc, v3, v12, vcc
	v_subrev_co_u32_e32 v17, vcc, s8, v4
	v_subb_co_u32_e32 v18, vcc, v5, v12, vcc
	v_sub_co_u32_e32 v3, vcc, v17, v8
	v_subb_co_u32_e32 v13, vcc, v18, v9, vcc
	v_mov_b32_e32 v12, v11
	v_cmp_ne_u64_e32 vcc, 0, v[12:13]
                                        ; implicit-def: $vgpr4_vgpr5
	s_and_saveexec_b64 s[0:1], vcc
	s_xor_b64 s[4:5], exec, s[0:1]
	s_cbranch_execz .LBB62_151
; %bb.150:
	v_cvt_f32_ubyte0_e32 v4, 0
	v_madmk_f32 v4, v4, 0x4f800000, v14
	v_rcp_f32_e32 v4, v4
	s_sub_u32 s0, 0, s16
	s_subb_u32 s1, 0, 0
	v_mul_f32_e32 v4, 0x5f7ffffc, v4
	v_mul_f32_e32 v5, 0x2f800000, v4
	v_trunc_f32_e32 v5, v5
	v_madmk_f32 v4, v5, 0xcf800000, v4
	v_cvt_u32_f32_e32 v5, v5
	v_cvt_u32_f32_e32 v4, v4
	v_mul_lo_u32 v12, s0, v5
	v_mul_hi_u32 v15, s0, v4
	v_mul_lo_u32 v14, s1, v4
	v_add_u32_e32 v12, v15, v12
	v_add_u32_e32 v12, v12, v14
	v_mul_lo_u32 v19, s0, v4
	v_mul_lo_u32 v15, v4, v12
	v_mul_hi_u32 v20, v4, v19
	v_mul_hi_u32 v14, v4, v12
	v_add_co_u32_e32 v15, vcc, v20, v15
	v_addc_co_u32_e32 v14, vcc, 0, v14, vcc
	v_mul_hi_u32 v21, v5, v19
	v_mul_lo_u32 v19, v5, v19
	v_add_co_u32_e32 v15, vcc, v15, v19
	v_mul_hi_u32 v20, v5, v12
	v_addc_co_u32_e32 v14, vcc, v14, v21, vcc
	v_addc_co_u32_e32 v15, vcc, 0, v20, vcc
	v_mul_lo_u32 v12, v5, v12
	v_add_co_u32_e32 v12, vcc, v14, v12
	v_addc_co_u32_e32 v14, vcc, 0, v15, vcc
	v_add_co_u32_e32 v4, vcc, v4, v12
	v_addc_co_u32_e32 v5, vcc, v5, v14, vcc
	v_mul_lo_u32 v12, s0, v5
	v_mul_hi_u32 v14, s0, v4
	v_add_u32_e32 v12, v14, v12
	v_mul_lo_u32 v14, s1, v4
	v_add_u32_e32 v12, v12, v14
	v_mul_lo_u32 v15, s0, v4
	v_mul_hi_u32 v19, v5, v15
	v_mul_lo_u32 v20, v5, v15
	v_mul_lo_u32 v22, v4, v12
	v_mul_hi_u32 v15, v4, v15
	v_mul_hi_u32 v21, v4, v12
	v_add_co_u32_e32 v15, vcc, v15, v22
	v_addc_co_u32_e32 v21, vcc, 0, v21, vcc
	v_add_co_u32_e32 v15, vcc, v15, v20
	v_mul_hi_u32 v14, v5, v12
	v_addc_co_u32_e32 v15, vcc, v21, v19, vcc
	v_addc_co_u32_e32 v14, vcc, 0, v14, vcc
	v_mul_lo_u32 v12, v5, v12
	v_add_co_u32_e32 v12, vcc, v15, v12
	v_addc_co_u32_e32 v14, vcc, 0, v14, vcc
	v_add_co_u32_e32 v12, vcc, v4, v12
	v_addc_co_u32_e32 v14, vcc, v5, v14, vcc
	v_ashrrev_i32_e32 v15, 31, v13
	v_add_co_u32_e32 v3, vcc, v3, v15
	v_addc_co_u32_e32 v4, vcc, v13, v15, vcc
	v_xor_b32_e32 v3, v3, v15
	v_xor_b32_e32 v19, v4, v15
	v_mad_u64_u32 v[4:5], s[0:1], v3, v14, 0
	v_mul_hi_u32 v13, v3, v12
	v_add_co_u32_e32 v20, vcc, v13, v4
	v_addc_co_u32_e32 v21, vcc, 0, v5, vcc
	v_mad_u64_u32 v[12:13], s[0:1], v19, v12, 0
	v_add_co_u32_e32 v12, vcc, v20, v12
	v_mad_u64_u32 v[4:5], s[0:1], v19, v14, 0
	v_addc_co_u32_e32 v12, vcc, v21, v13, vcc
	v_addc_co_u32_e32 v5, vcc, 0, v5, vcc
	v_add_co_u32_e32 v14, vcc, v12, v4
	v_addc_co_u32_e32 v20, vcc, 0, v5, vcc
	v_mad_u64_u32 v[4:5], s[0:1], s16, v14, 0
	v_mov_b32_e32 v12, v5
	v_mad_u64_u32 v[12:13], s[0:1], s16, v20, v[12:13]
	v_sub_co_u32_e32 v3, vcc, v3, v4
	v_subb_co_u32_e32 v4, vcc, v19, v12, vcc
	v_subrev_co_u32_e32 v5, vcc, s16, v3
	v_subbrev_co_u32_e32 v12, vcc, 0, v4, vcc
	v_cmp_le_u32_e32 vcc, s16, v5
	v_cndmask_b32_e64 v5, 0, -1, vcc
	v_cmp_eq_u32_e32 vcc, 0, v12
	v_cndmask_b32_e32 v5, -1, v5, vcc
	v_add_co_u32_e32 v12, vcc, 2, v14
	v_addc_co_u32_e32 v13, vcc, 0, v20, vcc
	v_add_co_u32_e32 v19, vcc, 1, v14
	v_cmp_le_u32_e64 s[0:1], s16, v3
	v_addc_co_u32_e32 v21, vcc, 0, v20, vcc
	v_cndmask_b32_e64 v3, 0, -1, s[0:1]
	v_cmp_eq_u32_e64 s[0:1], 0, v4
	v_cmp_ne_u32_e32 vcc, 0, v5
	v_cndmask_b32_e64 v3, -1, v3, s[0:1]
	v_cmp_ne_u32_e64 s[0:1], 0, v3
	v_cndmask_b32_e32 v4, v19, v12, vcc
	v_cndmask_b32_e32 v5, v21, v13, vcc
	v_cndmask_b32_e64 v4, v14, v4, s[0:1]
	v_cndmask_b32_e64 v3, v20, v5, s[0:1]
	v_xor_b32_e32 v4, v4, v15
	v_xor_b32_e32 v3, v3, v15
	v_sub_co_u32_e32 v4, vcc, v4, v15
	v_subb_co_u32_e32 v5, vcc, v3, v15, vcc
                                        ; implicit-def: $vgpr3
.LBB62_151:
	s_andn2_saveexec_b64 s[0:1], s[4:5]
	s_cbranch_execz .LBB62_153
; %bb.152:
	v_cvt_f32_u32_e32 v4, s16
	v_rcp_iflag_f32_e32 v4, v4
	v_mul_f32_e32 v4, 0x4f7ffffe, v4
	v_cvt_u32_f32_e32 v4, v4
	v_mul_lo_u32 v5, s6, v4
	v_mul_hi_u32 v5, v4, v5
	v_add_u32_e32 v4, v4, v5
	v_mul_hi_u32 v4, v3, v4
	v_mul_lo_u32 v5, v4, s16
	v_sub_u32_e32 v3, v3, v5
	v_add_u32_e32 v12, 1, v4
	v_subrev_u32_e32 v5, s16, v3
	v_cmp_le_u32_e32 vcc, s16, v3
	v_cndmask_b32_e32 v3, v3, v5, vcc
	v_cndmask_b32_e32 v4, v4, v12, vcc
	v_add_u32_e32 v5, 1, v4
	v_cmp_le_u32_e32 vcc, s16, v3
	v_cndmask_b32_e32 v4, v4, v5, vcc
	v_mov_b32_e32 v5, 0
.LBB62_153:
	s_or_b64 exec, exec, s[0:1]
	v_cmp_gt_i64_e32 vcc, s[26:27], v[10:11]
	v_mov_b32_e32 v19, 0
	s_and_saveexec_b64 s[0:1], vcc
	s_cbranch_execz .LBB62_167
; %bb.154:
	s_add_i32 s4, s16, -1
	v_and_b32_e32 v10, s4, v0
	v_cmp_lt_i64_e32 vcc, 0, v[4:5]
	v_mov_b32_e32 v19, 0
	s_and_saveexec_b64 s[4:5], vcc
	s_cbranch_execz .LBB62_164
; %bb.155:
	v_cmp_lt_u64_e32 vcc, 3, v[4:5]
	v_pk_mov_b32 v[12:13], 0, 0
	v_mov_b32_e32 v19, 0
	s_and_saveexec_b64 s[6:7], vcc
	s_cbranch_execz .LBB62_159
; %bb.156:
	s_lshl_b32 s10, s8, 2
	s_lshl_b32 s11, s16, 3
	;; [unrolled: 1-line block ×3, first 2 shown]
	v_lshlrev_b32_e32 v3, 2, v2
	s_sub_i32 s15, s11, s10
	s_mul_i32 s11, s16, 12
	v_and_b32_e32 v13, 0x7fffffff, v5
	v_and_b32_e32 v12, -4, v4
	s_sub_i32 s9, s9, s10
	v_lshl_add_u32 v3, v10, 2, v3
	s_lshl_b32 s14, s16, 4
	s_sub_i32 s17, s11, s10
	s_sub_i32 s18, 0, s10
	s_mov_b64 s[10:11], 0
	v_mov_b32_e32 v19, 0
	s_mov_b64 s[12:13], 0
.LBB62_157:                             ; =>This Inner Loop Header: Depth=1
	v_add_u32_e32 v11, s18, v3
	v_add_u32_e32 v14, s9, v3
	;; [unrolled: 1-line block ×4, first 2 shown]
	ds_read_b32 v11, v11
	ds_read_b32 v14, v14
	;; [unrolled: 1-line block ×4, first 2 shown]
	s_add_u32 s12, s12, 4
	s_waitcnt lgkmcnt(3)
	v_add_f32_e32 v11, v19, v11
	s_addc_u32 s13, s13, 0
	s_waitcnt lgkmcnt(2)
	v_add_f32_e32 v11, v11, v14
	v_cmp_eq_u64_e32 vcc, s[12:13], v[12:13]
	s_waitcnt lgkmcnt(1)
	v_add_f32_e32 v11, v11, v15
	v_add_u32_e32 v3, s14, v3
	s_or_b64 s[10:11], vcc, s[10:11]
	s_waitcnt lgkmcnt(0)
	v_add_f32_e32 v19, v11, v20
	s_andn2_b64 exec, exec, s[10:11]
	s_cbranch_execnz .LBB62_157
; %bb.158:
	s_or_b64 exec, exec, s[10:11]
.LBB62_159:
	s_or_b64 exec, exec, s[6:7]
	v_and_b32_e32 v14, 3, v4
	v_mov_b32_e32 v15, 0
	s_mov_b64 s[10:11], 0
	v_cmp_ne_u64_e32 vcc, 0, v[14:15]
	s_and_saveexec_b64 s[6:7], vcc
	s_cbranch_execz .LBB62_163
; %bb.160:
	v_mul_lo_u32 v3, s16, v12
	v_add3_u32 v2, v10, v3, v2
	v_subrev_u32_e32 v2, s8, v2
	v_lshlrev_b32_e32 v2, 2, v2
	s_lshl_b32 s8, s16, 2
.LBB62_161:                             ; =>This Inner Loop Header: Depth=1
	ds_read_b32 v3, v2
	v_add_co_u32_e32 v14, vcc, -1, v14
	v_addc_co_u32_e32 v15, vcc, -1, v15, vcc
	v_cmp_eq_u64_e32 vcc, 0, v[14:15]
	v_add_u32_e32 v2, s8, v2
	s_or_b64 s[10:11], vcc, s[10:11]
	s_waitcnt lgkmcnt(0)
	v_add_f32_e32 v19, v19, v3
	s_andn2_b64 exec, exec, s[10:11]
	s_cbranch_execnz .LBB62_161
; %bb.162:
	s_or_b64 exec, exec, s[10:11]
.LBB62_163:
	s_or_b64 exec, exec, s[6:7]
.LBB62_164:
	s_or_b64 exec, exec, s[4:5]
	v_mad_u64_u32 v[2:3], s[4:5], v4, s16, v[8:9]
	v_mov_b32_e32 v4, v3
	v_mad_u64_u32 v[4:5], s[4:5], v5, s16, v[4:5]
	v_mov_b32_e32 v3, v4
	v_sub_co_u32_e32 v4, vcc, v17, v2
	v_mov_b32_e32 v11, 0
	v_subb_co_u32_e32 v5, vcc, v18, v3, vcc
	v_cmp_gt_i64_e32 vcc, v[4:5], v[10:11]
	s_and_saveexec_b64 s[4:5], vcc
	s_cbranch_execz .LBB62_166
; %bb.165:
	v_add_lshl_u32 v2, v10, v2, 2
	ds_read_b32 v2, v2
	s_waitcnt lgkmcnt(0)
	v_add_f32_e32 v19, v19, v2
.LBB62_166:
	s_or_b64 exec, exec, s[4:5]
.LBB62_167:
	s_or_b64 exec, exec, s[0:1]
	v_cmp_gt_i64_e32 vcc, s[26:27], v[0:1]
	s_barrier
	ds_write_b32 v16, v19
	s_waitcnt lgkmcnt(0)
	s_barrier
	s_and_saveexec_b64 s[0:1], vcc
	s_cbranch_execz .LBB62_177
; %bb.168:
	s_cmp_lt_u32 s16, 8
	v_mul_lo_u32 v1, s16, v0
	s_cbranch_scc1 .LBB62_171
; %bb.169:
	s_and_b32 s0, s16, 0x7ffffff8
	v_lshlrev_b32_e32 v2, 2, v1
	s_mov_b32 s1, 0
	v_mov_b32_e32 v4, 0
.LBB62_170:                             ; =>This Inner Loop Header: Depth=1
	ds_read2_b32 v[8:9], v2 offset1:1
	ds_read2_b32 v[10:11], v2 offset0:2 offset1:3
	ds_read2_b32 v[12:13], v2 offset0:4 offset1:5
	;; [unrolled: 1-line block ×3, first 2 shown]
	s_add_i32 s1, s1, 8
	s_waitcnt lgkmcnt(3)
	v_add_f32_e32 v3, v4, v8
	v_add_f32_e32 v3, v3, v9
	s_waitcnt lgkmcnt(2)
	v_add_f32_e32 v3, v3, v10
	v_add_f32_e32 v3, v3, v11
	;; [unrolled: 3-line block ×3, first 2 shown]
	s_waitcnt lgkmcnt(0)
	v_add_f32_e32 v3, v3, v14
	v_add_u32_e32 v2, 32, v2
	s_cmp_eq_u32 s0, s1
	v_add_f32_e32 v4, v3, v15
	s_cbranch_scc0 .LBB62_170
	s_branch .LBB62_172
.LBB62_171:
	s_mov_b32 s0, 0
	v_mov_b32_e32 v4, 0
.LBB62_172:
	s_bfe_u32 s1, s3, 0x30001
	s_cmp_eq_u32 s1, 0
	s_cbranch_scc1 .LBB62_175
; %bb.173:
	v_add_lshl_u32 v1, s0, v1, 2
.LBB62_174:                             ; =>This Inner Loop Header: Depth=1
	ds_read_b32 v2, v1
	s_add_i32 s1, s1, -1
	v_add_u32_e32 v1, 4, v1
	s_cmp_lg_u32 s1, 0
	s_waitcnt lgkmcnt(0)
	v_add_f32_e32 v4, v4, v2
	s_cbranch_scc1 .LBB62_174
.LBB62_175:
	v_lshlrev_b64 v[2:3], 2, v[6:7]
	v_mov_b32_e32 v1, s25
	v_add_co_u32_e32 v2, vcc, s24, v2
	v_addc_co_u32_e32 v3, vcc, v1, v3, vcc
	global_load_dword v1, v[2:3], off
	s_lshl_b32 s0, s2, 2
	s_addk_i32 s0, 0x1000
	v_lshl_add_u32 v0, v0, 2, s0
	ds_read_b32 v0, v0
	s_mov_b64 s[0:1], 0
	s_waitcnt lgkmcnt(0)
	v_add_f32_e32 v4, v4, v0
.LBB62_176:                             ; =>This Inner Loop Header: Depth=1
	s_waitcnt vmcnt(0)
	v_add_f32_e32 v0, v1, v4
	global_atomic_cmpswap v0, v[2:3], v[0:1], off glc
	s_waitcnt vmcnt(0)
	v_cmp_eq_u32_e32 vcc, v0, v1
	s_or_b64 s[0:1], vcc, s[0:1]
	v_mov_b32_e32 v1, v0
	s_andn2_b64 exec, exec, s[0:1]
	s_cbranch_execnz .LBB62_176
.LBB62_177:
	s_endpgm
	.section	.rodata,"a",@progbits
	.p2align	6, 0x0
	.amdhsa_kernel _ZN9rocsparseL27csrmvn_symm_adaptive_kernelIllaaffEEvbT_S1_PKS1_NS_24const_host_device_scalarIT4_EES3_PKT0_PKT1_PKT2_S6_PT3_21rocsparse_index_base_b
		.amdhsa_group_segment_fixed_size 4096
		.amdhsa_private_segment_fixed_size 0
		.amdhsa_kernarg_size 352
		.amdhsa_user_sgpr_count 6
		.amdhsa_user_sgpr_private_segment_buffer 1
		.amdhsa_user_sgpr_dispatch_ptr 0
		.amdhsa_user_sgpr_queue_ptr 0
		.amdhsa_user_sgpr_kernarg_segment_ptr 1
		.amdhsa_user_sgpr_dispatch_id 0
		.amdhsa_user_sgpr_flat_scratch_init 0
		.amdhsa_user_sgpr_kernarg_preload_length 0
		.amdhsa_user_sgpr_kernarg_preload_offset 0
		.amdhsa_user_sgpr_private_segment_size 0
		.amdhsa_uses_dynamic_stack 0
		.amdhsa_system_sgpr_private_segment_wavefront_offset 0
		.amdhsa_system_sgpr_workgroup_id_x 1
		.amdhsa_system_sgpr_workgroup_id_y 0
		.amdhsa_system_sgpr_workgroup_id_z 0
		.amdhsa_system_sgpr_workgroup_info 0
		.amdhsa_system_vgpr_workitem_id 0
		.amdhsa_next_free_vgpr 23
		.amdhsa_next_free_sgpr 52
		.amdhsa_accum_offset 24
		.amdhsa_reserve_vcc 1
		.amdhsa_reserve_flat_scratch 0
		.amdhsa_float_round_mode_32 0
		.amdhsa_float_round_mode_16_64 0
		.amdhsa_float_denorm_mode_32 3
		.amdhsa_float_denorm_mode_16_64 3
		.amdhsa_dx10_clamp 1
		.amdhsa_ieee_mode 1
		.amdhsa_fp16_overflow 0
		.amdhsa_tg_split 0
		.amdhsa_exception_fp_ieee_invalid_op 0
		.amdhsa_exception_fp_denorm_src 0
		.amdhsa_exception_fp_ieee_div_zero 0
		.amdhsa_exception_fp_ieee_overflow 0
		.amdhsa_exception_fp_ieee_underflow 0
		.amdhsa_exception_fp_ieee_inexact 0
		.amdhsa_exception_int_div_zero 0
	.end_amdhsa_kernel
	.section	.text._ZN9rocsparseL27csrmvn_symm_adaptive_kernelIllaaffEEvbT_S1_PKS1_NS_24const_host_device_scalarIT4_EES3_PKT0_PKT1_PKT2_S6_PT3_21rocsparse_index_base_b,"axG",@progbits,_ZN9rocsparseL27csrmvn_symm_adaptive_kernelIllaaffEEvbT_S1_PKS1_NS_24const_host_device_scalarIT4_EES3_PKT0_PKT1_PKT2_S6_PT3_21rocsparse_index_base_b,comdat
.Lfunc_end62:
	.size	_ZN9rocsparseL27csrmvn_symm_adaptive_kernelIllaaffEEvbT_S1_PKS1_NS_24const_host_device_scalarIT4_EES3_PKT0_PKT1_PKT2_S6_PT3_21rocsparse_index_base_b, .Lfunc_end62-_ZN9rocsparseL27csrmvn_symm_adaptive_kernelIllaaffEEvbT_S1_PKS1_NS_24const_host_device_scalarIT4_EES3_PKT0_PKT1_PKT2_S6_PT3_21rocsparse_index_base_b
                                        ; -- End function
	.section	.AMDGPU.csdata,"",@progbits
; Kernel info:
; codeLenInByte = 8592
; NumSgprs: 56
; NumVgprs: 23
; NumAgprs: 0
; TotalNumVgprs: 23
; ScratchSize: 0
; MemoryBound: 0
; FloatMode: 240
; IeeeMode: 1
; LDSByteSize: 4096 bytes/workgroup (compile time only)
; SGPRBlocks: 6
; VGPRBlocks: 2
; NumSGPRsForWavesPerEU: 56
; NumVGPRsForWavesPerEU: 23
; AccumOffset: 24
; Occupancy: 8
; WaveLimiterHint : 1
; COMPUTE_PGM_RSRC2:SCRATCH_EN: 0
; COMPUTE_PGM_RSRC2:USER_SGPR: 6
; COMPUTE_PGM_RSRC2:TRAP_HANDLER: 0
; COMPUTE_PGM_RSRC2:TGID_X_EN: 1
; COMPUTE_PGM_RSRC2:TGID_Y_EN: 0
; COMPUTE_PGM_RSRC2:TGID_Z_EN: 0
; COMPUTE_PGM_RSRC2:TIDIG_COMP_CNT: 0
; COMPUTE_PGM_RSRC3_GFX90A:ACCUM_OFFSET: 5
; COMPUTE_PGM_RSRC3_GFX90A:TG_SPLIT: 0
	.section	.text._ZL33csrmvn_symm_large_adaptive_kernelIllaaffEvbT_PKS0_N9rocsparse24const_host_device_scalarIT4_EES2_PKT0_PKT1_PKT2_S6_PT3_21rocsparse_index_base_b,"axG",@progbits,_ZL33csrmvn_symm_large_adaptive_kernelIllaaffEvbT_PKS0_N9rocsparse24const_host_device_scalarIT4_EES2_PKT0_PKT1_PKT2_S6_PT3_21rocsparse_index_base_b,comdat
	.globl	_ZL33csrmvn_symm_large_adaptive_kernelIllaaffEvbT_PKS0_N9rocsparse24const_host_device_scalarIT4_EES2_PKT0_PKT1_PKT2_S6_PT3_21rocsparse_index_base_b ; -- Begin function _ZL33csrmvn_symm_large_adaptive_kernelIllaaffEvbT_PKS0_N9rocsparse24const_host_device_scalarIT4_EES2_PKT0_PKT1_PKT2_S6_PT3_21rocsparse_index_base_b
	.p2align	8
	.type	_ZL33csrmvn_symm_large_adaptive_kernelIllaaffEvbT_PKS0_N9rocsparse24const_host_device_scalarIT4_EES2_PKT0_PKT1_PKT2_S6_PT3_21rocsparse_index_base_b,@function
_ZL33csrmvn_symm_large_adaptive_kernelIllaaffEvbT_PKS0_N9rocsparse24const_host_device_scalarIT4_EES2_PKT0_PKT1_PKT2_S6_PT3_21rocsparse_index_base_b: ; @_ZL33csrmvn_symm_large_adaptive_kernelIllaaffEvbT_PKS0_N9rocsparse24const_host_device_scalarIT4_EES2_PKT0_PKT1_PKT2_S6_PT3_21rocsparse_index_base_b
; %bb.0:
	s_load_dwordx2 s[10:11], s[4:5], 0x50
	s_load_dwordx2 s[24:25], s[4:5], 0x18
	;; [unrolled: 1-line block ×3, first 2 shown]
	s_waitcnt lgkmcnt(0)
	s_bitcmp1_b32 s11, 0
	s_cselect_b64 s[8:9], -1, 0
	s_xor_b64 s[2:3], s[8:9], -1
	s_and_b64 vcc, exec, s[8:9]
	s_cbranch_vccnz .LBB63_2
; %bb.1:
	s_load_dword s24, s[24:25], 0x0
.LBB63_2:
	s_andn2_b64 vcc, exec, s[2:3]
	s_cbranch_vccnz .LBB63_4
; %bb.3:
	s_load_dword s0, s[0:1], 0x0
.LBB63_4:
	s_waitcnt lgkmcnt(0)
	v_cmp_neq_f32_e64 s[2:3], s24, 0
	v_cmp_neq_f32_e64 s[0:1], s0, 1.0
	s_or_b64 s[0:1], s[2:3], s[0:1]
	s_andn2_b64 vcc, exec, s[0:1]
	s_mov_b32 s11, 0
	s_cbranch_vccnz .LBB63_38
; %bb.5:
	s_load_dwordx2 s[0:1], s[4:5], 0x10
	s_ashr_i32 s7, s6, 31
	s_lshl_b64 s[2:3], s[6:7], 3
	v_lshlrev_b32_e32 v6, 2, v0
	v_mov_b32_e32 v1, 0
	s_waitcnt lgkmcnt(0)
	s_add_u32 s0, s0, s2
	s_addc_u32 s1, s1, s3
	ds_write2st64_b32 v6, v1, v1 offset1:4
	ds_write2st64_b32 v6, v1, v1 offset0:8 offset1:12
	s_waitcnt lgkmcnt(0)
	s_barrier
	s_load_dwordx4 s[20:23], s[0:1], 0x0
	s_load_dwordx8 s[12:19], s[4:5], 0x20
	s_load_dwordx2 s[26:27], s[4:5], 0x48
	v_subrev_co_u32_e64 v7, s[0:1], s10, v0
	s_waitcnt lgkmcnt(0)
	v_pk_mov_b32 v[2:3], s[22:23], s[22:23] op_sel:[0,1]
	v_cmp_lt_i64_e32 vcc, s[20:21], v[2:3]
	v_subb_co_u32_e64 v8, s[0:1], 0, 0, s[0:1]
	s_cbranch_vccnz .LBB63_7
; %bb.6:
	s_lshl_b64 s[0:1], s[20:21], 3
	s_add_u32 s0, s12, s0
	s_addc_u32 s1, s13, s1
	s_load_dwordx2 s[28:29], s[0:1], 0x0
	s_cbranch_execz .LBB63_8
	s_branch .LBB63_28
.LBB63_7:
                                        ; implicit-def: $sgpr28_sgpr29
.LBB63_8:
	s_waitcnt lgkmcnt(0)
	s_lshl_b64 s[28:29], s[20:21], 3
	s_add_u32 s28, s12, s28
	s_addc_u32 s29, s13, s29
	s_load_dwordx2 s[28:29], s[28:29], 0x0
	s_movk_i32 s0, 0x100
	s_add_u32 s25, s12, 8
	v_cmp_gt_u32_e64 s[0:1], s0, v0
	v_cmp_gt_u32_e64 s[2:3], 64, v0
	;; [unrolled: 1-line block ×4, first 2 shown]
	v_cmp_eq_u32_e64 s[8:9], 0, v0
	s_addc_u32 s33, s13, 0
	v_mov_b32_e32 v9, s11
	v_mov_b32_e32 v10, s17
	;; [unrolled: 1-line block ×4, first 2 shown]
	v_pk_mov_b32 v[0:1], s[22:23], s[22:23] op_sel:[0,1]
	s_waitcnt lgkmcnt(0)
	s_mov_b64 s[34:35], s[28:29]
	s_mov_b64 s[30:31], s[20:21]
	s_branch .LBB63_10
.LBB63_9:                               ;   in Loop: Header=BB63_10 Depth=1
	s_or_b64 exec, exec, s[36:37]
	s_add_u32 s30, s30, 1
	s_addc_u32 s31, s31, 0
	v_cmp_ge_i64_e32 vcc, s[30:31], v[0:1]
	s_cbranch_vccnz .LBB63_28
.LBB63_10:                              ; =>This Loop Header: Depth=1
                                        ;     Child Loop BB63_12 Depth 2
                                        ;     Child Loop BB63_27 Depth 2
	s_mov_b64 s[38:39], s[34:35]
	s_lshl_b64 s[34:35], s[30:31], 3
	s_add_u32 s34, s25, s34
	s_addc_u32 s35, s33, s35
	s_load_dwordx2 s[34:35], s[34:35], 0x0
	v_mov_b32_e32 v3, s39
	v_add_co_u32_e32 v2, vcc, s38, v7
	v_addc_co_u32_e32 v3, vcc, v3, v8, vcc
	s_waitcnt lgkmcnt(0)
	s_sub_u32 s36, s34, s10
	s_subb_u32 s37, s35, 0
	v_cmp_gt_i64_e32 vcc, s[36:37], v[2:3]
	v_mov_b32_e32 v13, 0
	s_and_saveexec_b64 s[38:39], vcc
	s_cbranch_execz .LBB63_14
; %bb.11:                               ;   in Loop: Header=BB63_10 Depth=1
	v_lshlrev_b64 v[4:5], 3, v[2:3]
	v_mov_b32_e32 v13, s15
	v_add_co_u32_e32 v4, vcc, s14, v4
	v_addc_co_u32_e32 v5, vcc, v13, v5, vcc
	s_mov_b64 s[40:41], 0
	v_mov_b32_e32 v13, 0
.LBB63_12:                              ;   Parent Loop BB63_10 Depth=1
                                        ; =>  This Inner Loop Header: Depth=2
	global_load_dwordx2 v[14:15], v[4:5], off
	v_add_co_u32_e32 v16, vcc, s16, v2
	v_addc_co_u32_e32 v17, vcc, v10, v3, vcc
	global_load_sbyte v16, v[16:17], off
	s_waitcnt vmcnt(1)
	v_subrev_co_u32_e32 v14, vcc, s10, v14
	v_subb_co_u32_e32 v15, vcc, v15, v9, vcc
	v_add_co_u32_e32 v14, vcc, s18, v14
	v_addc_co_u32_e32 v15, vcc, v11, v15, vcc
	global_load_sbyte v14, v[14:15], off
	v_add_co_u32_e32 v2, vcc, 0x100, v2
	v_addc_co_u32_e32 v3, vcc, 0, v3, vcc
	s_waitcnt vmcnt(1)
	v_cvt_f32_i32_e32 v15, v16
	v_add_co_u32_e32 v4, vcc, 0x800, v4
	v_addc_co_u32_e32 v5, vcc, 0, v5, vcc
	v_cmp_le_i64_e32 vcc, s[36:37], v[2:3]
	s_or_b64 s[40:41], vcc, s[40:41]
	s_waitcnt vmcnt(0)
	v_cvt_f32_i32_e32 v14, v14
	v_fmac_f32_e32 v13, v15, v14
	s_andn2_b64 exec, exec, s[40:41]
	s_cbranch_execnz .LBB63_12
; %bb.13:                               ;   in Loop: Header=BB63_10 Depth=1
	s_or_b64 exec, exec, s[40:41]
.LBB63_14:                              ;   in Loop: Header=BB63_10 Depth=1
	s_or_b64 exec, exec, s[38:39]
	ds_write_b32 v6, v13
	s_waitcnt lgkmcnt(0)
	s_barrier
	s_and_saveexec_b64 s[36:37], s[0:1]
	s_cbranch_execz .LBB63_16
; %bb.15:                               ;   in Loop: Header=BB63_10 Depth=1
	ds_read2st64_b32 v[2:3], v6 offset1:4
	ds_read2st64_b32 v[4:5], v6 offset0:8 offset1:12
	s_waitcnt lgkmcnt(0)
	v_add_f32_e32 v3, v3, v4
	v_add_f32_e32 v3, v3, v5
	;; [unrolled: 1-line block ×3, first 2 shown]
	ds_write_b32 v6, v2
.LBB63_16:                              ;   in Loop: Header=BB63_10 Depth=1
	s_or_b64 exec, exec, s[36:37]
	s_waitcnt lgkmcnt(0)
	s_barrier
	s_and_saveexec_b64 s[36:37], s[2:3]
	s_cbranch_execz .LBB63_18
; %bb.17:                               ;   in Loop: Header=BB63_10 Depth=1
	ds_read2st64_b32 v[2:3], v6 offset1:1
	ds_read2st64_b32 v[4:5], v6 offset0:2 offset1:3
	s_waitcnt lgkmcnt(0)
	v_add_f32_e32 v3, v3, v4
	v_add_f32_e32 v3, v3, v5
	;; [unrolled: 1-line block ×3, first 2 shown]
	ds_write_b32 v6, v2
.LBB63_18:                              ;   in Loop: Header=BB63_10 Depth=1
	s_or_b64 exec, exec, s[36:37]
	s_waitcnt lgkmcnt(0)
	s_barrier
	s_and_saveexec_b64 s[36:37], s[4:5]
	s_cbranch_execz .LBB63_20
; %bb.19:                               ;   in Loop: Header=BB63_10 Depth=1
	ds_read2_b32 v[2:3], v6 offset1:16
	ds_read2_b32 v[4:5], v6 offset0:32 offset1:48
	s_waitcnt lgkmcnt(0)
	v_add_f32_e32 v3, v3, v4
	v_add_f32_e32 v3, v3, v5
	;; [unrolled: 1-line block ×3, first 2 shown]
	ds_write_b32 v6, v2
.LBB63_20:                              ;   in Loop: Header=BB63_10 Depth=1
	s_or_b64 exec, exec, s[36:37]
	s_waitcnt lgkmcnt(0)
	s_barrier
	s_and_saveexec_b64 s[36:37], s[6:7]
	s_cbranch_execz .LBB63_22
; %bb.21:                               ;   in Loop: Header=BB63_10 Depth=1
	ds_read2_b32 v[2:3], v6 offset1:4
	ds_read2_b32 v[4:5], v6 offset0:8 offset1:12
	s_waitcnt lgkmcnt(0)
	v_add_f32_e32 v3, v3, v4
	v_add_f32_e32 v3, v3, v5
	;; [unrolled: 1-line block ×3, first 2 shown]
	ds_write_b32 v6, v2
.LBB63_22:                              ;   in Loop: Header=BB63_10 Depth=1
	s_or_b64 exec, exec, s[36:37]
	s_waitcnt lgkmcnt(0)
	s_barrier
	s_and_saveexec_b64 s[36:37], s[8:9]
	s_cbranch_execz .LBB63_24
; %bb.23:                               ;   in Loop: Header=BB63_10 Depth=1
	ds_read2_b32 v[2:3], v12 offset0:1 offset1:2
	ds_read_b32 v4, v12 offset:12
	ds_read_b32 v5, v6
	s_waitcnt lgkmcnt(2)
	v_add_f32_e32 v2, v2, v3
	s_waitcnt lgkmcnt(1)
	v_add_f32_e32 v2, v2, v4
	;; [unrolled: 2-line block ×3, first 2 shown]
	ds_write_b32 v6, v2
.LBB63_24:                              ;   in Loop: Header=BB63_10 Depth=1
	s_or_b64 exec, exec, s[36:37]
	s_waitcnt lgkmcnt(0)
	s_barrier
	s_and_saveexec_b64 s[36:37], s[8:9]
	s_cbranch_execz .LBB63_9
; %bb.25:                               ;   in Loop: Header=BB63_10 Depth=1
	s_mov_b64 s[40:41], exec
	v_mbcnt_lo_u32_b32 v2, s40, 0
	v_mbcnt_hi_u32_b32 v2, s41, v2
	v_cmp_eq_u32_e32 vcc, 0, v2
	s_and_b64 s[38:39], exec, vcc
	s_mov_b64 exec, s[38:39]
	s_cbranch_execz .LBB63_9
; %bb.26:                               ;   in Loop: Header=BB63_10 Depth=1
	s_lshl_b64 s[38:39], s[30:31], 2
	s_add_u32 s38, s26, s38
	s_addc_u32 s39, s27, s39
	global_load_dword v3, v12, s[38:39]
	ds_read_b32 v2, v12
	s_bcnt1_i32_b64 s40, s[40:41]
	v_cvt_f32_ubyte0_e32 v4, s40
	s_mov_b64 s[40:41], 0
	s_waitcnt lgkmcnt(0)
	v_mul_f32_e32 v2, s24, v2
	v_mul_f32_e32 v4, v2, v4
.LBB63_27:                              ;   Parent Loop BB63_10 Depth=1
                                        ; =>  This Inner Loop Header: Depth=2
	s_waitcnt vmcnt(0)
	v_add_f32_e32 v2, v3, v4
	global_atomic_cmpswap v2, v12, v[2:3], s[38:39] glc
	s_waitcnt vmcnt(0)
	v_cmp_eq_u32_e32 vcc, v2, v3
	s_or_b64 s[40:41], vcc, s[40:41]
	v_mov_b32_e32 v3, v2
	s_andn2_b64 exec, exec, s[40:41]
	s_cbranch_execnz .LBB63_27
	s_branch .LBB63_9
.LBB63_28:
	s_lshl_b64 s[0:1], s[22:23], 3
	s_add_u32 s0, s12, s0
	s_addc_u32 s1, s13, s1
	s_load_dwordx2 s[0:1], s[0:1], 0x0
	s_waitcnt lgkmcnt(0)
	v_mov_b32_e32 v1, s29
	v_add_co_u32_e32 v0, vcc, s28, v7
	v_addc_co_u32_e32 v1, vcc, v1, v8, vcc
	s_sub_u32 s4, s0, s10
	s_subb_u32 s5, s1, 0
	v_cmp_gt_i64_e32 vcc, s[4:5], v[0:1]
	s_and_saveexec_b64 s[0:1], vcc
	s_cbranch_execz .LBB63_38
; %bb.29:
	s_add_u32 s6, s22, -1
	s_addc_u32 s7, s23, -1
	s_add_u32 s0, s22, -2
	s_addc_u32 s1, s23, -1
	v_pk_mov_b32 v[2:3], s[20:21], s[20:21] op_sel:[0,1]
	s_cmp_lg_u64 s[0:1], s[20:21]
	v_cmp_gt_i64_e32 vcc, s[6:7], v[2:3]
	s_cselect_b64 s[0:1], -1, 0
	s_and_b64 s[0:1], vcc, s[0:1]
	v_cndmask_b32_e64 v2, 0, 1, s[0:1]
	s_mov_b64 s[8:9], 0
	v_cmp_ne_u32_e64 s[0:1], 1, v2
	v_mov_b32_e32 v6, s13
	v_mov_b32_e32 v7, s11
	;; [unrolled: 1-line block ×3, first 2 shown]
	s_branch .LBB63_31
.LBB63_30:                              ;   in Loop: Header=BB63_31 Depth=1
	s_or_b64 exec, exec, s[2:3]
	v_add_co_u32_e32 v0, vcc, 0x100, v0
	v_addc_co_u32_e32 v1, vcc, 0, v1, vcc
	v_cmp_le_i64_e32 vcc, s[4:5], v[0:1]
	s_or_b64 s[8:9], vcc, s[8:9]
	s_andn2_b64 exec, exec, s[8:9]
	s_cbranch_execz .LBB63_38
.LBB63_31:                              ; =>This Loop Header: Depth=1
                                        ;     Child Loop BB63_33 Depth 2
                                        ;     Child Loop BB63_37 Depth 2
	s_and_b64 vcc, exec, s[0:1]
	v_pk_mov_b32 v[2:3], s[20:21], s[20:21] op_sel:[0,1]
	v_pk_mov_b32 v[4:5], s[6:7], s[6:7] op_sel:[0,1]
	s_cbranch_vccnz .LBB63_35
; %bb.32:                               ;   in Loop: Header=BB63_31 Depth=1
	s_mov_b64 s[22:23], 0
	v_pk_mov_b32 v[2:3], s[20:21], s[20:21] op_sel:[0,1]
	v_pk_mov_b32 v[4:5], s[6:7], s[6:7] op_sel:[0,1]
.LBB63_33:                              ;   Parent Loop BB63_31 Depth=1
                                        ; =>  This Inner Loop Header: Depth=2
	v_add_co_u32_e32 v9, vcc, v4, v2
	v_addc_co_u32_e32 v11, vcc, v5, v3, vcc
	v_lshrrev_b32_e32 v10, 31, v11
	v_add_co_u32_e32 v10, vcc, v9, v10
	v_addc_co_u32_e32 v11, vcc, 0, v11, vcc
	v_ashrrev_i64 v[10:11], 1, v[10:11]
	v_lshlrev_b64 v[12:13], 3, v[10:11]
	v_mov_b32_e32 v14, s13
	v_add_co_u32_e32 v12, vcc, s12, v12
	v_addc_co_u32_e32 v13, vcc, v14, v13, vcc
	global_load_dwordx2 v[12:13], v[12:13], off
	v_mov_b32_e32 v9, s11
	s_waitcnt vmcnt(0)
	v_subrev_co_u32_e32 v12, vcc, s10, v12
	v_subb_co_u32_e32 v13, vcc, v13, v9, vcc
	v_cmp_gt_i64_e32 vcc, v[12:13], v[0:1]
	v_cndmask_b32_e32 v4, v4, v10, vcc
	v_cndmask_b32_e32 v5, v5, v11, vcc
	;; [unrolled: 1-line block ×3, first 2 shown]
	v_add_co_u32_e64 v10, s[2:3], -1, v4
	v_cndmask_b32_e32 v3, v11, v3, vcc
	v_addc_co_u32_e64 v11, s[2:3], -1, v5, s[2:3]
	v_cmp_ge_i64_e32 vcc, v[2:3], v[4:5]
	v_cmp_eq_u64_e64 s[2:3], v[2:3], v[10:11]
	s_or_b64 s[2:3], vcc, s[2:3]
	s_and_b64 s[2:3], exec, s[2:3]
	s_or_b64 s[22:23], s[2:3], s[22:23]
	s_andn2_b64 exec, exec, s[22:23]
	s_cbranch_execnz .LBB63_33
; %bb.34:                               ;   in Loop: Header=BB63_31 Depth=1
	s_or_b64 exec, exec, s[22:23]
.LBB63_35:                              ;   in Loop: Header=BB63_31 Depth=1
	v_lshlrev_b64 v[10:11], 3, v[4:5]
	v_add_co_u32_e32 v10, vcc, s12, v10
	v_addc_co_u32_e32 v11, vcc, v6, v11, vcc
	global_load_dwordx2 v[10:11], v[10:11], off
	v_lshlrev_b64 v[12:13], 3, v[0:1]
	v_add_co_u32_e32 v12, vcc, s14, v12
	v_addc_co_u32_e32 v13, vcc, v8, v13, vcc
	global_load_dwordx2 v[12:13], v[12:13], off
	s_waitcnt vmcnt(1)
	v_subrev_co_u32_e32 v10, vcc, s10, v10
	v_subb_co_u32_e32 v11, vcc, v11, v7, vcc
	v_cmp_gt_i64_e32 vcc, v[10:11], v[0:1]
	v_cndmask_b32_e32 v3, v5, v3, vcc
	v_cndmask_b32_e32 v2, v4, v2, vcc
	s_waitcnt vmcnt(0)
	v_subrev_co_u32_e32 v4, vcc, s10, v12
	v_subb_co_u32_e32 v5, vcc, v13, v7, vcc
	v_cmp_ne_u64_e32 vcc, v[4:5], v[2:3]
	s_and_saveexec_b64 s[2:3], vcc
	s_cbranch_execz .LBB63_30
; %bb.36:                               ;   in Loop: Header=BB63_31 Depth=1
	v_mov_b32_e32 v9, s17
	v_add_co_u32_e32 v10, vcc, s16, v0
	v_addc_co_u32_e32 v11, vcc, v9, v1, vcc
	global_load_sbyte v9, v[10:11], off
	v_mov_b32_e32 v10, s19
	v_add_co_u32_e32 v2, vcc, s18, v2
	v_addc_co_u32_e32 v3, vcc, v10, v3, vcc
	global_load_sbyte v10, v[2:3], off
	v_lshlrev_b64 v[4:5], 2, v[4:5]
	v_mov_b32_e32 v3, s27
	v_add_co_u32_e32 v2, vcc, s26, v4
	v_addc_co_u32_e32 v3, vcc, v3, v5, vcc
	global_load_dword v5, v[2:3], off
	s_mov_b64 s[22:23], 0
	s_waitcnt vmcnt(2)
	v_cvt_f32_i32_e32 v4, v9
	v_mul_f32_e32 v4, s24, v4
	s_waitcnt vmcnt(1)
	v_cvt_f32_i32_e32 v9, v10
	v_mul_f32_e32 v9, v4, v9
.LBB63_37:                              ;   Parent Loop BB63_31 Depth=1
                                        ; =>  This Inner Loop Header: Depth=2
	s_waitcnt vmcnt(0)
	v_add_f32_e32 v4, v5, v9
	global_atomic_cmpswap v4, v[2:3], v[4:5], off glc
	s_waitcnt vmcnt(0)
	v_cmp_eq_u32_e32 vcc, v4, v5
	s_or_b64 s[22:23], vcc, s[22:23]
	v_mov_b32_e32 v5, v4
	s_andn2_b64 exec, exec, s[22:23]
	s_cbranch_execnz .LBB63_37
	s_branch .LBB63_30
.LBB63_38:
	s_endpgm
	.section	.rodata,"a",@progbits
	.p2align	6, 0x0
	.amdhsa_kernel _ZL33csrmvn_symm_large_adaptive_kernelIllaaffEvbT_PKS0_N9rocsparse24const_host_device_scalarIT4_EES2_PKT0_PKT1_PKT2_S6_PT3_21rocsparse_index_base_b
		.amdhsa_group_segment_fixed_size 4096
		.amdhsa_private_segment_fixed_size 0
		.amdhsa_kernarg_size 88
		.amdhsa_user_sgpr_count 6
		.amdhsa_user_sgpr_private_segment_buffer 1
		.amdhsa_user_sgpr_dispatch_ptr 0
		.amdhsa_user_sgpr_queue_ptr 0
		.amdhsa_user_sgpr_kernarg_segment_ptr 1
		.amdhsa_user_sgpr_dispatch_id 0
		.amdhsa_user_sgpr_flat_scratch_init 0
		.amdhsa_user_sgpr_kernarg_preload_length 0
		.amdhsa_user_sgpr_kernarg_preload_offset 0
		.amdhsa_user_sgpr_private_segment_size 0
		.amdhsa_uses_dynamic_stack 0
		.amdhsa_system_sgpr_private_segment_wavefront_offset 0
		.amdhsa_system_sgpr_workgroup_id_x 1
		.amdhsa_system_sgpr_workgroup_id_y 0
		.amdhsa_system_sgpr_workgroup_id_z 0
		.amdhsa_system_sgpr_workgroup_info 0
		.amdhsa_system_vgpr_workitem_id 0
		.amdhsa_next_free_vgpr 18
		.amdhsa_next_free_sgpr 42
		.amdhsa_accum_offset 20
		.amdhsa_reserve_vcc 1
		.amdhsa_reserve_flat_scratch 0
		.amdhsa_float_round_mode_32 0
		.amdhsa_float_round_mode_16_64 0
		.amdhsa_float_denorm_mode_32 3
		.amdhsa_float_denorm_mode_16_64 3
		.amdhsa_dx10_clamp 1
		.amdhsa_ieee_mode 1
		.amdhsa_fp16_overflow 0
		.amdhsa_tg_split 0
		.amdhsa_exception_fp_ieee_invalid_op 0
		.amdhsa_exception_fp_denorm_src 0
		.amdhsa_exception_fp_ieee_div_zero 0
		.amdhsa_exception_fp_ieee_overflow 0
		.amdhsa_exception_fp_ieee_underflow 0
		.amdhsa_exception_fp_ieee_inexact 0
		.amdhsa_exception_int_div_zero 0
	.end_amdhsa_kernel
	.section	.text._ZL33csrmvn_symm_large_adaptive_kernelIllaaffEvbT_PKS0_N9rocsparse24const_host_device_scalarIT4_EES2_PKT0_PKT1_PKT2_S6_PT3_21rocsparse_index_base_b,"axG",@progbits,_ZL33csrmvn_symm_large_adaptive_kernelIllaaffEvbT_PKS0_N9rocsparse24const_host_device_scalarIT4_EES2_PKT0_PKT1_PKT2_S6_PT3_21rocsparse_index_base_b,comdat
.Lfunc_end63:
	.size	_ZL33csrmvn_symm_large_adaptive_kernelIllaaffEvbT_PKS0_N9rocsparse24const_host_device_scalarIT4_EES2_PKT0_PKT1_PKT2_S6_PT3_21rocsparse_index_base_b, .Lfunc_end63-_ZL33csrmvn_symm_large_adaptive_kernelIllaaffEvbT_PKS0_N9rocsparse24const_host_device_scalarIT4_EES2_PKT0_PKT1_PKT2_S6_PT3_21rocsparse_index_base_b
                                        ; -- End function
	.section	.AMDGPU.csdata,"",@progbits
; Kernel info:
; codeLenInByte = 1668
; NumSgprs: 46
; NumVgprs: 18
; NumAgprs: 0
; TotalNumVgprs: 18
; ScratchSize: 0
; MemoryBound: 0
; FloatMode: 240
; IeeeMode: 1
; LDSByteSize: 4096 bytes/workgroup (compile time only)
; SGPRBlocks: 5
; VGPRBlocks: 2
; NumSGPRsForWavesPerEU: 46
; NumVGPRsForWavesPerEU: 18
; AccumOffset: 20
; Occupancy: 8
; WaveLimiterHint : 1
; COMPUTE_PGM_RSRC2:SCRATCH_EN: 0
; COMPUTE_PGM_RSRC2:USER_SGPR: 6
; COMPUTE_PGM_RSRC2:TRAP_HANDLER: 0
; COMPUTE_PGM_RSRC2:TGID_X_EN: 1
; COMPUTE_PGM_RSRC2:TGID_Y_EN: 0
; COMPUTE_PGM_RSRC2:TGID_Z_EN: 0
; COMPUTE_PGM_RSRC2:TIDIG_COMP_CNT: 0
; COMPUTE_PGM_RSRC3_GFX90A:ACCUM_OFFSET: 4
; COMPUTE_PGM_RSRC3_GFX90A:TG_SPLIT: 0
	.section	.text._ZN9rocsparseL22csrmvn_adaptive_kernelIiiDF16_DF16_ffEEvbT_PKS1_PjPKT0_NS_24const_host_device_scalarIT4_EES3_S7_PKT1_PKT2_SA_PT3_21rocsparse_index_base_b,"axG",@progbits,_ZN9rocsparseL22csrmvn_adaptive_kernelIiiDF16_DF16_ffEEvbT_PKS1_PjPKT0_NS_24const_host_device_scalarIT4_EES3_S7_PKT1_PKT2_SA_PT3_21rocsparse_index_base_b,comdat
	.globl	_ZN9rocsparseL22csrmvn_adaptive_kernelIiiDF16_DF16_ffEEvbT_PKS1_PjPKT0_NS_24const_host_device_scalarIT4_EES3_S7_PKT1_PKT2_SA_PT3_21rocsparse_index_base_b ; -- Begin function _ZN9rocsparseL22csrmvn_adaptive_kernelIiiDF16_DF16_ffEEvbT_PKS1_PjPKT0_NS_24const_host_device_scalarIT4_EES3_S7_PKT1_PKT2_SA_PT3_21rocsparse_index_base_b
	.p2align	8
	.type	_ZN9rocsparseL22csrmvn_adaptive_kernelIiiDF16_DF16_ffEEvbT_PKS1_PjPKT0_NS_24const_host_device_scalarIT4_EES3_S7_PKT1_PKT2_SA_PT3_21rocsparse_index_base_b,@function
_ZN9rocsparseL22csrmvn_adaptive_kernelIiiDF16_DF16_ffEEvbT_PKS1_PjPKT0_NS_24const_host_device_scalarIT4_EES3_S7_PKT1_PKT2_SA_PT3_21rocsparse_index_base_b: ; @_ZN9rocsparseL22csrmvn_adaptive_kernelIiiDF16_DF16_ffEEvbT_PKS1_PjPKT0_NS_24const_host_device_scalarIT4_EES3_S7_PKT1_PKT2_SA_PT3_21rocsparse_index_base_b
; %bb.0:
	s_load_dwordx2 s[44:45], s[4:5], 0x58
	s_load_dwordx2 s[42:43], s[4:5], 0x20
	;; [unrolled: 1-line block ×3, first 2 shown]
	s_waitcnt lgkmcnt(0)
	s_bitcmp1_b32 s45, 0
	s_cselect_b64 s[2:3], -1, 0
	s_xor_b64 s[0:1], s[2:3], -1
	s_and_b64 vcc, exec, s[2:3]
	s_cbranch_vccnz .LBB64_2
; %bb.1:
	s_load_dword s42, s[42:43], 0x0
.LBB64_2:
	s_andn2_b64 vcc, exec, s[0:1]
	s_cbranch_vccnz .LBB64_4
; %bb.3:
	s_load_dword s34, s[34:35], 0x0
.LBB64_4:
	s_waitcnt lgkmcnt(0)
	v_cmp_neq_f32_e64 s[0:1], s42, 0
	v_cmp_neq_f32_e64 s[2:3], s34, 1.0
	s_or_b64 s[0:1], s[0:1], s[2:3]
	s_andn2_b64 vcc, exec, s[0:1]
	s_cbranch_vccnz .LBB64_127
; %bb.5:
	s_load_dwordx2 s[0:1], s[4:5], 0x8
	s_load_dwordx2 s[8:9], s[4:5], 0x18
	s_ashr_i32 s7, s6, 31
	s_lshl_b64 s[48:49], s[6:7], 2
	s_waitcnt lgkmcnt(0)
	s_add_u32 s0, s0, s48
	s_addc_u32 s1, s1, s49
	s_load_dwordx2 s[38:39], s[0:1], 0x0
	s_load_dwordx2 s[36:37], s[4:5], 0x50
	s_load_dwordx8 s[24:31], s[4:5], 0x28
	s_waitcnt lgkmcnt(0)
	s_sub_i32 s2, s39, s38
	s_add_u32 s8, s8, s48
	s_mov_b32 s0, s38
	s_addc_u32 s9, s9, s49
	s_ashr_i32 s1, s38, 31
	s_lshl_b64 s[46:47], s[0:1], 2
	s_add_u32 s40, s24, s46
	s_addc_u32 s41, s25, s47
	s_load_dword s33, s[8:9], 0x0
	s_load_dword s35, s[40:41], 0x0
	s_cmp_lt_i32 s2, 2
	s_mov_b64 s[0:1], -1
	s_cbranch_scc0 .LBB64_72
; %bb.6:
	s_cmp_lg_u32 s2, 1
	s_cselect_b64 s[0:1], -1, 0
	s_waitcnt lgkmcnt(0)
	s_cmp_lg_u32 s33, 0
	s_cselect_b64 s[2:3], -1, 0
	s_or_b64 s[2:3], s[0:1], s[2:3]
	s_mov_b64 s[0:1], -1
	s_and_b64 vcc, exec, s[2:3]
	s_cbranch_vccnz .LBB64_35
; %bb.7:
	s_cmp_le_i32 s39, s38
	s_cbranch_scc1 .LBB64_34
; %bb.8:
	v_cmp_neq_f32_e64 s[20:21], s34, 0
	s_movk_i32 s0, 0x80
	s_add_u32 s7, s24, 4
	v_cndmask_b32_e64 v2, 0, 1, s[20:21]
	v_subrev_u32_e32 v1, s44, v0
	v_lshlrev_b32_e32 v8, 2, v0
	v_cmp_gt_u32_e64 s[0:1], s0, v0
	v_cmp_gt_u32_e64 s[2:3], 64, v0
	;; [unrolled: 1-line block ×7, first 2 shown]
	v_cmp_eq_u32_e64 s[18:19], 0, v0
	s_addc_u32 s43, s25, 0
	v_mov_b32_e32 v9, s31
	v_mov_b32_e32 v10, 0
	v_cmp_ne_u32_e64 s[20:21], 1, v2
	s_mov_b32 s45, s35
	s_mov_b32 s50, s38
	s_branch .LBB64_11
.LBB64_9:                               ;   in Loop: Header=BB64_11 Depth=1
	s_add_u32 s52, s36, s52
	s_addc_u32 s53, s37, s53
	s_waitcnt lgkmcnt(0)
	global_store_dword v10, v2, s[52:53]
.LBB64_10:                              ;   in Loop: Header=BB64_11 Depth=1
	s_or_b64 exec, exec, s[22:23]
	s_add_i32 s50, s50, 1
	s_cmp_ge_i32 s50, s39
	s_cbranch_scc1 .LBB64_34
.LBB64_11:                              ; =>This Loop Header: Depth=1
                                        ;     Child Loop BB64_13 Depth 2
	s_ashr_i32 s51, s50, 31
	s_lshl_b64 s[52:53], s[50:51], 2
	s_add_u32 s22, s7, s52
	s_addc_u32 s23, s43, s53
	s_mov_b32 s54, s45
	s_load_dword s45, s[22:23], 0x0
	v_add_u32_e32 v2, s54, v1
	v_mov_b32_e32 v3, 0
	s_waitcnt lgkmcnt(0)
	s_sub_i32 s51, s45, s44
	v_cmp_gt_i32_e32 vcc, s51, v2
	s_and_saveexec_b64 s[54:55], vcc
	s_cbranch_execz .LBB64_15
; %bb.12:                               ;   in Loop: Header=BB64_11 Depth=1
	v_ashrrev_i32_e32 v3, 31, v2
	v_lshlrev_b64 v[4:5], 1, v[2:3]
	v_mov_b32_e32 v6, s29
	v_add_co_u32_e32 v4, vcc, s28, v4
	v_addc_co_u32_e32 v5, vcc, v6, v5, vcc
	v_lshlrev_b64 v[6:7], 2, v[2:3]
	v_mov_b32_e32 v3, s27
	v_add_co_u32_e32 v6, vcc, s26, v6
	v_addc_co_u32_e32 v7, vcc, v3, v7, vcc
	s_mov_b64 s[56:57], 0
	v_mov_b32_e32 v3, 0
.LBB64_13:                              ;   Parent Loop BB64_11 Depth=1
                                        ; =>  This Inner Loop Header: Depth=2
	global_load_dword v11, v[6:7], off
	global_load_ushort v14, v[4:5], off
	v_add_u32_e32 v2, 0x100, v2
	v_cmp_le_i32_e64 s[22:23], s51, v2
	s_or_b64 s[56:57], s[22:23], s[56:57]
	s_waitcnt vmcnt(1)
	v_subrev_u32_e32 v12, s44, v11
	v_ashrrev_i32_e32 v13, 31, v12
	v_lshlrev_b64 v[12:13], 1, v[12:13]
	v_add_co_u32_e32 v12, vcc, s30, v12
	v_addc_co_u32_e32 v13, vcc, v9, v13, vcc
	global_load_ushort v11, v[12:13], off
	s_waitcnt vmcnt(1)
	v_cvt_f32_f16_e32 v12, v14
	v_add_co_u32_e32 v4, vcc, 0x200, v4
	v_addc_co_u32_e32 v5, vcc, 0, v5, vcc
	v_add_co_u32_e32 v6, vcc, 0x400, v6
	v_mul_f32_e32 v12, s42, v12
	v_addc_co_u32_e32 v7, vcc, 0, v7, vcc
	s_waitcnt vmcnt(0)
	v_fma_mix_f32 v3, v12, v11, v3 op_sel_hi:[0,1,0]
	s_andn2_b64 exec, exec, s[56:57]
	s_cbranch_execnz .LBB64_13
; %bb.14:                               ;   in Loop: Header=BB64_11 Depth=1
	s_or_b64 exec, exec, s[56:57]
.LBB64_15:                              ;   in Loop: Header=BB64_11 Depth=1
	s_or_b64 exec, exec, s[54:55]
	ds_write_b32 v8, v3
	s_waitcnt lgkmcnt(0)
	s_barrier
	s_and_saveexec_b64 s[22:23], s[0:1]
	s_cbranch_execz .LBB64_17
; %bb.16:                               ;   in Loop: Header=BB64_11 Depth=1
	ds_read2st64_b32 v[2:3], v8 offset1:2
	s_waitcnt lgkmcnt(0)
	v_add_f32_e32 v2, v2, v3
	ds_write_b32 v8, v2
.LBB64_17:                              ;   in Loop: Header=BB64_11 Depth=1
	s_or_b64 exec, exec, s[22:23]
	s_waitcnt lgkmcnt(0)
	s_barrier
	s_and_saveexec_b64 s[22:23], s[2:3]
	s_cbranch_execz .LBB64_19
; %bb.18:                               ;   in Loop: Header=BB64_11 Depth=1
	ds_read2st64_b32 v[2:3], v8 offset1:1
	s_waitcnt lgkmcnt(0)
	v_add_f32_e32 v2, v2, v3
	ds_write_b32 v8, v2
.LBB64_19:                              ;   in Loop: Header=BB64_11 Depth=1
	s_or_b64 exec, exec, s[22:23]
	s_waitcnt lgkmcnt(0)
	s_barrier
	s_and_saveexec_b64 s[22:23], s[8:9]
	s_cbranch_execz .LBB64_21
; %bb.20:                               ;   in Loop: Header=BB64_11 Depth=1
	ds_read2_b32 v[2:3], v8 offset1:32
	s_waitcnt lgkmcnt(0)
	v_add_f32_e32 v2, v2, v3
	ds_write_b32 v8, v2
.LBB64_21:                              ;   in Loop: Header=BB64_11 Depth=1
	s_or_b64 exec, exec, s[22:23]
	s_waitcnt lgkmcnt(0)
	s_barrier
	s_and_saveexec_b64 s[22:23], s[10:11]
	s_cbranch_execz .LBB64_23
; %bb.22:                               ;   in Loop: Header=BB64_11 Depth=1
	ds_read2_b32 v[2:3], v8 offset1:16
	s_waitcnt lgkmcnt(0)
	v_add_f32_e32 v2, v2, v3
	ds_write_b32 v8, v2
.LBB64_23:                              ;   in Loop: Header=BB64_11 Depth=1
	;; [unrolled: 11-line block ×5, first 2 shown]
	s_or_b64 exec, exec, s[22:23]
	s_waitcnt lgkmcnt(0)
	s_barrier
	s_and_saveexec_b64 s[22:23], s[18:19]
	s_cbranch_execz .LBB64_31
; %bb.30:                               ;   in Loop: Header=BB64_11 Depth=1
	ds_read_b64 v[2:3], v10
	s_waitcnt lgkmcnt(0)
	v_add_f32_e32 v2, v2, v3
	ds_write_b32 v10, v2
.LBB64_31:                              ;   in Loop: Header=BB64_11 Depth=1
	s_or_b64 exec, exec, s[22:23]
	s_waitcnt lgkmcnt(0)
	s_barrier
	s_and_saveexec_b64 s[22:23], s[18:19]
	s_cbranch_execz .LBB64_10
; %bb.32:                               ;   in Loop: Header=BB64_11 Depth=1
	ds_read_b32 v2, v10
	s_and_b64 vcc, exec, s[20:21]
	s_cbranch_vccnz .LBB64_9
; %bb.33:                               ;   in Loop: Header=BB64_11 Depth=1
	s_add_u32 s54, s36, s52
	s_addc_u32 s55, s37, s53
	global_load_dword v3, v10, s[54:55]
	s_waitcnt vmcnt(0) lgkmcnt(0)
	v_fmac_f32_e32 v2, s34, v3
	s_branch .LBB64_9
.LBB64_34:
	s_mov_b64 s[0:1], 0
.LBB64_35:
	s_andn2_b64 vcc, exec, s[0:1]
	s_cbranch_vccnz .LBB64_71
; %bb.36:
	s_load_dwordx2 s[8:9], s[4:5], 0x10
	s_sub_i32 s6, s6, s33
	v_or_b32_e32 v1, s33, v0
	v_cmp_eq_u32_e32 vcc, 0, v1
	v_mov_b32_e32 v1, 0
	s_waitcnt lgkmcnt(0)
	s_add_u32 s2, s8, s48
	s_addc_u32 s3, s9, s49
	s_load_dword s14, s[2:3], 0x0
	s_and_saveexec_b64 s[0:1], vcc
	s_cbranch_execz .LBB64_40
; %bb.37:
	s_add_u32 s12, s36, s46
	s_addc_u32 s13, s37, s47
	s_load_dword s15, s[12:13], 0x0
	s_mov_b64 s[10:11], exec
	v_mbcnt_lo_u32_b32 v2, s10, 0
	v_mbcnt_hi_u32_b32 v2, s11, v2
	v_add_f32_e64 v1, s34, -1.0
	v_cmp_eq_u32_e32 vcc, 0, v2
	s_waitcnt vmcnt(0) expcnt(0) lgkmcnt(0)
	s_and_saveexec_b64 s[12:13], vcc
	s_cbranch_execz .LBB64_39
; %bb.38:
	s_ashr_i32 s7, s6, 31
	s_lshl_b64 s[16:17], s[6:7], 2
	s_add_u32 s16, s8, s16
	s_addc_u32 s17, s9, s17
	s_bcnt1_i32_b64 s7, s[10:11]
	s_and_b32 s7, s7, 1
	v_mov_b32_e32 v2, 0
	v_mov_b32_e32 v3, s7
	global_atomic_xor v2, v3, s[16:17]
.LBB64_39:
	s_or_b64 exec, exec, s[12:13]
	v_mul_f32_e32 v1, s15, v1
.LBB64_40:
	s_or_b64 exec, exec, s[0:1]
	s_load_dword s1, s[40:41], 0x4
	s_mul_i32 s0, s33, 0xc00
	s_sub_i32 s7, s35, s44
	s_add_i32 s0, s7, s0
	v_add_u32_e32 v2, s0, v0
	s_waitcnt lgkmcnt(0)
	s_sub_i32 s1, s1, s44
	v_cmp_gt_i32_e32 vcc, s1, v2
	s_and_saveexec_b64 s[10:11], vcc
	s_cbranch_execz .LBB64_44
; %bb.41:
	v_ashrrev_i32_e32 v3, 31, v2
	v_lshlrev_b64 v[4:5], 1, v[2:3]
	v_mov_b32_e32 v6, s29
	v_add_co_u32_e32 v4, vcc, s28, v4
	v_addc_co_u32_e32 v5, vcc, v6, v5, vcc
	v_lshlrev_b64 v[6:7], 2, v[2:3]
	s_addk_i32 s0, 0xc00
	v_mov_b32_e32 v3, s27
	v_add_co_u32_e32 v6, vcc, s26, v6
	s_min_i32 s7, s0, s1
	v_addc_co_u32_e32 v7, vcc, v3, v7, vcc
	s_mov_b64 s[12:13], 0
	v_mov_b32_e32 v3, s31
.LBB64_42:                              ; =>This Inner Loop Header: Depth=1
	global_load_dword v8, v[6:7], off
	global_load_ushort v10, v[4:5], off
	v_add_u32_e32 v2, 0x100, v2
	v_cmp_le_i32_e64 s[0:1], s7, v2
	s_or_b64 s[12:13], s[0:1], s[12:13]
	s_waitcnt vmcnt(1)
	v_subrev_u32_e32 v8, s44, v8
	v_ashrrev_i32_e32 v9, 31, v8
	v_lshlrev_b64 v[8:9], 1, v[8:9]
	v_add_co_u32_e32 v8, vcc, s30, v8
	v_addc_co_u32_e32 v9, vcc, v3, v9, vcc
	global_load_ushort v8, v[8:9], off
	s_waitcnt vmcnt(1)
	v_cvt_f32_f16_e32 v9, v10
	v_add_co_u32_e32 v4, vcc, 0x200, v4
	v_addc_co_u32_e32 v5, vcc, 0, v5, vcc
	v_add_co_u32_e32 v6, vcc, 0x400, v6
	v_mul_f32_e32 v9, s42, v9
	v_addc_co_u32_e32 v7, vcc, 0, v7, vcc
	s_waitcnt vmcnt(0)
	v_fma_mix_f32 v1, v9, v8, v1 op_sel_hi:[0,1,0]
	s_andn2_b64 exec, exec, s[12:13]
	s_cbranch_execnz .LBB64_42
; %bb.43:
	s_or_b64 exec, exec, s[12:13]
.LBB64_44:
	s_or_b64 exec, exec, s[10:11]
	s_movk_i32 s0, 0x80
	v_lshlrev_b32_e32 v2, 2, v0
	v_cmp_gt_u32_e32 vcc, s0, v0
	ds_write_b32 v2, v1
	s_waitcnt lgkmcnt(0)
	s_barrier
	s_and_saveexec_b64 s[0:1], vcc
	s_cbranch_execz .LBB64_46
; %bb.45:
	ds_read2st64_b32 v[4:5], v2 offset1:2
	s_waitcnt lgkmcnt(0)
	v_add_f32_e32 v1, v4, v5
	ds_write_b32 v2, v1
.LBB64_46:
	s_or_b64 exec, exec, s[0:1]
	v_cmp_gt_u32_e32 vcc, 64, v0
	s_waitcnt lgkmcnt(0)
	s_barrier
	s_and_saveexec_b64 s[0:1], vcc
	s_cbranch_execz .LBB64_48
; %bb.47:
	ds_read2st64_b32 v[4:5], v2 offset1:1
	s_waitcnt lgkmcnt(0)
	v_add_f32_e32 v1, v4, v5
	ds_write_b32 v2, v1
.LBB64_48:
	s_or_b64 exec, exec, s[0:1]
	v_cmp_gt_u32_e32 vcc, 32, v0
	s_waitcnt lgkmcnt(0)
	s_barrier
	s_and_saveexec_b64 s[0:1], vcc
	s_cbranch_execz .LBB64_50
; %bb.49:
	ds_read2_b32 v[4:5], v2 offset1:32
	s_waitcnt lgkmcnt(0)
	v_add_f32_e32 v1, v4, v5
	ds_write_b32 v2, v1
.LBB64_50:
	s_or_b64 exec, exec, s[0:1]
	v_cmp_gt_u32_e32 vcc, 16, v0
	s_waitcnt lgkmcnt(0)
	s_barrier
	s_and_saveexec_b64 s[0:1], vcc
	s_cbranch_execz .LBB64_52
; %bb.51:
	ds_read2_b32 v[4:5], v2 offset1:16
	s_waitcnt lgkmcnt(0)
	v_add_f32_e32 v1, v4, v5
	ds_write_b32 v2, v1
.LBB64_52:
	;; [unrolled: 12-line block ×5, first 2 shown]
	s_or_b64 exec, exec, s[0:1]
	v_cmp_eq_u32_e32 vcc, 0, v0
	s_waitcnt lgkmcnt(0)
	s_barrier
	s_and_saveexec_b64 s[0:1], vcc
	s_cbranch_execz .LBB64_60
; %bb.59:
	v_mov_b32_e32 v1, 0
	ds_read_b64 v[2:3], v1
	s_waitcnt lgkmcnt(0)
	v_add_f32_e32 v2, v2, v3
	ds_write_b32 v1, v2
.LBB64_60:
	s_or_b64 exec, exec, s[0:1]
	s_waitcnt lgkmcnt(0)
	s_barrier
	s_and_saveexec_b64 s[0:1], vcc
	s_cbranch_execz .LBB64_70
; %bb.61:
	s_cmp_eq_u32 s33, 0
	s_cbranch_scc1 .LBB64_67
; %bb.62:
	s_ashr_i32 s7, s6, 31
	s_lshl_b64 s[6:7], s[6:7], 2
	s_add_u32 s6, s8, s6
	s_addc_u32 s7, s9, s7
	v_mov_b32_e32 v1, 0
	s_branch .LBB64_64
.LBB64_63:                              ;   in Loop: Header=BB64_64 Depth=1
	s_or_b64 exec, exec, s[8:9]
	s_waitcnt vmcnt(0)
	v_readfirstlane_b32 s8, v2
	s_cmp_eq_u32 s8, s14
	s_cbranch_scc0 .LBB64_66
.LBB64_64:                              ; =>This Inner Loop Header: Depth=1
	v_mbcnt_lo_u32_b32 v2, exec_lo, 0
	v_mbcnt_hi_u32_b32 v2, exec_hi, v2
	v_cmp_eq_u32_e32 vcc, 0, v2
                                        ; implicit-def: $vgpr2
	s_and_saveexec_b64 s[8:9], vcc
	s_cbranch_execz .LBB64_63
; %bb.65:                               ;   in Loop: Header=BB64_64 Depth=1
	global_load_dword v2, v1, s[6:7] glc
	s_branch .LBB64_63
.LBB64_66:
	v_mov_b32_e32 v1, 0
	global_load_dword v2, v1, s[2:3]
	s_waitcnt vmcnt(0)
	v_xor_b32_e32 v2, 1, v2
	global_store_dword v1, v2, s[2:3]
.LBB64_67:
	s_mov_b64 s[6:7], exec
	v_mbcnt_lo_u32_b32 v1, s6, 0
	v_mbcnt_hi_u32_b32 v1, s7, v1
	v_cmp_eq_u32_e32 vcc, 0, v1
	s_and_b64 s[2:3], exec, vcc
	s_mov_b64 exec, s[2:3]
	s_cbranch_execz .LBB64_70
; %bb.68:
	s_add_u32 s2, s36, s46
	s_addc_u32 s3, s37, s47
	v_mov_b32_e32 v1, 0
	global_load_dword v3, v1, s[2:3]
	ds_read_b32 v2, v1
	s_bcnt1_i32_b64 s6, s[6:7]
	v_cvt_f32_ubyte0_e32 v4, s6
	s_mov_b64 s[6:7], 0
	s_waitcnt lgkmcnt(0)
	v_mul_f32_e32 v4, v2, v4
.LBB64_69:                              ; =>This Inner Loop Header: Depth=1
	s_waitcnt vmcnt(0)
	v_add_f32_e32 v2, v3, v4
	global_atomic_cmpswap v2, v1, v[2:3], s[2:3] glc
	s_waitcnt vmcnt(0)
	v_cmp_eq_u32_e32 vcc, v2, v3
	s_or_b64 s[6:7], vcc, s[6:7]
	v_mov_b32_e32 v3, v2
	s_andn2_b64 exec, exec, s[6:7]
	s_cbranch_execnz .LBB64_69
.LBB64_70:
	s_or_b64 exec, exec, s[0:1]
.LBB64_71:
	s_mov_b64 s[0:1], 0
.LBB64_72:
	s_andn2_b64 vcc, exec, s[0:1]
	s_cbranch_vccnz .LBB64_127
; %bb.73:
	s_load_dword s0, s[4:5], 0x4
	v_subrev_u32_e32 v1, s44, v0
	s_waitcnt lgkmcnt(0)
	v_add_u32_e32 v2, s35, v1
	v_add_u32_e32 v1, 0x300, v2
	v_cmp_le_i32_e32 vcc, s0, v1
	s_and_saveexec_b64 s[0:1], vcc
	s_xor_b64 s[0:1], exec, s[0:1]
	s_cbranch_execz .LBB64_89
; %bb.74:
	s_ashr_i32 s3, s39, 31
	s_mov_b32 s2, s39
	s_lshl_b64 s[2:3], s[2:3], 2
	s_add_u32 s2, s24, s2
	s_addc_u32 s3, s25, s3
	s_load_dword s2, s[2:3], 0x0
	s_waitcnt lgkmcnt(0)
	s_sub_i32 s14, s2, s44
	v_cmp_gt_i32_e32 vcc, s14, v2
	s_and_saveexec_b64 s[2:3], vcc
	s_cbranch_execz .LBB64_88
; %bb.75:
	v_add_u32_e32 v1, s35, v0
	v_subrev_u32_e32 v1, s44, v1
	v_add_u32_e32 v1, 0x100, v1
	v_max_i32_e32 v1, s14, v1
	v_not_b32_e32 v3, v0
	v_add3_u32 v1, v1, s44, v3
	v_subrev_u32_e32 v3, s35, v1
	s_movk_i32 s4, 0xf00
	s_movk_i32 s6, 0xeff
	v_cmp_gt_u32_e64 s[4:5], s4, v3
	v_cmp_lt_u32_e32 vcc, s6, v3
	v_mov_b32_e32 v1, 0
	s_and_saveexec_b64 s[6:7], vcc
	s_cbranch_execz .LBB64_85
; %bb.76:
	v_and_b32_e32 v1, 0xffffff00, v3
	v_add_u32_e32 v1, v2, v1
	v_cmp_ge_i32_e32 vcc, v1, v2
	s_mov_b64 s[10:11], -1
	v_mov_b32_e32 v1, 0
	s_and_saveexec_b64 s[8:9], vcc
	s_cbranch_execz .LBB64_84
; %bb.77:
	v_lshrrev_b32_e32 v1, 8, v3
	v_add_u32_e32 v3, -1, v1
	s_mov_b32 s43, s42
	s_mov_b32 s15, s44
	v_cmp_lt_u32_e32 vcc, 1, v3
	v_mov_b32_e32 v8, 0x100
	v_mov_b32_e32 v9, 0
	s_and_saveexec_b64 s[10:11], vcc
	s_cbranch_execz .LBB64_81
; %bb.78:
	v_lshrrev_b32_e32 v4, 1, v3
	v_add_u32_e32 v4, 1, v4
	v_and_b32_e32 v4, -2, v4
	s_movk_i32 s16, 0x100
	s_mov_b32 s17, 0
	s_mov_b64 s[12:13], 0
	v_mov_b32_e32 v5, s29
	v_mov_b32_e32 v6, s27
	;; [unrolled: 1-line block ×3, first 2 shown]
.LBB64_79:                              ; =>This Inner Loop Header: Depth=1
	v_add_u32_e32 v8, s17, v2
	v_ashrrev_i32_e32 v9, 31, v8
	v_add_u32_e32 v10, s16, v2
	v_lshlrev_b64 v[16:17], 2, v[8:9]
	s_add_i32 s19, s17, 0x200
	v_ashrrev_i32_e32 v11, 31, v10
	v_add_co_u32_e32 v16, vcc, s26, v16
	v_add_u32_e32 v12, s19, v2
	v_lshlrev_b64 v[18:19], 2, v[10:11]
	v_addc_co_u32_e32 v17, vcc, v6, v17, vcc
	s_add_i32 s18, s16, 0x200
	v_ashrrev_i32_e32 v13, 31, v12
	v_add_co_u32_e32 v18, vcc, s26, v18
	v_add_u32_e32 v14, s18, v2
	v_addc_co_u32_e32 v19, vcc, v6, v19, vcc
	v_lshlrev_b64 v[20:21], 2, v[12:13]
	global_load_dword v24, v[16:17], off
	global_load_dword v25, v[18:19], off
	v_ashrrev_i32_e32 v15, 31, v14
	v_add_co_u32_e32 v16, vcc, s26, v20
	v_lshlrev_b64 v[22:23], 2, v[14:15]
	v_addc_co_u32_e32 v17, vcc, v6, v21, vcc
	v_add_co_u32_e32 v18, vcc, s26, v22
	v_addc_co_u32_e32 v19, vcc, v6, v23, vcc
	global_load_dword v20, v[16:17], off
	global_load_dword v21, v[18:19], off
	v_lshlrev_b64 v[8:9], 1, v[8:9]
	v_add_co_u32_e32 v8, vcc, s28, v8
	v_lshlrev_b64 v[10:11], 1, v[10:11]
	v_addc_co_u32_e32 v9, vcc, v5, v9, vcc
	v_add_co_u32_e32 v10, vcc, s28, v10
	v_addc_co_u32_e32 v11, vcc, v5, v11, vcc
	v_lshlrev_b64 v[12:13], 1, v[12:13]
	global_load_ushort v16, v[8:9], off
	global_load_ushort v17, v[10:11], off
	v_add_co_u32_e32 v8, vcc, s28, v12
	v_lshlrev_b64 v[14:15], 1, v[14:15]
	v_addc_co_u32_e32 v9, vcc, v5, v13, vcc
	v_add_co_u32_e32 v10, vcc, s28, v14
	v_addc_co_u32_e32 v11, vcc, v5, v15, vcc
	global_load_ushort v18, v[8:9], off
	global_load_ushort v19, v[10:11], off
	v_add_u32_e32 v4, -2, v4
	v_add_lshl_u32 v26, s19, v0, 2
	v_add_lshl_u32 v27, s18, v0, 2
	s_waitcnt vmcnt(7)
	v_subrev_u32_e32 v8, s44, v24
	v_ashrrev_i32_e32 v9, 31, v8
	s_waitcnt vmcnt(6)
	v_subrev_u32_e32 v10, s15, v25
	v_lshlrev_b64 v[8:9], 1, v[8:9]
	v_ashrrev_i32_e32 v11, 31, v10
	v_add_co_u32_e32 v8, vcc, s30, v8
	v_lshlrev_b64 v[10:11], 1, v[10:11]
	v_addc_co_u32_e32 v9, vcc, v7, v9, vcc
	v_add_co_u32_e32 v10, vcc, s30, v10
	s_waitcnt vmcnt(5)
	v_subrev_u32_e32 v12, s44, v20
	v_ashrrev_i32_e32 v13, 31, v12
	s_waitcnt vmcnt(4)
	v_subrev_u32_e32 v14, s15, v21
	v_addc_co_u32_e32 v11, vcc, v7, v11, vcc
	v_lshlrev_b64 v[12:13], 1, v[12:13]
	v_ashrrev_i32_e32 v15, 31, v14
	global_load_ushort v20, v[8:9], off
	global_load_ushort v21, v[10:11], off
	v_add_co_u32_e32 v8, vcc, s30, v12
	v_lshlrev_b64 v[14:15], 1, v[14:15]
	v_addc_co_u32_e32 v9, vcc, v7, v13, vcc
	v_add_co_u32_e32 v10, vcc, s30, v14
	v_addc_co_u32_e32 v11, vcc, v7, v15, vcc
	global_load_ushort v22, v[10:11], off
	global_load_ushort v23, v[8:9], off
	s_waitcnt vmcnt(6)
	v_cvt_f32_f16_e32 v11, v17
	v_cvt_f32_f16_e32 v10, v16
	v_add_lshl_u32 v24, s17, v0, 2
	s_waitcnt vmcnt(5)
	v_cvt_f32_f16_e32 v12, v18
	s_waitcnt vmcnt(4)
	v_cvt_f32_f16_e32 v13, v19
	v_pk_mul_f32 v[10:11], s[42:43], v[10:11]
	v_add_lshl_u32 v25, s16, v0, 2
	s_addk_i32 s17, 0x400
	s_addk_i32 s16, 0x400
	v_cmp_eq_u32_e32 vcc, 0, v4
	v_pk_mul_f32 v[12:13], s[42:43], v[12:13]
	v_mov_b32_e32 v9, s17
	v_mov_b32_e32 v8, s16
	s_or_b64 s[12:13], vcc, s[12:13]
	s_waitcnt vmcnt(3)
	v_cvt_f32_f16_e32 v14, v20
	s_waitcnt vmcnt(2)
	v_cvt_f32_f16_e32 v15, v21
	v_pk_mul_f32 v[10:11], v[10:11], v[14:15]
	ds_write_b32 v24, v10
	ds_write_b32 v25, v11
	s_waitcnt vmcnt(1)
	v_cvt_f32_f16_e32 v17, v22
	s_waitcnt vmcnt(0)
	v_cvt_f32_f16_e32 v16, v23
	v_pk_mul_f32 v[10:11], v[12:13], v[16:17]
	ds_write_b32 v26, v10
	ds_write_b32 v27, v11
	s_andn2_b64 exec, exec, s[12:13]
	s_cbranch_execnz .LBB64_79
; %bb.80:
	s_or_b64 exec, exec, s[12:13]
.LBB64_81:
	s_or_b64 exec, exec, s[10:11]
	v_and_b32_e32 v3, 2, v3
	v_cmp_eq_u32_e32 vcc, 0, v3
	s_and_saveexec_b64 s[10:11], vcc
	s_cbranch_execz .LBB64_83
; %bb.82:
	v_add_u32_e32 v4, v9, v2
	v_ashrrev_i32_e32 v5, 31, v4
	v_add_u32_e32 v2, v8, v2
	v_lshlrev_b64 v[6:7], 2, v[4:5]
	v_ashrrev_i32_e32 v3, 31, v2
	v_mov_b32_e32 v12, s27
	v_add_co_u32_e32 v6, vcc, s26, v6
	v_addc_co_u32_e32 v7, vcc, v12, v7, vcc
	v_lshlrev_b64 v[10:11], 2, v[2:3]
	v_add_co_u32_e32 v10, vcc, s26, v10
	v_addc_co_u32_e32 v11, vcc, v12, v11, vcc
	global_load_dword v12, v[6:7], off
	global_load_dword v13, v[10:11], off
	v_lshlrev_b64 v[4:5], 1, v[4:5]
	v_mov_b32_e32 v6, s29
	v_add_co_u32_e32 v4, vcc, s28, v4
	v_lshlrev_b64 v[2:3], 1, v[2:3]
	v_addc_co_u32_e32 v5, vcc, v6, v5, vcc
	v_add_co_u32_e32 v2, vcc, s28, v2
	v_addc_co_u32_e32 v3, vcc, v6, v3, vcc
	global_load_ushort v6, v[4:5], off
	global_load_ushort v10, v[2:3], off
	v_mov_b32_e32 v7, s31
	s_waitcnt vmcnt(3)
	v_subrev_u32_e32 v2, s44, v12
	v_ashrrev_i32_e32 v3, 31, v2
	s_waitcnt vmcnt(2)
	v_subrev_u32_e32 v4, s15, v13
	v_lshlrev_b64 v[2:3], 1, v[2:3]
	v_ashrrev_i32_e32 v5, 31, v4
	v_add_co_u32_e32 v2, vcc, s30, v2
	v_lshlrev_b64 v[4:5], 1, v[4:5]
	v_addc_co_u32_e32 v3, vcc, v7, v3, vcc
	v_add_co_u32_e32 v4, vcc, s30, v4
	v_addc_co_u32_e32 v5, vcc, v7, v5, vcc
	global_load_ushort v7, v[4:5], off
	global_load_ushort v11, v[2:3], off
	s_waitcnt vmcnt(2)
	v_cvt_f32_f16_e32 v3, v10
	v_cvt_f32_f16_e32 v2, v6
	v_add_lshl_u32 v6, v9, v0, 2
	v_pk_mul_f32 v[2:3], s[42:43], v[2:3]
	s_waitcnt vmcnt(1)
	v_cvt_f32_f16_e32 v5, v7
	s_waitcnt vmcnt(0)
	v_cvt_f32_f16_e32 v4, v11
	v_add_lshl_u32 v7, v8, v0, 2
	v_pk_mul_f32 v[2:3], v[2:3], v[4:5]
	ds_write_b32 v6, v2
	ds_write_b32 v7, v3
.LBB64_83:
	s_or_b64 exec, exec, s[10:11]
	v_add_u32_e32 v2, 1, v1
	v_and_b32_e32 v3, 0x1fffffe, v2
	v_cmp_ne_u32_e32 vcc, v2, v3
	v_lshlrev_b32_e32 v1, 8, v3
	s_orn2_b64 s[10:11], vcc, exec
.LBB64_84:
	s_or_b64 exec, exec, s[8:9]
	s_andn2_b64 s[4:5], s[4:5], exec
	s_and_b64 s[8:9], s[10:11], exec
	s_or_b64 s[4:5], s[4:5], s[8:9]
.LBB64_85:
	s_or_b64 exec, exec, s[6:7]
	s_and_b64 exec, exec, s[4:5]
	s_cbranch_execz .LBB64_88
; %bb.86:
	v_add_u32_e32 v1, v0, v1
	v_add_u32_e32 v2, s35, v1
	v_subrev_u32_e32 v2, s44, v2
	v_lshlrev_b32_e32 v1, 2, v1
	s_mov_b64 s[4:5], 0
	v_mov_b32_e32 v4, s29
	v_mov_b32_e32 v5, s27
	;; [unrolled: 1-line block ×3, first 2 shown]
.LBB64_87:                              ; =>This Inner Loop Header: Depth=1
	v_ashrrev_i32_e32 v3, 31, v2
	v_lshlrev_b64 v[8:9], 2, v[2:3]
	v_add_co_u32_e32 v8, vcc, s26, v8
	v_addc_co_u32_e32 v9, vcc, v5, v9, vcc
	global_load_dword v7, v[8:9], off
	v_lshlrev_b64 v[8:9], 1, v[2:3]
	v_add_co_u32_e32 v8, vcc, s28, v8
	v_addc_co_u32_e32 v9, vcc, v4, v9, vcc
	global_load_ushort v3, v[8:9], off
	v_add_u32_e32 v2, 0x100, v2
	s_waitcnt vmcnt(1)
	v_subrev_u32_e32 v8, s44, v7
	v_ashrrev_i32_e32 v9, 31, v8
	v_lshlrev_b64 v[8:9], 1, v[8:9]
	v_add_co_u32_e32 v8, vcc, s30, v8
	v_addc_co_u32_e32 v9, vcc, v6, v9, vcc
	global_load_ushort v7, v[8:9], off
	s_waitcnt vmcnt(1)
	v_cvt_f32_f16_e32 v3, v3
	v_cmp_le_i32_e32 vcc, s14, v2
	s_or_b64 s[4:5], vcc, s[4:5]
	v_mul_f32_e32 v3, s42, v3
	s_waitcnt vmcnt(0)
	v_cvt_f32_f16_e32 v7, v7
	v_mul_f32_e32 v3, v3, v7
	ds_write_b32 v1, v3
	v_add_u32_e32 v1, 0x400, v1
	s_andn2_b64 exec, exec, s[4:5]
	s_cbranch_execnz .LBB64_87
.LBB64_88:
	s_or_b64 exec, exec, s[2:3]
                                        ; implicit-def: $vgpr2
.LBB64_89:
	s_or_saveexec_b64 s[0:1], s[0:1]
	v_lshlrev_b32_e32 v1, 2, v0
	s_xor_b64 exec, exec, s[0:1]
	s_cbranch_execz .LBB64_91
; %bb.90:
	v_ashrrev_i32_e32 v3, 31, v2
	v_lshlrev_b64 v[4:5], 2, v[2:3]
	v_mov_b32_e32 v6, s27
	v_add_co_u32_e32 v4, vcc, s26, v4
	v_addc_co_u32_e32 v5, vcc, v6, v5, vcc
	global_load_dword v6, v[4:5], off
	global_load_dword v7, v[4:5], off offset:1024
	global_load_dword v8, v[4:5], off offset:2048
	;; [unrolled: 1-line block ×3, first 2 shown]
	v_lshlrev_b64 v[2:3], 1, v[2:3]
	v_mov_b32_e32 v4, s29
	v_add_co_u32_e32 v2, vcc, s28, v2
	v_addc_co_u32_e32 v3, vcc, v4, v3, vcc
	global_load_ushort v11, v[2:3], off
	global_load_ushort v12, v[2:3], off offset:512
	global_load_ushort v13, v[2:3], off offset:1024
	global_load_ushort v14, v[2:3], off offset:1536
	v_mov_b32_e32 v10, s31
	s_waitcnt vmcnt(7)
	v_subrev_u32_e32 v2, s44, v6
	v_ashrrev_i32_e32 v3, 31, v2
	s_waitcnt vmcnt(6)
	v_subrev_u32_e32 v4, s44, v7
	v_lshlrev_b64 v[2:3], 1, v[2:3]
	v_ashrrev_i32_e32 v5, 31, v4
	v_add_co_u32_e32 v2, vcc, s30, v2
	s_waitcnt vmcnt(5)
	v_subrev_u32_e32 v6, s44, v8
	v_lshlrev_b64 v[4:5], 1, v[4:5]
	v_addc_co_u32_e32 v3, vcc, v10, v3, vcc
	v_ashrrev_i32_e32 v7, 31, v6
	v_add_co_u32_e32 v4, vcc, s30, v4
	s_waitcnt vmcnt(4)
	v_subrev_u32_e32 v8, s44, v9
	v_lshlrev_b64 v[6:7], 1, v[6:7]
	v_addc_co_u32_e32 v5, vcc, v10, v5, vcc
	v_ashrrev_i32_e32 v9, 31, v8
	v_add_co_u32_e32 v6, vcc, s30, v6
	v_lshlrev_b64 v[8:9], 1, v[8:9]
	v_addc_co_u32_e32 v7, vcc, v10, v7, vcc
	v_add_co_u32_e32 v8, vcc, s30, v8
	v_addc_co_u32_e32 v9, vcc, v10, v9, vcc
	global_load_ushort v10, v[2:3], off
	global_load_ushort v15, v[4:5], off
	;; [unrolled: 1-line block ×4, first 2 shown]
	s_waitcnt vmcnt(7)
	v_cvt_f32_f16_e32 v2, v11
	s_waitcnt vmcnt(6)
	v_cvt_f32_f16_e32 v3, v12
	;; [unrolled: 2-line block ×4, first 2 shown]
	v_mul_f32_e32 v2, s42, v2
	v_mul_f32_e32 v3, s42, v3
	;; [unrolled: 1-line block ×4, first 2 shown]
	s_waitcnt vmcnt(3)
	v_cvt_f32_f16_e32 v6, v10
	s_waitcnt vmcnt(2)
	v_cvt_f32_f16_e32 v7, v15
	;; [unrolled: 2-line block ×4, first 2 shown]
	v_mul_f32_e32 v2, v2, v6
	v_mul_f32_e32 v3, v3, v7
	;; [unrolled: 1-line block ×4, first 2 shown]
	ds_write2st64_b32 v1, v2, v3 offset1:4
	ds_write2st64_b32 v1, v4, v5 offset0:8 offset1:12
.LBB64_91:
	s_or_b64 exec, exec, s[0:1]
	s_cmp_lt_i32 s33, 2
	s_mov_b64 s[0:1], -1
	s_waitcnt lgkmcnt(0)
	s_barrier
	s_cbranch_scc0 .LBB64_102
; %bb.92:
	v_add_u32_e32 v2, s38, v0
	v_cmp_gt_i32_e32 vcc, s39, v2
	s_and_saveexec_b64 s[0:1], vcc
	s_cbranch_execz .LBB64_101
; %bb.93:
	s_lshl_b32 s4, s35, 2
	v_cmp_neq_f32_e64 s[2:3], s34, 0
	s_sub_i32 s10, 0, s4
	s_mov_b64 s[4:5], 0
	v_mov_b32_e32 v8, s25
	v_mov_b32_e32 v9, s37
	s_branch .LBB64_95
.LBB64_94:                              ;   in Loop: Header=BB64_95 Depth=1
	v_add_co_u32_e32 v4, vcc, s36, v4
	v_addc_co_u32_e32 v5, vcc, v9, v5, vcc
	v_add_u32_e32 v2, 0x100, v2
	v_cmp_le_i32_e32 vcc, s39, v2
	s_or_b64 s[4:5], vcc, s[4:5]
	global_store_dword v[4:5], v3, off
	s_andn2_b64 exec, exec, s[4:5]
	s_cbranch_execz .LBB64_101
.LBB64_95:                              ; =>This Loop Header: Depth=1
                                        ;     Child Loop BB64_97 Depth 2
	v_ashrrev_i32_e32 v3, 31, v2
	v_lshlrev_b64 v[4:5], 2, v[2:3]
	v_add_co_u32_e32 v6, vcc, s24, v4
	v_addc_co_u32_e32 v7, vcc, v8, v5, vcc
	global_load_dwordx2 v[6:7], v[6:7], off
	v_mov_b32_e32 v3, 0
	s_waitcnt vmcnt(0)
	v_cmp_lt_i32_e32 vcc, v6, v7
	s_and_saveexec_b64 s[6:7], vcc
	s_cbranch_execz .LBB64_99
; %bb.96:                               ;   in Loop: Header=BB64_95 Depth=1
	v_subrev_u32_e32 v7, s35, v7
	v_subrev_u32_e32 v10, s35, v6
	v_lshl_add_u32 v6, v6, 2, s10
	s_mov_b64 s[8:9], 0
	v_mov_b32_e32 v3, 0
.LBB64_97:                              ;   Parent Loop BB64_95 Depth=1
                                        ; =>  This Inner Loop Header: Depth=2
	ds_read_b32 v11, v6
	v_add_u32_e32 v10, 1, v10
	v_cmp_ge_i32_e32 vcc, v10, v7
	v_add_u32_e32 v6, 4, v6
	s_or_b64 s[8:9], vcc, s[8:9]
	s_waitcnt lgkmcnt(0)
	v_add_f32_e32 v3, v3, v11
	s_andn2_b64 exec, exec, s[8:9]
	s_cbranch_execnz .LBB64_97
; %bb.98:                               ;   in Loop: Header=BB64_95 Depth=1
	s_or_b64 exec, exec, s[8:9]
.LBB64_99:                              ;   in Loop: Header=BB64_95 Depth=1
	s_or_b64 exec, exec, s[6:7]
	s_and_b64 vcc, exec, s[2:3]
	s_cbranch_vccz .LBB64_94
; %bb.100:                              ;   in Loop: Header=BB64_95 Depth=1
	v_mov_b32_e32 v7, s37
	v_add_co_u32_e32 v6, vcc, s36, v4
	v_addc_co_u32_e32 v7, vcc, v7, v5, vcc
	global_load_dword v6, v[6:7], off
	s_waitcnt vmcnt(0)
	v_fmac_f32_e32 v3, s34, v6
	s_branch .LBB64_94
.LBB64_101:
	s_or_b64 exec, exec, s[0:1]
	s_mov_b64 s[0:1], 0
.LBB64_102:
	s_andn2_b64 vcc, exec, s[0:1]
	s_cbranch_vccnz .LBB64_127
; %bb.103:
	s_flbit_i32_b32 s0, s33
	s_xor_b32 s0, s0, 31
	v_lshrrev_b32_e32 v4, s0, v0
	v_add_u32_e32 v2, s38, v4
	s_add_i32 s0, s33, -1
	v_and_b32_e32 v0, s0, v0
	v_cmp_le_i32_e32 vcc, s39, v2
	v_cmp_gt_i32_e64 s[0:1], s39, v2
	v_mov_b32_e32 v3, 0
	s_and_saveexec_b64 s[2:3], s[0:1]
	s_cbranch_execz .LBB64_109
; %bb.104:
	v_lshlrev_b32_e32 v3, 2, v4
	global_load_dwordx2 v[6:7], v3, s[40:41]
	v_subrev_u32_e32 v3, s35, v0
	s_waitcnt vmcnt(0)
	v_subrev_u32_e32 v4, s35, v7
	v_add_u32_e32 v5, v6, v3
	v_cmp_lt_i32_e64 s[0:1], v5, v4
	v_mov_b32_e32 v3, 0
	s_and_saveexec_b64 s[4:5], s[0:1]
	s_cbranch_execz .LBB64_108
; %bb.105:
	v_lshlrev_b32_e32 v6, 2, v5
	s_lshl_b32 s8, s33, 2
	s_mov_b64 s[6:7], 0
	v_mov_b32_e32 v3, 0
.LBB64_106:                             ; =>This Inner Loop Header: Depth=1
	ds_read_b32 v7, v6
	v_add_u32_e32 v5, s33, v5
	v_cmp_ge_i32_e64 s[0:1], v5, v4
	v_add_u32_e32 v6, s8, v6
	s_or_b64 s[6:7], s[0:1], s[6:7]
	s_waitcnt lgkmcnt(0)
	v_add_f32_e32 v3, v3, v7
	s_andn2_b64 exec, exec, s[6:7]
	s_cbranch_execnz .LBB64_106
; %bb.107:
	s_or_b64 exec, exec, s[6:7]
.LBB64_108:
	s_or_b64 exec, exec, s[4:5]
.LBB64_109:
	s_or_b64 exec, exec, s[2:3]
	s_cmpk_lt_i32 s33, 0x81
	s_barrier
	ds_write_b32 v1, v3
	s_waitcnt lgkmcnt(0)
	s_barrier
	s_cbranch_scc1 .LBB64_111
; %bb.110:
	ds_read_b32 v4, v1 offset:512
	s_waitcnt lgkmcnt(0)
	s_barrier
	v_add_f32_e32 v3, v3, v4
	ds_write_b32 v1, v3
.LBB64_111:
	s_cmpk_lt_i32 s33, 0x41
	s_waitcnt lgkmcnt(0)
	s_barrier
	s_cbranch_scc1 .LBB64_113
; %bb.112:
	ds_read_b32 v4, v1 offset:256
	s_waitcnt lgkmcnt(0)
	s_barrier
	v_add_f32_e32 v3, v3, v4
	ds_write_b32 v1, v3
.LBB64_113:
	s_cmp_lt_i32 s33, 33
	s_waitcnt lgkmcnt(0)
	s_barrier
	s_cbranch_scc1 .LBB64_115
; %bb.114:
	ds_read_b32 v4, v1 offset:128
	s_waitcnt lgkmcnt(0)
	s_barrier
	v_add_f32_e32 v3, v3, v4
	ds_write_b32 v1, v3
.LBB64_115:
	s_cmp_lt_i32 s33, 17
	;; [unrolled: 11-line block ×4, first 2 shown]
	s_waitcnt lgkmcnt(0)
	s_barrier
	s_cbranch_scc1 .LBB64_121
; %bb.120:
	ds_read_b32 v4, v1 offset:16
	s_waitcnt lgkmcnt(0)
	s_barrier
	v_add_f32_e32 v3, v3, v4
	ds_write_b32 v1, v3
.LBB64_121:
	s_cmp_eq_u32 s33, 2
	s_waitcnt lgkmcnt(0)
	s_barrier
	s_cbranch_scc1 .LBB64_123
; %bb.122:
	ds_read_b32 v4, v1 offset:8
	s_waitcnt lgkmcnt(0)
	s_barrier
	v_add_f32_e32 v3, v3, v4
	ds_write_b32 v1, v3
.LBB64_123:
	s_waitcnt lgkmcnt(0)
	s_barrier
	ds_read_b32 v4, v1 offset:4
	v_cmp_eq_u32_e64 s[0:1], 0, v0
	s_xor_b64 s[2:3], vcc, -1
	s_and_b64 s[0:1], s[0:1], s[2:3]
	s_waitcnt lgkmcnt(0)
	v_add_f32_e32 v4, v3, v4
	s_barrier
	ds_write_b32 v1, v4
	s_and_saveexec_b64 s[2:3], s[0:1]
	s_cbranch_execz .LBB64_127
; %bb.124:
	v_ashrrev_i32_e32 v3, 31, v2
	v_cmp_eq_f32_e64 s[0:1], s34, 0
	s_and_b64 vcc, exec, s[0:1]
	v_lshlrev_b64 v[0:1], 2, v[2:3]
	s_cbranch_vccnz .LBB64_126
; %bb.125:
	v_mov_b32_e32 v3, s37
	v_add_co_u32_e32 v2, vcc, s36, v0
	v_addc_co_u32_e32 v3, vcc, v3, v1, vcc
	global_load_dword v2, v[2:3], off
	s_waitcnt vmcnt(0)
	v_fmac_f32_e32 v4, s34, v2
.LBB64_126:
	v_mov_b32_e32 v2, s37
	v_add_co_u32_e32 v0, vcc, s36, v0
	v_addc_co_u32_e32 v1, vcc, v2, v1, vcc
	global_store_dword v[0:1], v4, off
.LBB64_127:
	s_endpgm
	.section	.rodata,"a",@progbits
	.p2align	6, 0x0
	.amdhsa_kernel _ZN9rocsparseL22csrmvn_adaptive_kernelIiiDF16_DF16_ffEEvbT_PKS1_PjPKT0_NS_24const_host_device_scalarIT4_EES3_S7_PKT1_PKT2_SA_PT3_21rocsparse_index_base_b
		.amdhsa_group_segment_fixed_size 4096
		.amdhsa_private_segment_fixed_size 0
		.amdhsa_kernarg_size 96
		.amdhsa_user_sgpr_count 6
		.amdhsa_user_sgpr_private_segment_buffer 1
		.amdhsa_user_sgpr_dispatch_ptr 0
		.amdhsa_user_sgpr_queue_ptr 0
		.amdhsa_user_sgpr_kernarg_segment_ptr 1
		.amdhsa_user_sgpr_dispatch_id 0
		.amdhsa_user_sgpr_flat_scratch_init 0
		.amdhsa_user_sgpr_kernarg_preload_length 0
		.amdhsa_user_sgpr_kernarg_preload_offset 0
		.amdhsa_user_sgpr_private_segment_size 0
		.amdhsa_uses_dynamic_stack 0
		.amdhsa_system_sgpr_private_segment_wavefront_offset 0
		.amdhsa_system_sgpr_workgroup_id_x 1
		.amdhsa_system_sgpr_workgroup_id_y 0
		.amdhsa_system_sgpr_workgroup_id_z 0
		.amdhsa_system_sgpr_workgroup_info 0
		.amdhsa_system_vgpr_workitem_id 0
		.amdhsa_next_free_vgpr 28
		.amdhsa_next_free_sgpr 58
		.amdhsa_accum_offset 28
		.amdhsa_reserve_vcc 1
		.amdhsa_reserve_flat_scratch 0
		.amdhsa_float_round_mode_32 0
		.amdhsa_float_round_mode_16_64 0
		.amdhsa_float_denorm_mode_32 3
		.amdhsa_float_denorm_mode_16_64 3
		.amdhsa_dx10_clamp 1
		.amdhsa_ieee_mode 1
		.amdhsa_fp16_overflow 0
		.amdhsa_tg_split 0
		.amdhsa_exception_fp_ieee_invalid_op 0
		.amdhsa_exception_fp_denorm_src 0
		.amdhsa_exception_fp_ieee_div_zero 0
		.amdhsa_exception_fp_ieee_overflow 0
		.amdhsa_exception_fp_ieee_underflow 0
		.amdhsa_exception_fp_ieee_inexact 0
		.amdhsa_exception_int_div_zero 0
	.end_amdhsa_kernel
	.section	.text._ZN9rocsparseL22csrmvn_adaptive_kernelIiiDF16_DF16_ffEEvbT_PKS1_PjPKT0_NS_24const_host_device_scalarIT4_EES3_S7_PKT1_PKT2_SA_PT3_21rocsparse_index_base_b,"axG",@progbits,_ZN9rocsparseL22csrmvn_adaptive_kernelIiiDF16_DF16_ffEEvbT_PKS1_PjPKT0_NS_24const_host_device_scalarIT4_EES3_S7_PKT1_PKT2_SA_PT3_21rocsparse_index_base_b,comdat
.Lfunc_end64:
	.size	_ZN9rocsparseL22csrmvn_adaptive_kernelIiiDF16_DF16_ffEEvbT_PKS1_PjPKT0_NS_24const_host_device_scalarIT4_EES3_S7_PKT1_PKT2_SA_PT3_21rocsparse_index_base_b, .Lfunc_end64-_ZN9rocsparseL22csrmvn_adaptive_kernelIiiDF16_DF16_ffEEvbT_PKS1_PjPKT0_NS_24const_host_device_scalarIT4_EES3_S7_PKT1_PKT2_SA_PT3_21rocsparse_index_base_b
                                        ; -- End function
	.section	.AMDGPU.csdata,"",@progbits
; Kernel info:
; codeLenInByte = 4884
; NumSgprs: 62
; NumVgprs: 28
; NumAgprs: 0
; TotalNumVgprs: 28
; ScratchSize: 0
; MemoryBound: 0
; FloatMode: 240
; IeeeMode: 1
; LDSByteSize: 4096 bytes/workgroup (compile time only)
; SGPRBlocks: 7
; VGPRBlocks: 3
; NumSGPRsForWavesPerEU: 62
; NumVGPRsForWavesPerEU: 28
; AccumOffset: 28
; Occupancy: 8
; WaveLimiterHint : 1
; COMPUTE_PGM_RSRC2:SCRATCH_EN: 0
; COMPUTE_PGM_RSRC2:USER_SGPR: 6
; COMPUTE_PGM_RSRC2:TRAP_HANDLER: 0
; COMPUTE_PGM_RSRC2:TGID_X_EN: 1
; COMPUTE_PGM_RSRC2:TGID_Y_EN: 0
; COMPUTE_PGM_RSRC2:TGID_Z_EN: 0
; COMPUTE_PGM_RSRC2:TIDIG_COMP_CNT: 0
; COMPUTE_PGM_RSRC3_GFX90A:ACCUM_OFFSET: 6
; COMPUTE_PGM_RSRC3_GFX90A:TG_SPLIT: 0
	.section	.text._ZN9rocsparseL27csrmvn_symm_adaptive_kernelIiiDF16_DF16_ffEEvbT_S1_PKS1_NS_24const_host_device_scalarIT4_EES3_PKT0_PKT1_PKT2_S6_PT3_21rocsparse_index_base_b,"axG",@progbits,_ZN9rocsparseL27csrmvn_symm_adaptive_kernelIiiDF16_DF16_ffEEvbT_S1_PKS1_NS_24const_host_device_scalarIT4_EES3_PKT0_PKT1_PKT2_S6_PT3_21rocsparse_index_base_b,comdat
	.globl	_ZN9rocsparseL27csrmvn_symm_adaptive_kernelIiiDF16_DF16_ffEEvbT_S1_PKS1_NS_24const_host_device_scalarIT4_EES3_PKT0_PKT1_PKT2_S6_PT3_21rocsparse_index_base_b ; -- Begin function _ZN9rocsparseL27csrmvn_symm_adaptive_kernelIiiDF16_DF16_ffEEvbT_S1_PKS1_NS_24const_host_device_scalarIT4_EES3_PKT0_PKT1_PKT2_S6_PT3_21rocsparse_index_base_b
	.p2align	8
	.type	_ZN9rocsparseL27csrmvn_symm_adaptive_kernelIiiDF16_DF16_ffEEvbT_S1_PKS1_NS_24const_host_device_scalarIT4_EES3_PKT0_PKT1_PKT2_S6_PT3_21rocsparse_index_base_b,@function
_ZN9rocsparseL27csrmvn_symm_adaptive_kernelIiiDF16_DF16_ffEEvbT_S1_PKS1_NS_24const_host_device_scalarIT4_EES3_PKT0_PKT1_PKT2_S6_PT3_21rocsparse_index_base_b: ; @_ZN9rocsparseL27csrmvn_symm_adaptive_kernelIiiDF16_DF16_ffEEvbT_S1_PKS1_NS_24const_host_device_scalarIT4_EES3_PKT0_PKT1_PKT2_S6_PT3_21rocsparse_index_base_b
; %bb.0:
	s_load_dwordx2 s[26:27], s[4:5], 0x50
	s_load_dwordx2 s[28:29], s[4:5], 0x18
	s_load_dwordx2 s[0:1], s[4:5], 0x40
	s_waitcnt lgkmcnt(0)
	s_bitcmp1_b32 s27, 0
	s_cselect_b64 s[8:9], -1, 0
	s_xor_b64 s[2:3], s[8:9], -1
	s_and_b64 vcc, exec, s[8:9]
	s_cbranch_vccnz .LBB65_2
; %bb.1:
	s_load_dword s28, s[28:29], 0x0
.LBB65_2:
	s_andn2_b64 vcc, exec, s[2:3]
	s_cbranch_vccnz .LBB65_4
; %bb.3:
	s_load_dword s0, s[0:1], 0x0
.LBB65_4:
	s_waitcnt lgkmcnt(0)
	v_cmp_neq_f32_e64 s[2:3], s28, 0
	v_cmp_neq_f32_e64 s[0:1], s0, 1.0
	s_or_b64 s[0:1], s[2:3], s[0:1]
	s_andn2_b64 vcc, exec, s[0:1]
	s_cbranch_vccnz .LBB65_189
; %bb.5:
	s_load_dwordx2 s[0:1], s[4:5], 0x10
	s_ashr_i32 s7, s6, 31
	s_lshl_b64 s[2:3], s[6:7], 2
	v_lshlrev_b32_e32 v1, 2, v0
	v_mov_b32_e32 v2, 0
	s_waitcnt lgkmcnt(0)
	s_add_u32 s0, s0, s2
	s_addc_u32 s1, s1, s3
	ds_write2st64_b32 v1, v2, v2 offset1:4
	ds_write2st64_b32 v1, v2, v2 offset0:8 offset1:12
	s_waitcnt lgkmcnt(0)
	s_barrier
	s_load_dwordx2 s[24:25], s[0:1], 0x0
	s_load_dwordx8 s[16:23], s[4:5], 0x20
	s_load_dwordx2 s[14:15], s[4:5], 0x48
	s_mov_b64 s[0:1], -1
	v_subrev_u32_e32 v8, s26, v0
	s_waitcnt lgkmcnt(0)
	s_sub_i32 s27, s25, s24
	s_cmp_gt_i32 s27, 2
	s_cbranch_scc1 .LBB65_40
; %bb.6:
	s_cmp_gt_i32 s25, s24
	s_cbranch_scc1 .LBB65_8
; %bb.7:
	s_ashr_i32 s1, s24, 31
	s_mov_b32 s0, s24
	s_lshl_b64 s[0:1], s[0:1], 2
	s_add_u32 s0, s16, s0
	s_addc_u32 s1, s17, s1
	s_load_dword s29, s[0:1], 0x0
	s_cbranch_execz .LBB65_9
	s_branch .LBB65_29
.LBB65_8:
                                        ; implicit-def: $sgpr29
	s_andn2_b64 vcc, exec, s[0:1]
	s_cbranch_vccnz .LBB65_29
.LBB65_9:
	s_ashr_i32 s13, s24, 31
	s_mov_b32 s12, s24
	s_lshl_b64 s[12:13], s[12:13], 2
	s_add_u32 s12, s16, s12
	s_addc_u32 s13, s17, s13
	s_waitcnt lgkmcnt(0)
	s_load_dword s29, s[12:13], 0x0
	s_movk_i32 s0, 0x100
	s_add_u32 s33, s16, 4
	v_cmp_gt_u32_e64 s[0:1], s0, v0
	v_cmp_gt_u32_e64 s[2:3], 64, v0
	;; [unrolled: 1-line block ×4, first 2 shown]
	v_cmp_eq_u32_e64 s[10:11], 0, v0
	s_addc_u32 s40, s17, 0
	v_mov_b32_e32 v9, s23
	v_mov_b32_e32 v10, 0
	s_waitcnt lgkmcnt(0)
	s_mov_b32 s31, s29
	s_mov_b32 s30, s24
	s_branch .LBB65_11
.LBB65_10:                              ;   in Loop: Header=BB65_11 Depth=1
	s_or_b64 exec, exec, s[12:13]
	s_add_i32 s30, s30, 1
	s_cmp_ge_i32 s30, s25
	s_cbranch_scc1 .LBB65_29
.LBB65_11:                              ; =>This Loop Header: Depth=1
                                        ;     Child Loop BB65_13 Depth 2
                                        ;     Child Loop BB65_28 Depth 2
	s_mov_b32 s36, s31
	s_ashr_i32 s31, s30, 31
	s_lshl_b64 s[34:35], s[30:31], 2
	s_add_u32 s12, s33, s34
	s_addc_u32 s13, s40, s35
	s_load_dword s31, s[12:13], 0x0
	v_add_u32_e32 v2, s36, v8
	v_mov_b32_e32 v3, 0
	s_waitcnt lgkmcnt(0)
	s_sub_i32 s41, s31, s26
	v_cmp_gt_i32_e32 vcc, s41, v2
	s_and_saveexec_b64 s[36:37], vcc
	s_cbranch_execz .LBB65_15
; %bb.12:                               ;   in Loop: Header=BB65_11 Depth=1
	v_ashrrev_i32_e32 v3, 31, v2
	v_lshlrev_b64 v[4:5], 2, v[2:3]
	v_mov_b32_e32 v6, s19
	v_add_co_u32_e32 v4, vcc, s18, v4
	v_addc_co_u32_e32 v5, vcc, v6, v5, vcc
	v_lshlrev_b64 v[6:7], 1, v[2:3]
	v_mov_b32_e32 v3, s21
	v_add_co_u32_e32 v6, vcc, s20, v6
	v_addc_co_u32_e32 v7, vcc, v3, v7, vcc
	s_mov_b64 s[38:39], 0
	v_mov_b32_e32 v3, 0
.LBB65_13:                              ;   Parent Loop BB65_11 Depth=1
                                        ; =>  This Inner Loop Header: Depth=2
	global_load_dword v11, v[4:5], off
	global_load_ushort v14, v[6:7], off
	v_add_u32_e32 v2, 0x100, v2
	v_cmp_le_i32_e64 s[12:13], s41, v2
	s_or_b64 s[38:39], s[12:13], s[38:39]
	s_waitcnt vmcnt(1)
	v_subrev_u32_e32 v12, s26, v11
	v_ashrrev_i32_e32 v13, 31, v12
	v_lshlrev_b64 v[12:13], 1, v[12:13]
	v_add_co_u32_e32 v12, vcc, s22, v12
	v_addc_co_u32_e32 v13, vcc, v9, v13, vcc
	global_load_ushort v11, v[12:13], off
	v_add_co_u32_e32 v4, vcc, 0x400, v4
	v_addc_co_u32_e32 v5, vcc, 0, v5, vcc
	v_add_co_u32_e32 v6, vcc, 0x200, v6
	v_addc_co_u32_e32 v7, vcc, 0, v7, vcc
	s_waitcnt vmcnt(0)
	v_fma_mix_f32 v3, v14, v11, v3 op_sel_hi:[1,1,0]
	s_andn2_b64 exec, exec, s[38:39]
	s_cbranch_execnz .LBB65_13
; %bb.14:                               ;   in Loop: Header=BB65_11 Depth=1
	s_or_b64 exec, exec, s[38:39]
.LBB65_15:                              ;   in Loop: Header=BB65_11 Depth=1
	s_or_b64 exec, exec, s[36:37]
	ds_write_b32 v1, v3
	s_waitcnt lgkmcnt(0)
	s_barrier
	s_and_saveexec_b64 s[12:13], s[0:1]
	s_cbranch_execz .LBB65_17
; %bb.16:                               ;   in Loop: Header=BB65_11 Depth=1
	ds_read2st64_b32 v[2:3], v1 offset1:4
	ds_read2st64_b32 v[4:5], v1 offset0:8 offset1:12
	s_waitcnt lgkmcnt(0)
	v_add_f32_e32 v3, v3, v4
	v_add_f32_e32 v3, v3, v5
	;; [unrolled: 1-line block ×3, first 2 shown]
	ds_write_b32 v1, v2
.LBB65_17:                              ;   in Loop: Header=BB65_11 Depth=1
	s_or_b64 exec, exec, s[12:13]
	s_waitcnt lgkmcnt(0)
	s_barrier
	s_and_saveexec_b64 s[12:13], s[2:3]
	s_cbranch_execz .LBB65_19
; %bb.18:                               ;   in Loop: Header=BB65_11 Depth=1
	ds_read2st64_b32 v[2:3], v1 offset1:1
	ds_read2st64_b32 v[4:5], v1 offset0:2 offset1:3
	s_waitcnt lgkmcnt(0)
	v_add_f32_e32 v3, v3, v4
	v_add_f32_e32 v3, v3, v5
	;; [unrolled: 1-line block ×3, first 2 shown]
	ds_write_b32 v1, v2
.LBB65_19:                              ;   in Loop: Header=BB65_11 Depth=1
	s_or_b64 exec, exec, s[12:13]
	s_waitcnt lgkmcnt(0)
	s_barrier
	s_and_saveexec_b64 s[12:13], s[6:7]
	s_cbranch_execz .LBB65_21
; %bb.20:                               ;   in Loop: Header=BB65_11 Depth=1
	ds_read2_b32 v[2:3], v1 offset1:16
	ds_read2_b32 v[4:5], v1 offset0:32 offset1:48
	s_waitcnt lgkmcnt(0)
	v_add_f32_e32 v3, v3, v4
	v_add_f32_e32 v3, v3, v5
	;; [unrolled: 1-line block ×3, first 2 shown]
	ds_write_b32 v1, v2
.LBB65_21:                              ;   in Loop: Header=BB65_11 Depth=1
	s_or_b64 exec, exec, s[12:13]
	s_waitcnt lgkmcnt(0)
	s_barrier
	s_and_saveexec_b64 s[12:13], s[8:9]
	s_cbranch_execz .LBB65_23
; %bb.22:                               ;   in Loop: Header=BB65_11 Depth=1
	ds_read2_b32 v[2:3], v1 offset1:4
	ds_read2_b32 v[4:5], v1 offset0:8 offset1:12
	s_waitcnt lgkmcnt(0)
	v_add_f32_e32 v3, v3, v4
	v_add_f32_e32 v3, v3, v5
	;; [unrolled: 1-line block ×3, first 2 shown]
	ds_write_b32 v1, v2
.LBB65_23:                              ;   in Loop: Header=BB65_11 Depth=1
	s_or_b64 exec, exec, s[12:13]
	s_waitcnt lgkmcnt(0)
	s_barrier
	s_and_saveexec_b64 s[12:13], s[10:11]
	s_cbranch_execz .LBB65_25
; %bb.24:                               ;   in Loop: Header=BB65_11 Depth=1
	ds_read2_b32 v[2:3], v10 offset0:1 offset1:2
	ds_read_b32 v4, v10 offset:12
	ds_read_b32 v5, v1
	s_waitcnt lgkmcnt(2)
	v_add_f32_e32 v2, v2, v3
	s_waitcnt lgkmcnt(1)
	v_add_f32_e32 v2, v2, v4
	;; [unrolled: 2-line block ×3, first 2 shown]
	ds_write_b32 v1, v2
.LBB65_25:                              ;   in Loop: Header=BB65_11 Depth=1
	s_or_b64 exec, exec, s[12:13]
	s_waitcnt lgkmcnt(0)
	s_barrier
	s_and_saveexec_b64 s[12:13], s[10:11]
	s_cbranch_execz .LBB65_10
; %bb.26:                               ;   in Loop: Header=BB65_11 Depth=1
	s_mov_b64 s[36:37], exec
	v_mbcnt_lo_u32_b32 v2, s36, 0
	v_mbcnt_hi_u32_b32 v2, s37, v2
	v_cmp_eq_u32_e32 vcc, 0, v2
	s_and_b64 s[38:39], exec, vcc
	s_mov_b64 exec, s[38:39]
	s_cbranch_execz .LBB65_10
; %bb.27:                               ;   in Loop: Header=BB65_11 Depth=1
	s_add_u32 s34, s14, s34
	s_addc_u32 s35, s15, s35
	global_load_dword v3, v10, s[34:35]
	ds_read_b32 v2, v10
	s_bcnt1_i32_b64 s36, s[36:37]
	v_cvt_f32_ubyte0_e32 v4, s36
	s_mov_b64 s[36:37], 0
	s_waitcnt lgkmcnt(0)
	v_mul_f32_e32 v2, s28, v2
	v_mul_f32_e32 v4, v2, v4
.LBB65_28:                              ;   Parent Loop BB65_11 Depth=1
                                        ; =>  This Inner Loop Header: Depth=2
	s_waitcnt vmcnt(0)
	v_add_f32_e32 v2, v3, v4
	global_atomic_cmpswap v2, v10, v[2:3], s[34:35] glc
	s_waitcnt vmcnt(0)
	v_cmp_eq_u32_e32 vcc, v2, v3
	s_or_b64 s[36:37], vcc, s[36:37]
	v_mov_b32_e32 v3, v2
	s_andn2_b64 exec, exec, s[36:37]
	s_cbranch_execnz .LBB65_28
	s_branch .LBB65_10
.LBB65_29:
	s_ashr_i32 s1, s25, 31
	s_mov_b32 s0, s25
	s_lshl_b64 s[0:1], s[0:1], 2
	s_add_u32 s0, s16, s0
	s_addc_u32 s1, s17, s1
	s_load_dword s0, s[0:1], 0x0
	s_waitcnt lgkmcnt(0)
	v_add_u32_e32 v2, s29, v8
	s_sub_i32 s12, s0, s26
	v_cmp_gt_i32_e32 vcc, s12, v2
	s_and_saveexec_b64 s[6:7], vcc
	s_cbranch_execz .LBB65_39
; %bb.30:
	s_add_i32 s13, s25, -1
	s_cmp_gt_i32 s13, s24
	s_cselect_b64 s[0:1], -1, 0
	s_add_i32 s2, s25, -2
	s_cmp_lg_u32 s2, s24
	s_cselect_b64 s[2:3], -1, 0
	s_and_b64 s[0:1], s[0:1], s[2:3]
	v_cndmask_b32_e64 v3, 0, 1, s[0:1]
	s_mov_b64 s[8:9], 0
	v_cmp_ne_u32_e64 s[0:1], 1, v3
	v_mov_b32_e32 v9, s17
	v_mov_b32_e32 v10, s19
	s_branch .LBB65_32
.LBB65_31:                              ;   in Loop: Header=BB65_32 Depth=1
	s_or_b64 exec, exec, s[2:3]
	v_add_u32_e32 v2, 0x100, v2
	v_cmp_le_i32_e32 vcc, s12, v2
	s_or_b64 s[8:9], vcc, s[8:9]
	s_andn2_b64 exec, exec, s[8:9]
	s_cbranch_execz .LBB65_39
.LBB65_32:                              ; =>This Loop Header: Depth=1
                                        ;     Child Loop BB65_34 Depth 2
                                        ;     Child Loop BB65_38 Depth 2
	s_and_b64 vcc, exec, s[0:1]
	v_mov_b32_e32 v6, s24
	v_mov_b32_e32 v4, s13
	s_cbranch_vccnz .LBB65_36
; %bb.33:                               ;   in Loop: Header=BB65_32 Depth=1
	s_mov_b64 s[10:11], 0
	v_mov_b32_e32 v6, s24
	v_mov_b32_e32 v4, s13
.LBB65_34:                              ;   Parent Loop BB65_32 Depth=1
                                        ; =>  This Inner Loop Header: Depth=2
	v_add_u32_e32 v3, v4, v6
	v_lshrrev_b32_e32 v7, 31, v3
	v_add_u32_e32 v3, v3, v7
	v_ashrrev_i32_e32 v12, 1, v3
	v_ashrrev_i32_e32 v13, 31, v12
	v_lshlrev_b64 v[14:15], 2, v[12:13]
	v_mov_b32_e32 v5, s17
	v_add_co_u32_e32 v14, vcc, s16, v14
	v_addc_co_u32_e32 v15, vcc, v5, v15, vcc
	global_load_dword v3, v[14:15], off
	s_waitcnt vmcnt(0)
	v_subrev_u32_e32 v3, s26, v3
	v_cmp_gt_i32_e32 vcc, v3, v2
	v_cndmask_b32_e32 v4, v4, v12, vcc
	v_cndmask_b32_e32 v6, v12, v6, vcc
	v_add_u32_e32 v3, -1, v4
	v_cmp_ge_i32_e32 vcc, v6, v4
	v_cmp_eq_u32_e64 s[2:3], v6, v3
	s_or_b64 s[2:3], vcc, s[2:3]
	s_and_b64 s[2:3], exec, s[2:3]
	s_or_b64 s[10:11], s[2:3], s[10:11]
	s_andn2_b64 exec, exec, s[10:11]
	s_cbranch_execnz .LBB65_34
; %bb.35:                               ;   in Loop: Header=BB65_32 Depth=1
	s_or_b64 exec, exec, s[10:11]
.LBB65_36:                              ;   in Loop: Header=BB65_32 Depth=1
	v_ashrrev_i32_e32 v5, 31, v4
	v_lshlrev_b64 v[12:13], 2, v[4:5]
	v_add_co_u32_e32 v12, vcc, s16, v12
	v_addc_co_u32_e32 v13, vcc, v9, v13, vcc
	v_ashrrev_i32_e32 v3, 31, v2
	global_load_dword v5, v[12:13], off
	v_lshlrev_b64 v[12:13], 2, v[2:3]
	v_add_co_u32_e32 v12, vcc, s18, v12
	v_addc_co_u32_e32 v13, vcc, v10, v13, vcc
	global_load_dword v7, v[12:13], off
	s_waitcnt vmcnt(1)
	v_subrev_u32_e32 v5, s26, v5
	v_cmp_gt_i32_e32 vcc, v5, v2
	v_cndmask_b32_e32 v4, v4, v6, vcc
	s_waitcnt vmcnt(0)
	v_subrev_u32_e32 v6, s26, v7
	v_cmp_ne_u32_e32 vcc, v6, v4
	s_and_saveexec_b64 s[2:3], vcc
	s_cbranch_execz .LBB65_31
; %bb.37:                               ;   in Loop: Header=BB65_32 Depth=1
	v_lshlrev_b64 v[12:13], 1, v[2:3]
	v_mov_b32_e32 v3, s21
	v_add_co_u32_e32 v12, vcc, s20, v12
	v_ashrrev_i32_e32 v5, 31, v4
	v_addc_co_u32_e32 v13, vcc, v3, v13, vcc
	v_lshlrev_b64 v[4:5], 1, v[4:5]
	v_mov_b32_e32 v11, s23
	v_add_co_u32_e32 v4, vcc, s22, v4
	global_load_ushort v3, v[12:13], off
	v_addc_co_u32_e32 v5, vcc, v11, v5, vcc
	global_load_ushort v11, v[4:5], off
	v_ashrrev_i32_e32 v7, 31, v6
	v_lshlrev_b64 v[6:7], 2, v[6:7]
	v_mov_b32_e32 v5, s15
	v_add_co_u32_e32 v4, vcc, s14, v6
	v_addc_co_u32_e32 v5, vcc, v5, v7, vcc
	global_load_dword v7, v[4:5], off
	s_mov_b64 s[10:11], 0
	s_waitcnt vmcnt(2)
	v_cvt_f32_f16_e32 v3, v3
	s_waitcnt vmcnt(1)
	v_cvt_f32_f16_e32 v6, v11
	v_mul_f32_e32 v3, s28, v3
	v_mul_f32_e32 v3, v3, v6
.LBB65_38:                              ;   Parent Loop BB65_32 Depth=1
                                        ; =>  This Inner Loop Header: Depth=2
	s_waitcnt vmcnt(0)
	v_add_f32_e32 v6, v7, v3
	global_atomic_cmpswap v6, v[4:5], v[6:7], off glc
	s_waitcnt vmcnt(0)
	v_cmp_eq_u32_e32 vcc, v6, v7
	s_or_b64 s[10:11], vcc, s[10:11]
	v_mov_b32_e32 v7, v6
	s_andn2_b64 exec, exec, s[10:11]
	s_cbranch_execnz .LBB65_38
	s_branch .LBB65_31
.LBB65_39:
	s_or_b64 exec, exec, s[6:7]
	s_mov_b64 s[0:1], 0
.LBB65_40:
	s_and_b64 vcc, exec, s[0:1]
	s_cbranch_vccz .LBB65_189
; %bb.41:
	v_cvt_f32_u32_e32 v2, s27
	s_ashr_i32 s1, s24, 31
	s_mov_b32 s0, s24
	s_sub_i32 s2, 0, s27
	v_rcp_iflag_f32_e32 v2, v2
	s_lshl_b64 s[0:1], s[0:1], 2
	s_add_u32 s6, s16, s0
	s_addc_u32 s7, s17, s1
	v_mul_f32_e32 v2, 0x4f7ffffe, v2
	v_cvt_u32_f32_e32 v2, v2
	s_load_dword s33, s[6:7], 0x0
	s_load_dwordx2 s[8:9], s[4:5], 0x4
	s_load_dword s40, s[4:5], 0x64
	v_readfirstlane_b32 s41, v2
	s_waitcnt lgkmcnt(0)
	v_add_u32_e32 v2, s33, v8
	s_mul_i32 s2, s2, s41
	v_add_u32_e32 v12, 0x300, v2
	s_mul_hi_u32 s42, s41, s2
	v_cmp_le_i32_e32 vcc, s8, v12
	s_and_saveexec_b64 s[0:1], vcc
	s_xor_b64 s[2:3], exec, s[0:1]
	s_cbranch_execz .LBB65_58
; %bb.42:
	s_ashr_i32 s1, s25, 31
	s_mov_b32 s0, s25
	s_lshl_b64 s[0:1], s[0:1], 2
	s_add_u32 s0, s16, s0
	s_addc_u32 s1, s17, s1
	s_load_dword s10, s[0:1], 0x0
	s_waitcnt lgkmcnt(0)
	s_sub_i32 s8, s10, s33
	v_cmp_gt_i32_e64 s[0:1], s8, v0
	s_and_saveexec_b64 s[4:5], s[0:1]
	s_cbranch_execz .LBB65_57
; %bb.43:
	v_xad_u32 v3, v0, -1, s10
	v_subrev_u32_e32 v4, s33, v3
	s_movk_i32 s0, 0x1100
	v_cmp_gt_u32_e64 s[10:11], s0, v4
	s_movk_i32 s0, 0x10ff
	v_cmp_lt_u32_e64 s[0:1], s0, v4
	v_mov_b32_e32 v3, 0
	s_and_saveexec_b64 s[12:13], s[0:1]
	s_cbranch_execz .LBB65_54
; %bb.44:
	v_and_b32_e32 v3, 0xffffff00, v4
	v_add_u32_e32 v3, v2, v3
	v_cmp_ge_i32_e64 s[0:1], v3, v2
	s_mov_b64 s[34:35], -1
	v_mov_b32_e32 v3, 0
	s_and_saveexec_b64 s[30:31], s[0:1]
	s_cbranch_execz .LBB65_53
; %bb.45:
	v_lshrrev_b32_e32 v3, 8, v4
	v_add_u32_e32 v4, -1, v3
	v_lshrrev_b32_e32 v5, 1, v4
	s_movk_i32 s35, 0x100
	s_mov_b32 s34, 0
	s_mov_b32 s29, s28
	v_add_u32_e32 v6, 1, v5
	v_cmp_lt_u32_e64 s[0:1], 5, v4
	v_pk_mov_b32 v[4:5], s[34:35], s[34:35] op_sel:[0,1]
	s_and_saveexec_b64 s[36:37], s[0:1]
	s_cbranch_execz .LBB65_49
; %bb.46:
	v_and_b32_e32 v7, -4, v6
	s_mov_b64 s[38:39], 0
	v_mov_b32_e32 v8, s21
.LBB65_47:                              ; =>This Inner Loop Header: Depth=1
	v_add_u32_e32 v4, s34, v2
	v_ashrrev_i32_e32 v5, 31, v4
	v_add_u32_e32 v10, s35, v2
	v_lshlrev_b64 v[4:5], 1, v[4:5]
	s_add_i32 s44, s34, 0x200
	v_ashrrev_i32_e32 v11, 31, v10
	v_add_co_u32_e64 v4, s[0:1], s20, v4
	v_add_u32_e32 v14, s44, v2
	v_lshlrev_b64 v[10:11], 1, v[10:11]
	v_addc_co_u32_e64 v5, s[0:1], v8, v5, s[0:1]
	s_add_i32 s43, s35, 0x200
	v_ashrrev_i32_e32 v15, 31, v14
	v_add_co_u32_e64 v10, s[0:1], s20, v10
	v_add_u32_e32 v16, s43, v2
	v_addc_co_u32_e64 v11, s[0:1], v8, v11, s[0:1]
	v_lshlrev_b64 v[14:15], 1, v[14:15]
	s_add_i32 s46, s34, 0x400
	v_ashrrev_i32_e32 v17, 31, v16
	global_load_ushort v9, v[4:5], off
	global_load_ushort v13, v[10:11], off
	v_add_co_u32_e64 v4, s[0:1], s20, v14
	v_add_u32_e32 v18, s46, v2
	v_lshlrev_b64 v[16:17], 1, v[16:17]
	v_addc_co_u32_e64 v5, s[0:1], v8, v15, s[0:1]
	s_add_i32 s45, s35, 0x400
	v_ashrrev_i32_e32 v19, 31, v18
	v_add_co_u32_e64 v10, s[0:1], s20, v16
	v_add_u32_e32 v20, s45, v2
	v_lshlrev_b64 v[18:19], 1, v[18:19]
	v_addc_co_u32_e64 v11, s[0:1], v8, v17, s[0:1]
	s_add_i32 s48, s34, 0x600
	v_ashrrev_i32_e32 v21, 31, v20
	;; [unrolled: 6-line block ×3, first 2 shown]
	v_add_co_u32_e64 v16, s[0:1], s20, v20
	v_add_u32_e32 v24, s47, v2
	v_lshlrev_b64 v[22:23], 1, v[22:23]
	v_addc_co_u32_e64 v17, s[0:1], v8, v21, s[0:1]
	v_ashrrev_i32_e32 v25, 31, v24
	v_add_co_u32_e64 v18, s[0:1], s20, v22
	v_lshlrev_b64 v[24:25], 1, v[24:25]
	v_addc_co_u32_e64 v19, s[0:1], v8, v23, s[0:1]
	v_add_co_u32_e64 v20, s[0:1], s20, v24
	v_addc_co_u32_e64 v21, s[0:1], v8, v25, s[0:1]
	global_load_ushort v22, v[10:11], off
	global_load_ushort v23, v[4:5], off
	s_nop 0
	global_load_ushort v16, v[16:17], off
	s_nop 0
	;; [unrolled: 2-line block ×4, first 2 shown]
	global_load_ushort v18, v[18:19], off
	v_add_u32_e32 v7, -4, v7
	v_add_lshl_u32 v21, s34, v0, 2
	v_add_lshl_u32 v25, s35, v0, 2
	s_addk_i32 s35, 0x800
	s_addk_i32 s34, 0x800
	v_cmp_eq_u32_e64 s[0:1], 0, v7
	v_add_lshl_u32 v26, s44, v0, 2
	v_pk_mov_b32 v[4:5], s[34:35], s[34:35] op_sel:[0,1]
	s_or_b64 s[38:39], s[0:1], s[38:39]
	v_add_lshl_u32 v27, s43, v0, 2
	v_add_lshl_u32 v28, s46, v0, 2
	;; [unrolled: 1-line block ×5, first 2 shown]
	s_waitcnt vmcnt(7)
	v_cvt_f32_f16_e32 v10, v9
	s_waitcnt vmcnt(6)
	v_cvt_f32_f16_e32 v11, v13
	v_pk_mul_f32 v[10:11], s[28:29], v[10:11]
	ds_write_b32 v21, v10
	ds_write_b32 v25, v11
	s_waitcnt vmcnt(5)
	v_cvt_f32_f16_e32 v15, v22
	s_waitcnt vmcnt(4)
	v_cvt_f32_f16_e32 v14, v23
	;; [unrolled: 2-line block ×6, first 2 shown]
	v_pk_mul_f32 v[10:11], s[28:29], v[14:15]
	v_pk_mul_f32 v[14:15], s[28:29], v[16:17]
	;; [unrolled: 1-line block ×3, first 2 shown]
	ds_write_b32 v26, v10
	ds_write_b32 v27, v11
	ds_write_b32 v28, v14
	ds_write_b32 v29, v15
	ds_write_b32 v30, v16
	ds_write_b32 v31, v17
	s_andn2_b64 exec, exec, s[38:39]
	s_cbranch_execnz .LBB65_47
; %bb.48:
	s_or_b64 exec, exec, s[38:39]
.LBB65_49:
	s_or_b64 exec, exec, s[36:37]
	v_and_b32_e32 v6, 3, v6
	v_cmp_ne_u32_e64 s[0:1], 0, v6
	s_and_saveexec_b64 s[34:35], s[0:1]
	s_cbranch_execz .LBB65_52
; %bb.50:
	s_mov_b64 s[36:37], 0
	v_mov_b32_e32 v7, s21
.LBB65_51:                              ; =>This Inner Loop Header: Depth=1
	v_add_u32_e32 v8, v4, v2
	v_ashrrev_i32_e32 v9, 31, v8
	v_add_u32_e32 v10, v5, v2
	v_lshlrev_b64 v[8:9], 1, v[8:9]
	v_ashrrev_i32_e32 v11, 31, v10
	v_add_co_u32_e64 v8, s[0:1], s20, v8
	v_lshlrev_b64 v[10:11], 1, v[10:11]
	v_addc_co_u32_e64 v9, s[0:1], v7, v9, s[0:1]
	v_add_co_u32_e64 v10, s[0:1], s20, v10
	v_addc_co_u32_e64 v11, s[0:1], v7, v11, s[0:1]
	global_load_ushort v13, v[10:11], off
	global_load_ushort v14, v[8:9], off
	v_add_u32_e32 v6, -1, v6
	v_cmp_eq_u32_e64 s[0:1], 0, v6
	v_add_lshl_u32 v10, v4, v0, 2
	v_add_lshl_u32 v11, v5, v0, 2
	v_add_u32_e32 v5, 0x200, v5
	v_add_u32_e32 v4, 0x200, v4
	s_or_b64 s[36:37], s[0:1], s[36:37]
	s_waitcnt vmcnt(1)
	v_cvt_f32_f16_e32 v9, v13
	s_waitcnt vmcnt(0)
	v_cvt_f32_f16_e32 v8, v14
	v_pk_mul_f32 v[8:9], s[28:29], v[8:9]
	ds_write_b32 v10, v8
	ds_write_b32 v11, v9
	s_andn2_b64 exec, exec, s[36:37]
	s_cbranch_execnz .LBB65_51
.LBB65_52:
	s_or_b64 exec, exec, s[34:35]
	v_add_u32_e32 v4, 1, v3
	v_and_b32_e32 v5, 0x1fffffe, v4
	v_cmp_ne_u32_e64 s[0:1], v4, v5
	v_lshlrev_b32_e32 v3, 8, v5
	s_orn2_b64 s[34:35], s[0:1], exec
.LBB65_53:
	s_or_b64 exec, exec, s[30:31]
	s_andn2_b64 s[0:1], s[10:11], exec
	s_and_b64 s[10:11], s[34:35], exec
	s_or_b64 s[10:11], s[0:1], s[10:11]
.LBB65_54:
	s_or_b64 exec, exec, s[12:13]
	s_and_b64 exec, exec, s[10:11]
	s_cbranch_execz .LBB65_57
; %bb.55:
	v_lshlrev_b32_e32 v4, 2, v3
	v_lshl_add_u32 v4, v0, 2, v4
	v_add_u32_e32 v3, v0, v3
	s_sub_i32 s12, s33, s26
	s_mov_b64 s[10:11], 0
	v_mov_b32_e32 v5, s21
.LBB65_56:                              ; =>This Inner Loop Header: Depth=1
	v_add_u32_e32 v6, s12, v3
	v_ashrrev_i32_e32 v7, 31, v6
	v_lshlrev_b64 v[6:7], 1, v[6:7]
	v_add_co_u32_e64 v6, s[0:1], s20, v6
	v_addc_co_u32_e64 v7, s[0:1], v5, v7, s[0:1]
	global_load_ushort v6, v[6:7], off
	v_add_u32_e32 v3, 0x100, v3
	v_cmp_le_i32_e64 s[0:1], s8, v3
	s_or_b64 s[10:11], s[0:1], s[10:11]
	s_waitcnt vmcnt(0)
	v_cvt_f32_f16_e32 v6, v6
	v_mul_f32_e32 v6, s28, v6
	ds_write_b32 v4, v6
	v_add_u32_e32 v4, 0x400, v4
	s_andn2_b64 exec, exec, s[10:11]
	s_cbranch_execnz .LBB65_56
.LBB65_57:
	s_or_b64 exec, exec, s[4:5]
.LBB65_58:
	s_or_saveexec_b64 s[2:3], s[2:3]
	s_and_b32 s30, s40, 0xffff
	s_add_i32 s41, s41, s42
	v_ashrrev_i32_e32 v3, 31, v2
	s_xor_b64 exec, exec, s[2:3]
	s_cbranch_execz .LBB65_60
; %bb.59:
	v_lshlrev_b64 v[4:5], 1, v[2:3]
	v_mov_b32_e32 v6, s21
	v_add_co_u32_e64 v4, s[0:1], s20, v4
	v_addc_co_u32_e64 v5, s[0:1], v6, v5, s[0:1]
	global_load_ushort v6, v[4:5], off
	global_load_ushort v7, v[4:5], off offset:512
	global_load_ushort v8, v[4:5], off offset:1024
	;; [unrolled: 1-line block ×3, first 2 shown]
	s_waitcnt vmcnt(3)
	v_cvt_f32_f16_e32 v4, v6
	s_waitcnt vmcnt(2)
	v_cvt_f32_f16_e32 v5, v7
	;; [unrolled: 2-line block ×4, first 2 shown]
	v_mul_f32_e32 v4, s28, v4
	v_mul_f32_e32 v5, s28, v5
	;; [unrolled: 1-line block ×4, first 2 shown]
	ds_write2st64_b32 v1, v4, v5 offset1:4
	ds_write2st64_b32 v1, v6, v7 offset0:8 offset1:12
.LBB65_60:
	s_or_b64 exec, exec, s[2:3]
	s_mul_hi_u32 s8, s30, s41
	v_cmp_gt_i32_e64 s[0:1], s9, v0
	s_and_saveexec_b64 s[2:3], s[0:1]
	s_cbranch_execz .LBB65_63
; %bb.61:
	v_mov_b32_e32 v4, 0x1000
	v_lshl_add_u32 v4, v0, 2, v4
	s_mov_b64 s[4:5], 0
	v_mov_b32_e32 v5, 0
	v_mov_b32_e32 v6, v0
.LBB65_62:                              ; =>This Inner Loop Header: Depth=1
	v_add_u32_e32 v6, 0x100, v6
	v_cmp_le_i32_e64 s[0:1], s9, v6
	ds_write_b32 v4, v5
	s_or_b64 s[4:5], s[0:1], s[4:5]
	v_add_u32_e32 v4, 0x400, v4
	s_andn2_b64 exec, exec, s[4:5]
	s_cbranch_execnz .LBB65_62
.LBB65_63:
	s_or_b64 exec, exec, s[2:3]
	s_sub_i32 s0, s25, s9
	s_cmp_ge_i32 s25, s9
	s_cselect_b32 s31, s0, 0
	s_waitcnt lgkmcnt(0)
	s_barrier
	s_and_saveexec_b64 s[0:1], vcc
	s_xor_b64 s[4:5], exec, s[0:1]
	s_cbranch_execz .LBB65_82
; %bb.64:
	s_ashr_i32 s1, s25, 31
	s_mov_b32 s0, s25
	s_lshl_b64 s[0:1], s[0:1], 2
	s_add_u32 s0, s16, s0
	s_addc_u32 s1, s17, s1
	s_load_dword s0, s[0:1], 0x0
	s_waitcnt lgkmcnt(0)
	s_sub_i32 s34, s0, s33
	v_cmp_gt_i32_e32 vcc, s34, v0
	s_and_saveexec_b64 s[10:11], vcc
	s_cbranch_execz .LBB65_81
; %bb.65:
	s_add_i32 s35, s25, -1
	s_cmp_gt_i32 s35, s24
	s_cselect_b64 s[2:3], -1, 0
	s_add_i32 s1, s25, -2
	s_cmp_lg_u32 s1, s24
	s_cselect_b64 s[20:21], -1, 0
	s_sub_i32 s36, s0, s26
	s_and_b64 s[0:1], s[2:3], s[20:21]
	v_cndmask_b32_e64 v3, 0, 1, s[0:1]
	s_mov_b32 s37, 0
	s_mov_b64 s[12:13], 0
	v_cmp_ne_u32_e64 s[0:1], 1, v3
	v_mov_b32_e32 v3, s17
	v_mov_b32_e32 v10, s19
	v_mov_b32_e32 v11, s23
	v_mov_b32_e32 v12, 0x1000
	s_branch .LBB65_68
.LBB65_66:                              ;   in Loop: Header=BB65_68 Depth=1
	s_or_b64 exec, exec, s[2:3]
.LBB65_67:                              ;   in Loop: Header=BB65_68 Depth=1
	s_or_b64 exec, exec, s[20:21]
	v_ashrrev_i32_e32 v5, 31, v4
	v_lshlrev_b64 v[4:5], 1, v[4:5]
	v_add_co_u32_e32 v4, vcc, s22, v4
	v_addc_co_u32_e32 v5, vcc, v11, v5, vcc
	global_load_ushort v4, v[4:5], off
	s_addk_i32 s37, 0x100
	v_add_u32_e32 v5, s37, v0
	v_cmp_le_i32_e32 vcc, s34, v5
	s_or_b64 s[12:13], vcc, s[12:13]
	s_waitcnt vmcnt(0)
	v_cvt_f32_f16_e32 v4, v4
	s_waitcnt lgkmcnt(0)
	v_mul_f32_e32 v4, v14, v4
	ds_write_b32 v13, v4
	s_andn2_b64 exec, exec, s[12:13]
	s_cbranch_execz .LBB65_81
.LBB65_68:                              ; =>This Loop Header: Depth=1
                                        ;     Child Loop BB65_70 Depth 2
                                        ;     Child Loop BB65_77 Depth 2
	v_add_u32_e32 v6, s37, v2
	s_and_b64 vcc, exec, s[0:1]
	v_mov_b32_e32 v5, s24
	v_mov_b32_e32 v8, s35
	s_cbranch_vccnz .LBB65_72
; %bb.69:                               ;   in Loop: Header=BB65_68 Depth=1
	s_mov_b64 s[20:21], 0
	v_mov_b32_e32 v5, s24
	v_mov_b32_e32 v8, s35
.LBB65_70:                              ;   Parent Loop BB65_68 Depth=1
                                        ; =>  This Inner Loop Header: Depth=2
	v_add_u32_e32 v4, v8, v5
	v_lshrrev_b32_e32 v9, 31, v4
	v_add_u32_e32 v4, v4, v9
	v_ashrrev_i32_e32 v14, 1, v4
	v_ashrrev_i32_e32 v15, 31, v14
	v_lshlrev_b64 v[16:17], 2, v[14:15]
	v_mov_b32_e32 v7, s17
	v_add_co_u32_e32 v16, vcc, s16, v16
	v_addc_co_u32_e32 v17, vcc, v7, v17, vcc
	global_load_dword v4, v[16:17], off
	s_waitcnt vmcnt(0)
	v_subrev_u32_e32 v4, s26, v4
	v_cmp_gt_i32_e32 vcc, v4, v6
	v_cndmask_b32_e32 v8, v8, v14, vcc
	v_cndmask_b32_e32 v5, v14, v5, vcc
	v_add_u32_e32 v4, -1, v8
	v_cmp_ge_i32_e32 vcc, v5, v8
	v_cmp_eq_u32_e64 s[2:3], v5, v4
	s_or_b64 s[2:3], vcc, s[2:3]
	s_and_b64 s[2:3], exec, s[2:3]
	s_or_b64 s[20:21], s[2:3], s[20:21]
	s_andn2_b64 exec, exec, s[20:21]
	s_cbranch_execnz .LBB65_70
; %bb.71:                               ;   in Loop: Header=BB65_68 Depth=1
	s_or_b64 exec, exec, s[20:21]
.LBB65_72:                              ;   in Loop: Header=BB65_68 Depth=1
	v_ashrrev_i32_e32 v9, 31, v8
	v_lshlrev_b64 v[14:15], 2, v[8:9]
	v_add_co_u32_e32 v14, vcc, s16, v14
	v_addc_co_u32_e32 v15, vcc, v3, v15, vcc
	v_ashrrev_i32_e32 v7, 31, v6
	global_load_dword v4, v[14:15], off
	v_lshlrev_b64 v[14:15], 2, v[6:7]
	v_add_co_u32_e32 v14, vcc, s18, v14
	v_addc_co_u32_e32 v15, vcc, v10, v15, vcc
	global_load_dword v7, v[14:15], off
	v_cmp_le_i32_e32 vcc, s36, v6
	v_lshl_add_u32 v13, s37, 2, v1
                                        ; implicit-def: $vgpr14
	s_waitcnt vmcnt(1)
	v_subrev_u32_e32 v9, s26, v4
	v_cmp_gt_i32_e64 s[2:3], v9, v6
	v_cndmask_b32_e64 v6, v8, v5, s[2:3]
	s_waitcnt vmcnt(0)
	v_subrev_u32_e32 v4, s26, v7
	v_cmp_eq_u32_e64 s[2:3], v4, v6
	s_or_b64 s[2:3], s[2:3], vcc
	s_and_saveexec_b64 s[20:21], s[2:3]
	s_xor_b64 s[2:3], exec, s[20:21]
	s_cbranch_execz .LBB65_74
; %bb.73:                               ;   in Loop: Header=BB65_68 Depth=1
	ds_read_b32 v14, v13
                                        ; implicit-def: $vgpr6
.LBB65_74:                              ;   in Loop: Header=BB65_68 Depth=1
	s_andn2_saveexec_b64 s[20:21], s[2:3]
	s_cbranch_execz .LBB65_67
; %bb.75:                               ;   in Loop: Header=BB65_68 Depth=1
	v_ashrrev_i32_e32 v7, 31, v6
	v_lshlrev_b64 v[6:7], 1, v[6:7]
	v_mov_b32_e32 v5, s23
	v_add_co_u32_e32 v6, vcc, s22, v6
	v_addc_co_u32_e32 v7, vcc, v5, v7, vcc
	global_load_ushort v5, v[6:7], off
	s_waitcnt lgkmcnt(0)
	ds_read_b32 v14, v13
	v_cmp_gt_i32_e32 vcc, s31, v4
	v_cmp_le_i32_e64 s[2:3], s25, v4
	s_or_b64 s[2:3], vcc, s[2:3]
	s_waitcnt vmcnt(0)
	v_cvt_f32_f16_e32 v5, v5
	s_waitcnt lgkmcnt(0)
	v_mul_f32_e32 v15, v14, v5
	s_and_saveexec_b64 s[28:29], s[2:3]
	s_xor_b64 s[2:3], exec, s[28:29]
	s_cbranch_execz .LBB65_79
; %bb.76:                               ;   in Loop: Header=BB65_68 Depth=1
	v_ashrrev_i32_e32 v5, 31, v4
	v_lshlrev_b64 v[6:7], 2, v[4:5]
	v_mov_b32_e32 v5, s15
	v_add_co_u32_e32 v6, vcc, s14, v6
	v_addc_co_u32_e32 v7, vcc, v5, v7, vcc
	global_load_dword v9, v[6:7], off
	s_mov_b64 s[28:29], 0
.LBB65_77:                              ;   Parent Loop BB65_68 Depth=1
                                        ; =>  This Inner Loop Header: Depth=2
	s_waitcnt vmcnt(0)
	v_add_f32_e32 v8, v9, v15
	global_atomic_cmpswap v5, v[6:7], v[8:9], off glc
	s_waitcnt vmcnt(0)
	v_cmp_eq_u32_e32 vcc, v5, v9
	s_or_b64 s[28:29], vcc, s[28:29]
	v_mov_b32_e32 v9, v5
	s_andn2_b64 exec, exec, s[28:29]
	s_cbranch_execnz .LBB65_77
; %bb.78:                               ;   in Loop: Header=BB65_68 Depth=1
	s_or_b64 exec, exec, s[28:29]
                                        ; implicit-def: $vgpr15
.LBB65_79:                              ;   in Loop: Header=BB65_68 Depth=1
	s_andn2_saveexec_b64 s[2:3], s[2:3]
	s_cbranch_execz .LBB65_66
; %bb.80:                               ;   in Loop: Header=BB65_68 Depth=1
	v_subrev_u32_e32 v5, s31, v4
	v_lshl_add_u32 v5, v5, 2, v12
	ds_add_f32 v5, v15
	s_branch .LBB65_66
.LBB65_81:
	s_or_b64 exec, exec, s[10:11]
                                        ; implicit-def: $vgpr12
                                        ; implicit-def: $vgpr2
.LBB65_82:
	s_andn2_saveexec_b64 s[4:5], s[4:5]
	s_cbranch_execz .LBB65_148
; %bb.83:
	s_add_i32 s28, s25, -1
	s_cmp_le_i32 s28, s24
	s_cselect_b64 s[0:1], -1, 0
	s_add_i32 s2, s25, -2
	s_cmp_eq_u32 s2, s24
	s_cselect_b64 s[2:3], -1, 0
	s_or_b64 s[2:3], s[0:1], s[2:3]
	s_and_b64 vcc, exec, s[2:3]
	v_mov_b32_e32 v8, s24
	v_mov_b32_e32 v6, s28
	s_cbranch_vccnz .LBB65_87
; %bb.84:
	s_mov_b64 s[10:11], 0
	v_mov_b32_e32 v8, s24
	v_mov_b32_e32 v6, s28
	v_mov_b32_e32 v4, s17
.LBB65_85:                              ; =>This Inner Loop Header: Depth=1
	v_add_u32_e32 v5, v6, v8
	v_lshrrev_b32_e32 v7, 31, v5
	v_add_u32_e32 v5, v5, v7
	v_ashrrev_i32_e32 v10, 1, v5
	v_ashrrev_i32_e32 v11, 31, v10
	v_lshlrev_b64 v[14:15], 2, v[10:11]
	v_add_co_u32_e32 v14, vcc, s16, v14
	v_addc_co_u32_e32 v15, vcc, v4, v15, vcc
	global_load_dword v5, v[14:15], off
	s_waitcnt vmcnt(0)
	v_subrev_u32_e32 v5, s26, v5
	v_cmp_gt_i32_e32 vcc, v5, v2
	v_cndmask_b32_e32 v6, v6, v10, vcc
	v_cndmask_b32_e32 v8, v10, v8, vcc
	v_add_u32_e32 v5, -1, v6
	v_cmp_ge_i32_e32 vcc, v8, v6
	v_cmp_eq_u32_e64 s[0:1], v8, v5
	s_or_b64 s[0:1], vcc, s[0:1]
	s_and_b64 s[0:1], exec, s[0:1]
	s_or_b64 s[10:11], s[0:1], s[10:11]
	s_andn2_b64 exec, exec, s[10:11]
	s_cbranch_execnz .LBB65_85
; %bb.86:
	s_or_b64 exec, exec, s[10:11]
.LBB65_87:
	v_ashrrev_i32_e32 v7, 31, v6
	v_lshlrev_b64 v[4:5], 2, v[6:7]
	v_mov_b32_e32 v7, s17
	v_add_co_u32_e32 v4, vcc, s16, v4
	v_addc_co_u32_e32 v5, vcc, v7, v5, vcc
	global_load_dword v7, v[4:5], off
	v_lshlrev_b64 v[4:5], 2, v[2:3]
	v_mov_b32_e32 v3, s19
	v_add_co_u32_e32 v4, vcc, s18, v4
	v_addc_co_u32_e32 v5, vcc, v3, v5, vcc
	global_load_dword v3, v[4:5], off
	s_ashr_i32 s1, s25, 31
	s_mov_b32 s0, s25
	s_xor_b64 s[2:3], s[2:3], -1
	s_lshl_b64 s[0:1], s[0:1], 2
	s_add_u32 s10, s16, s0
	s_addc_u32 s11, s17, s1
	s_waitcnt vmcnt(1)
	v_subrev_u32_e32 v7, s26, v7
	v_cmp_gt_i32_e32 vcc, v7, v2
	v_cndmask_b32_e32 v8, v6, v8, vcc
	s_waitcnt vmcnt(0)
	v_subrev_u32_e32 v6, s26, v3
	v_cmp_ne_u32_e32 vcc, v6, v8
                                        ; implicit-def: $vgpr3
	s_and_saveexec_b64 s[0:1], vcc
	s_xor_b64 s[12:13], exec, s[0:1]
	s_cbranch_execz .LBB65_97
; %bb.88:
	s_load_dword s0, s[10:11], 0x0
	ds_read_b32 v3, v1
	s_waitcnt lgkmcnt(0)
	s_sub_i32 s0, s0, s26
	v_cmp_gt_i32_e32 vcc, s0, v2
	s_and_saveexec_b64 s[18:19], vcc
	s_cbranch_execz .LBB65_96
; %bb.89:
	v_ashrrev_i32_e32 v9, 31, v8
	v_lshlrev_b64 v[8:9], 1, v[8:9]
	v_mov_b32_e32 v7, s23
	v_add_co_u32_e32 v8, vcc, s22, v8
	v_addc_co_u32_e32 v9, vcc, v7, v9, vcc
	global_load_ushort v7, v[8:9], off
	v_cmp_gt_i32_e32 vcc, s31, v6
	v_cmp_le_i32_e64 s[0:1], s25, v6
	s_or_b64 s[0:1], vcc, s[0:1]
	s_waitcnt vmcnt(0)
	v_cvt_f32_f16_e32 v7, v7
	v_mul_f32_e32 v13, v3, v7
	s_and_saveexec_b64 s[20:21], s[0:1]
	s_xor_b64 s[0:1], exec, s[20:21]
	s_cbranch_execz .LBB65_93
; %bb.90:
	v_ashrrev_i32_e32 v7, 31, v6
	v_lshlrev_b64 v[8:9], 2, v[6:7]
	v_mov_b32_e32 v7, s15
	v_add_co_u32_e32 v8, vcc, s14, v8
	v_addc_co_u32_e32 v9, vcc, v7, v9, vcc
	global_load_dword v11, v[8:9], off
	s_mov_b64 s[20:21], 0
.LBB65_91:                              ; =>This Inner Loop Header: Depth=1
	s_waitcnt vmcnt(0)
	v_add_f32_e32 v10, v11, v13
	global_atomic_cmpswap v7, v[8:9], v[10:11], off glc
	s_waitcnt vmcnt(0)
	v_cmp_eq_u32_e32 vcc, v7, v11
	s_or_b64 s[20:21], vcc, s[20:21]
	v_mov_b32_e32 v11, v7
	s_andn2_b64 exec, exec, s[20:21]
	s_cbranch_execnz .LBB65_91
; %bb.92:
	s_or_b64 exec, exec, s[20:21]
                                        ; implicit-def: $vgpr13
.LBB65_93:
	s_andn2_saveexec_b64 s[0:1], s[0:1]
	s_cbranch_execz .LBB65_95
; %bb.94:
	v_subrev_u32_e32 v7, s31, v6
	v_mov_b32_e32 v8, 0x1000
	v_lshl_add_u32 v7, v7, 2, v8
	ds_add_f32 v7, v13
.LBB65_95:
	s_or_b64 exec, exec, s[0:1]
.LBB65_96:
	s_or_b64 exec, exec, s[18:19]
.LBB65_97:
	s_andn2_saveexec_b64 s[0:1], s[12:13]
	s_cbranch_execz .LBB65_99
; %bb.98:
	ds_read_b32 v3, v1
.LBB65_99:
	s_or_b64 exec, exec, s[0:1]
	v_ashrrev_i32_e32 v7, 31, v6
	v_lshlrev_b64 v[6:7], 1, v[6:7]
	v_mov_b32_e32 v8, s23
	v_add_co_u32_e32 v6, vcc, s22, v6
	v_addc_co_u32_e32 v7, vcc, v8, v7, vcc
	global_load_ushort v6, v[6:7], off
	v_cndmask_b32_e64 v7, 0, 1, s[2:3]
	v_add_u32_e32 v9, 0x100, v2
	v_mov_b32_e32 v8, s24
	v_cmp_ne_u32_e64 s[0:1], 1, v7
	s_andn2_b64 vcc, exec, s[2:3]
	s_waitcnt vmcnt(0)
	v_cvt_f32_f16_e32 v6, v6
	s_waitcnt lgkmcnt(0)
	v_mul_f32_e32 v3, v3, v6
	v_mov_b32_e32 v6, s28
	ds_write_b32 v1, v3
	s_cbranch_vccnz .LBB65_103
; %bb.100:
	s_mov_b64 s[12:13], 0
	v_mov_b32_e32 v8, s24
	v_mov_b32_e32 v6, s28
	;; [unrolled: 1-line block ×3, first 2 shown]
.LBB65_101:                             ; =>This Inner Loop Header: Depth=1
	v_add_u32_e32 v7, v6, v8
	v_lshrrev_b32_e32 v10, 31, v7
	v_add_u32_e32 v7, v7, v10
	v_ashrrev_i32_e32 v10, 1, v7
	v_ashrrev_i32_e32 v11, 31, v10
	v_lshlrev_b64 v[14:15], 2, v[10:11]
	v_add_co_u32_e32 v14, vcc, s16, v14
	v_addc_co_u32_e32 v15, vcc, v3, v15, vcc
	global_load_dword v7, v[14:15], off
	s_waitcnt vmcnt(0)
	v_subrev_u32_e32 v7, s26, v7
	v_cmp_gt_i32_e32 vcc, v7, v9
	v_cndmask_b32_e32 v6, v6, v10, vcc
	v_cndmask_b32_e32 v8, v10, v8, vcc
	v_add_u32_e32 v7, -1, v6
	v_cmp_ge_i32_e32 vcc, v8, v6
	v_cmp_eq_u32_e64 s[2:3], v8, v7
	s_or_b64 s[2:3], vcc, s[2:3]
	s_and_b64 s[2:3], exec, s[2:3]
	s_or_b64 s[12:13], s[2:3], s[12:13]
	s_andn2_b64 exec, exec, s[12:13]
	s_cbranch_execnz .LBB65_101
; %bb.102:
	s_or_b64 exec, exec, s[12:13]
.LBB65_103:
	v_ashrrev_i32_e32 v7, 31, v6
	v_lshlrev_b64 v[10:11], 2, v[6:7]
	v_mov_b32_e32 v3, s17
	v_add_co_u32_e32 v10, vcc, s16, v10
	v_addc_co_u32_e32 v11, vcc, v3, v11, vcc
	global_load_dword v3, v[10:11], off
	global_load_dword v7, v[4:5], off offset:1024
	s_waitcnt vmcnt(1)
	v_subrev_u32_e32 v3, s26, v3
	v_cmp_gt_i32_e32 vcc, v3, v9
	v_cndmask_b32_e32 v8, v6, v8, vcc
	s_waitcnt vmcnt(0)
	v_subrev_u32_e32 v6, s26, v7
	v_cmp_ne_u32_e32 vcc, v6, v8
                                        ; implicit-def: $vgpr3
	s_and_saveexec_b64 s[2:3], vcc
	s_xor_b64 s[12:13], exec, s[2:3]
	s_cbranch_execz .LBB65_113
; %bb.104:
	s_load_dword s2, s[10:11], 0x0
	ds_read_b32 v3, v1 offset:1024
	s_waitcnt lgkmcnt(0)
	s_sub_i32 s2, s2, s26
	v_cmp_gt_i32_e32 vcc, s2, v9
	s_and_saveexec_b64 s[18:19], vcc
	s_cbranch_execz .LBB65_112
; %bb.105:
	v_ashrrev_i32_e32 v9, 31, v8
	v_lshlrev_b64 v[8:9], 1, v[8:9]
	v_mov_b32_e32 v7, s23
	v_add_co_u32_e32 v8, vcc, s22, v8
	v_addc_co_u32_e32 v9, vcc, v7, v9, vcc
	global_load_ushort v7, v[8:9], off
	v_cmp_gt_i32_e32 vcc, s31, v6
	v_cmp_le_i32_e64 s[2:3], s25, v6
	s_or_b64 s[2:3], vcc, s[2:3]
	s_waitcnt vmcnt(0)
	v_cvt_f32_f16_e32 v7, v7
	v_mul_f32_e32 v13, v3, v7
	s_and_saveexec_b64 s[20:21], s[2:3]
	s_xor_b64 s[2:3], exec, s[20:21]
	s_cbranch_execz .LBB65_109
; %bb.106:
	v_ashrrev_i32_e32 v7, 31, v6
	v_lshlrev_b64 v[8:9], 2, v[6:7]
	v_mov_b32_e32 v7, s15
	v_add_co_u32_e32 v8, vcc, s14, v8
	v_addc_co_u32_e32 v9, vcc, v7, v9, vcc
	global_load_dword v11, v[8:9], off
	s_mov_b64 s[20:21], 0
.LBB65_107:                             ; =>This Inner Loop Header: Depth=1
	s_waitcnt vmcnt(0)
	v_add_f32_e32 v10, v11, v13
	global_atomic_cmpswap v7, v[8:9], v[10:11], off glc
	s_waitcnt vmcnt(0)
	v_cmp_eq_u32_e32 vcc, v7, v11
	s_or_b64 s[20:21], vcc, s[20:21]
	v_mov_b32_e32 v11, v7
	s_andn2_b64 exec, exec, s[20:21]
	s_cbranch_execnz .LBB65_107
; %bb.108:
	s_or_b64 exec, exec, s[20:21]
                                        ; implicit-def: $vgpr13
.LBB65_109:
	s_andn2_saveexec_b64 s[2:3], s[2:3]
	s_cbranch_execz .LBB65_111
; %bb.110:
	v_subrev_u32_e32 v7, s31, v6
	v_mov_b32_e32 v8, 0x1000
	v_lshl_add_u32 v7, v7, 2, v8
	ds_add_f32 v7, v13
.LBB65_111:
	s_or_b64 exec, exec, s[2:3]
.LBB65_112:
	s_or_b64 exec, exec, s[18:19]
.LBB65_113:
	s_andn2_saveexec_b64 s[2:3], s[12:13]
	s_cbranch_execz .LBB65_115
; %bb.114:
	ds_read_b32 v3, v1 offset:1024
.LBB65_115:
	s_or_b64 exec, exec, s[2:3]
	v_ashrrev_i32_e32 v7, 31, v6
	v_lshlrev_b64 v[6:7], 1, v[6:7]
	v_mov_b32_e32 v8, s23
	v_add_co_u32_e32 v6, vcc, s22, v6
	v_addc_co_u32_e32 v7, vcc, v8, v7, vcc
	global_load_ushort v6, v[6:7], off
	v_add_u32_e32 v7, 0x200, v2
	s_and_b64 vcc, exec, s[0:1]
	s_waitcnt vmcnt(0)
	v_cvt_f32_f16_e32 v8, v6
	v_mov_b32_e32 v6, s24
	s_waitcnt lgkmcnt(0)
	v_mul_f32_e32 v2, v3, v8
	ds_write_b32 v1, v2 offset:1024
	v_mov_b32_e32 v2, s28
	s_cbranch_vccnz .LBB65_119
; %bb.116:
	s_mov_b64 s[12:13], 0
	v_mov_b32_e32 v6, s24
	v_mov_b32_e32 v2, s28
	;; [unrolled: 1-line block ×3, first 2 shown]
.LBB65_117:                             ; =>This Inner Loop Header: Depth=1
	v_add_u32_e32 v8, v2, v6
	v_lshrrev_b32_e32 v9, 31, v8
	v_add_u32_e32 v8, v8, v9
	v_ashrrev_i32_e32 v8, 1, v8
	v_ashrrev_i32_e32 v9, 31, v8
	v_lshlrev_b64 v[10:11], 2, v[8:9]
	v_add_co_u32_e32 v10, vcc, s16, v10
	v_addc_co_u32_e32 v11, vcc, v3, v11, vcc
	global_load_dword v9, v[10:11], off
	s_waitcnt vmcnt(0)
	v_subrev_u32_e32 v9, s26, v9
	v_cmp_gt_i32_e32 vcc, v9, v7
	v_cndmask_b32_e32 v2, v2, v8, vcc
	v_cndmask_b32_e32 v6, v8, v6, vcc
	v_add_u32_e32 v8, -1, v2
	v_cmp_ge_i32_e32 vcc, v6, v2
	v_cmp_eq_u32_e64 s[2:3], v6, v8
	s_or_b64 s[2:3], vcc, s[2:3]
	s_and_b64 s[2:3], exec, s[2:3]
	s_or_b64 s[12:13], s[2:3], s[12:13]
	s_andn2_b64 exec, exec, s[12:13]
	s_cbranch_execnz .LBB65_117
; %bb.118:
	s_or_b64 exec, exec, s[12:13]
.LBB65_119:
	v_ashrrev_i32_e32 v3, 31, v2
	v_lshlrev_b64 v[8:9], 2, v[2:3]
	v_mov_b32_e32 v3, s17
	v_add_co_u32_e32 v8, vcc, s16, v8
	v_addc_co_u32_e32 v9, vcc, v3, v9, vcc
	global_load_dword v3, v[8:9], off
	global_load_dword v10, v[4:5], off offset:2048
	s_waitcnt vmcnt(1)
	v_subrev_u32_e32 v3, s26, v3
	v_cmp_gt_i32_e32 vcc, v3, v7
	v_cndmask_b32_e32 v6, v2, v6, vcc
	s_waitcnt vmcnt(0)
	v_subrev_u32_e32 v2, s26, v10
	v_cmp_ne_u32_e32 vcc, v2, v6
                                        ; implicit-def: $vgpr10
	s_and_saveexec_b64 s[2:3], vcc
	s_xor_b64 s[12:13], exec, s[2:3]
	s_cbranch_execz .LBB65_129
; %bb.120:
	s_load_dword s2, s[10:11], 0x0
	ds_read_b32 v10, v1 offset:2048
	s_waitcnt lgkmcnt(0)
	s_sub_i32 s2, s2, s26
	v_cmp_gt_i32_e32 vcc, s2, v7
	s_and_saveexec_b64 s[18:19], vcc
	s_cbranch_execz .LBB65_128
; %bb.121:
	v_ashrrev_i32_e32 v7, 31, v6
	v_lshlrev_b64 v[6:7], 1, v[6:7]
	v_mov_b32_e32 v3, s23
	v_add_co_u32_e32 v6, vcc, s22, v6
	v_addc_co_u32_e32 v7, vcc, v3, v7, vcc
	global_load_ushort v3, v[6:7], off
	v_cmp_gt_i32_e32 vcc, s31, v2
	v_cmp_le_i32_e64 s[2:3], s25, v2
	s_or_b64 s[2:3], vcc, s[2:3]
	s_waitcnt vmcnt(0)
	v_cvt_f32_f16_e32 v3, v3
	v_mul_f32_e32 v11, v10, v3
	s_and_saveexec_b64 s[20:21], s[2:3]
	s_xor_b64 s[2:3], exec, s[20:21]
	s_cbranch_execz .LBB65_125
; %bb.122:
	v_ashrrev_i32_e32 v3, 31, v2
	v_lshlrev_b64 v[6:7], 2, v[2:3]
	v_mov_b32_e32 v3, s15
	v_add_co_u32_e32 v6, vcc, s14, v6
	v_addc_co_u32_e32 v7, vcc, v3, v7, vcc
	global_load_dword v9, v[6:7], off
	s_mov_b64 s[20:21], 0
.LBB65_123:                             ; =>This Inner Loop Header: Depth=1
	s_waitcnt vmcnt(0)
	v_add_f32_e32 v8, v9, v11
	global_atomic_cmpswap v3, v[6:7], v[8:9], off glc
	s_waitcnt vmcnt(0)
	v_cmp_eq_u32_e32 vcc, v3, v9
	s_or_b64 s[20:21], vcc, s[20:21]
	v_mov_b32_e32 v9, v3
	s_andn2_b64 exec, exec, s[20:21]
	s_cbranch_execnz .LBB65_123
; %bb.124:
	s_or_b64 exec, exec, s[20:21]
                                        ; implicit-def: $vgpr11
.LBB65_125:
	s_andn2_saveexec_b64 s[2:3], s[2:3]
	s_cbranch_execz .LBB65_127
; %bb.126:
	v_subrev_u32_e32 v3, s31, v2
	v_mov_b32_e32 v6, 0x1000
	v_lshl_add_u32 v3, v3, 2, v6
	ds_add_f32 v3, v11
.LBB65_127:
	s_or_b64 exec, exec, s[2:3]
.LBB65_128:
	s_or_b64 exec, exec, s[18:19]
.LBB65_129:
	s_andn2_saveexec_b64 s[2:3], s[12:13]
	s_cbranch_execz .LBB65_131
; %bb.130:
	ds_read_b32 v10, v1 offset:2048
.LBB65_131:
	s_or_b64 exec, exec, s[2:3]
	v_ashrrev_i32_e32 v3, 31, v2
	v_lshlrev_b64 v[2:3], 1, v[2:3]
	v_mov_b32_e32 v6, s23
	v_add_co_u32_e32 v2, vcc, s22, v2
	v_addc_co_u32_e32 v3, vcc, v6, v3, vcc
	global_load_ushort v2, v[2:3], off
	s_and_b64 vcc, exec, s[0:1]
	v_mov_b32_e32 v6, s24
	s_waitcnt vmcnt(0)
	v_cvt_f32_f16_e32 v2, v2
	s_waitcnt lgkmcnt(0)
	v_mul_f32_e32 v2, v10, v2
	ds_write_b32 v1, v2 offset:2048
	v_mov_b32_e32 v2, s28
	s_cbranch_vccnz .LBB65_135
; %bb.132:
	s_mov_b64 s[2:3], 0
	v_mov_b32_e32 v6, s24
	v_mov_b32_e32 v2, s28
	;; [unrolled: 1-line block ×3, first 2 shown]
.LBB65_133:                             ; =>This Inner Loop Header: Depth=1
	v_add_u32_e32 v7, v2, v6
	v_lshrrev_b32_e32 v8, 31, v7
	v_add_u32_e32 v7, v7, v8
	v_ashrrev_i32_e32 v8, 1, v7
	v_ashrrev_i32_e32 v9, 31, v8
	v_lshlrev_b64 v[10:11], 2, v[8:9]
	v_add_co_u32_e32 v10, vcc, s16, v10
	v_addc_co_u32_e32 v11, vcc, v3, v11, vcc
	global_load_dword v7, v[10:11], off
	s_waitcnt vmcnt(0)
	v_subrev_u32_e32 v7, s26, v7
	v_cmp_gt_i32_e32 vcc, v7, v12
	v_cndmask_b32_e32 v2, v2, v8, vcc
	v_cndmask_b32_e32 v6, v8, v6, vcc
	v_add_u32_e32 v7, -1, v2
	v_cmp_ge_i32_e32 vcc, v6, v2
	v_cmp_eq_u32_e64 s[0:1], v6, v7
	s_or_b64 s[0:1], vcc, s[0:1]
	s_and_b64 s[0:1], exec, s[0:1]
	s_or_b64 s[2:3], s[0:1], s[2:3]
	s_andn2_b64 exec, exec, s[2:3]
	s_cbranch_execnz .LBB65_133
; %bb.134:
	s_or_b64 exec, exec, s[2:3]
.LBB65_135:
	v_ashrrev_i32_e32 v3, 31, v2
	v_lshlrev_b64 v[8:9], 2, v[2:3]
	v_mov_b32_e32 v3, s17
	v_add_co_u32_e32 v8, vcc, s16, v8
	v_addc_co_u32_e32 v9, vcc, v3, v9, vcc
	global_load_dword v3, v[8:9], off
	global_load_dword v7, v[4:5], off offset:3072
                                        ; implicit-def: $vgpr8
	s_waitcnt vmcnt(1)
	v_subrev_u32_e32 v3, s26, v3
	v_cmp_gt_i32_e32 vcc, v3, v12
	v_cndmask_b32_e32 v4, v2, v6, vcc
	s_waitcnt vmcnt(0)
	v_subrev_u32_e32 v2, s26, v7
	v_cmp_ne_u32_e32 vcc, v2, v4
	s_and_saveexec_b64 s[0:1], vcc
	s_xor_b64 s[2:3], exec, s[0:1]
	s_cbranch_execz .LBB65_145
; %bb.136:
	s_load_dword s0, s[10:11], 0x0
	ds_read_b32 v8, v1 offset:3072
	s_waitcnt lgkmcnt(0)
	s_sub_i32 s0, s0, s26
	v_cmp_gt_i32_e32 vcc, s0, v12
	s_and_saveexec_b64 s[10:11], vcc
	s_cbranch_execz .LBB65_144
; %bb.137:
	v_ashrrev_i32_e32 v5, 31, v4
	v_lshlrev_b64 v[4:5], 1, v[4:5]
	v_mov_b32_e32 v3, s23
	v_add_co_u32_e32 v4, vcc, s22, v4
	v_addc_co_u32_e32 v5, vcc, v3, v5, vcc
	global_load_ushort v3, v[4:5], off
	v_cmp_gt_i32_e32 vcc, s31, v2
	v_cmp_le_i32_e64 s[0:1], s25, v2
	s_or_b64 s[0:1], vcc, s[0:1]
	s_waitcnt vmcnt(0)
	v_cvt_f32_f16_e32 v3, v3
	v_mul_f32_e32 v9, v8, v3
	s_and_saveexec_b64 s[12:13], s[0:1]
	s_xor_b64 s[0:1], exec, s[12:13]
	s_cbranch_execz .LBB65_141
; %bb.138:
	v_ashrrev_i32_e32 v3, 31, v2
	v_lshlrev_b64 v[4:5], 2, v[2:3]
	v_mov_b32_e32 v3, s15
	v_add_co_u32_e32 v4, vcc, s14, v4
	v_addc_co_u32_e32 v5, vcc, v3, v5, vcc
	global_load_dword v7, v[4:5], off
	s_mov_b64 s[12:13], 0
.LBB65_139:                             ; =>This Inner Loop Header: Depth=1
	s_waitcnt vmcnt(0)
	v_add_f32_e32 v6, v7, v9
	global_atomic_cmpswap v3, v[4:5], v[6:7], off glc
	s_waitcnt vmcnt(0)
	v_cmp_eq_u32_e32 vcc, v3, v7
	s_or_b64 s[12:13], vcc, s[12:13]
	v_mov_b32_e32 v7, v3
	s_andn2_b64 exec, exec, s[12:13]
	s_cbranch_execnz .LBB65_139
; %bb.140:
	s_or_b64 exec, exec, s[12:13]
                                        ; implicit-def: $vgpr9
.LBB65_141:
	s_andn2_saveexec_b64 s[0:1], s[0:1]
	s_cbranch_execz .LBB65_143
; %bb.142:
	v_subrev_u32_e32 v3, s31, v2
	v_mov_b32_e32 v4, 0x1000
	v_lshl_add_u32 v3, v3, 2, v4
	ds_add_f32 v3, v9
.LBB65_143:
	s_or_b64 exec, exec, s[0:1]
.LBB65_144:
	s_or_b64 exec, exec, s[10:11]
.LBB65_145:
	s_andn2_saveexec_b64 s[0:1], s[2:3]
	s_cbranch_execz .LBB65_147
; %bb.146:
	ds_read_b32 v8, v1 offset:3072
.LBB65_147:
	s_or_b64 exec, exec, s[0:1]
	v_ashrrev_i32_e32 v3, 31, v2
	v_lshlrev_b64 v[2:3], 1, v[2:3]
	v_mov_b32_e32 v4, s23
	v_add_co_u32_e32 v2, vcc, s22, v2
	v_addc_co_u32_e32 v3, vcc, v4, v3, vcc
	global_load_ushort v2, v[2:3], off
	s_waitcnt vmcnt(0)
	v_cvt_f32_f16_e32 v2, v2
	s_waitcnt lgkmcnt(0)
	v_mul_f32_e32 v2, v8, v2
	ds_write_b32 v1, v2 offset:3072
.LBB65_148:
	s_or_b64 exec, exec, s[4:5]
	s_min_i32 s9, s25, s9
	s_sub_i32 s10, s9, s27
	v_cmp_gt_i32_e32 vcc, s10, v0
	s_waitcnt lgkmcnt(0)
	s_barrier
	s_and_saveexec_b64 s[0:1], vcc
	s_cbranch_execz .LBB65_153
; %bb.149:
	s_mov_b64 s[2:3], 0
	v_mov_b32_e32 v6, s15
	v_mov_b32_e32 v7, 0x1000
	;; [unrolled: 1-line block ×3, first 2 shown]
.LBB65_150:                             ; =>This Loop Header: Depth=1
                                        ;     Child Loop BB65_151 Depth 2
	v_add_u32_e32 v2, s31, v8
	v_ashrrev_i32_e32 v3, 31, v2
	v_lshlrev_b64 v[2:3], 2, v[2:3]
	v_add_co_u32_e32 v2, vcc, s14, v2
	v_addc_co_u32_e32 v3, vcc, v6, v3, vcc
	global_load_dword v5, v[2:3], off
	v_lshl_add_u32 v4, v8, 2, v7
	ds_read_b32 v9, v4
	s_mov_b64 s[4:5], 0
.LBB65_151:                             ;   Parent Loop BB65_150 Depth=1
                                        ; =>  This Inner Loop Header: Depth=2
	s_waitcnt vmcnt(0) lgkmcnt(0)
	v_add_f32_e32 v4, v5, v9
	global_atomic_cmpswap v4, v[2:3], v[4:5], off glc
	s_waitcnt vmcnt(0)
	v_cmp_eq_u32_e32 vcc, v4, v5
	s_or_b64 s[4:5], vcc, s[4:5]
	v_mov_b32_e32 v5, v4
	s_andn2_b64 exec, exec, s[4:5]
	s_cbranch_execnz .LBB65_151
; %bb.152:                              ;   in Loop: Header=BB65_150 Depth=1
	s_or_b64 exec, exec, s[4:5]
	v_add_u32_e32 v8, 0x100, v8
	v_cmp_le_i32_e32 vcc, s10, v8
	s_or_b64 s[2:3], vcc, s[2:3]
	s_andn2_b64 exec, exec, s[2:3]
	s_cbranch_execnz .LBB65_150
.LBB65_153:
	s_or_b64 exec, exec, s[0:1]
	s_mul_i32 s0, s8, s27
	s_sub_i32 s0, s30, s0
	s_add_i32 s1, s8, 1
	s_sub_i32 s2, s0, s27
	s_cmp_ge_u32 s0, s27
	s_cselect_b32 s1, s1, s8
	s_cselect_b32 s0, s2, s0
	s_add_i32 s2, s1, 1
	s_cmp_ge_u32 s0, s27
	s_cselect_b32 s0, s2, s1
	s_add_i32 s0, s0, -1
	s_ashr_i32 s1, s0, 1
	s_or_b32 s0, s1, s0
	s_ashr_i32 s1, s0, 2
	s_or_b32 s0, s1, s0
	;; [unrolled: 2-line block ×5, first 2 shown]
	s_add_i32 s11, s11, 1
	s_ashr_i32 s12, s11, 1
	v_add_u32_e32 v2, s24, v0
	s_cmp_gt_i32 s12, 1
	s_mov_b64 s[0:1], -1
	s_barrier
	s_cbranch_scc1 .LBB65_164
; %bb.154:
	v_cmp_gt_i32_e32 vcc, s25, v2
	s_and_saveexec_b64 s[0:1], vcc
	s_cbranch_execz .LBB65_163
; %bb.155:
	s_sub_i32 s2, s9, s25
	s_lshl_b32 s2, s2, 2
	s_add_i32 s13, s2, 0x1000
	s_lshl_b32 s2, s33, 2
	s_sub_i32 s18, 0, s2
	s_mov_b64 s[2:3], 0
	v_mov_b32_e32 v3, s17
	v_mov_b32_e32 v10, s15
	;; [unrolled: 1-line block ×3, first 2 shown]
.LBB65_156:                             ; =>This Loop Header: Depth=1
                                        ;     Child Loop BB65_158 Depth 2
                                        ;     Child Loop BB65_161 Depth 2
	v_ashrrev_i32_e32 v5, 31, v4
	v_lshlrev_b64 v[6:7], 2, v[4:5]
	v_add_co_u32_e32 v8, vcc, s16, v6
	v_addc_co_u32_e32 v9, vcc, v3, v7, vcc
	global_load_dwordx2 v[8:9], v[8:9], off
	v_mov_b32_e32 v5, 0
	s_waitcnt vmcnt(0)
	v_cmp_lt_i32_e32 vcc, v8, v9
	s_and_saveexec_b64 s[4:5], vcc
	s_cbranch_execz .LBB65_160
; %bb.157:                              ;   in Loop: Header=BB65_156 Depth=1
	v_subrev_u32_e32 v9, s33, v9
	v_subrev_u32_e32 v11, s33, v8
	v_lshl_add_u32 v8, v8, 2, s18
	s_mov_b64 s[8:9], 0
	v_mov_b32_e32 v5, 0
.LBB65_158:                             ;   Parent Loop BB65_156 Depth=1
                                        ; =>  This Inner Loop Header: Depth=2
	ds_read_b32 v12, v8
	v_add_u32_e32 v11, 1, v11
	v_cmp_ge_i32_e32 vcc, v11, v9
	v_add_u32_e32 v8, 4, v8
	s_or_b64 s[8:9], vcc, s[8:9]
	s_waitcnt lgkmcnt(0)
	v_add_f32_e32 v5, v5, v12
	s_andn2_b64 exec, exec, s[8:9]
	s_cbranch_execnz .LBB65_158
; %bb.159:                              ;   in Loop: Header=BB65_156 Depth=1
	s_or_b64 exec, exec, s[8:9]
.LBB65_160:                             ;   in Loop: Header=BB65_156 Depth=1
	s_or_b64 exec, exec, s[4:5]
	v_add_co_u32_e32 v6, vcc, s14, v6
	v_addc_co_u32_e32 v7, vcc, v10, v7, vcc
	global_load_dword v9, v[6:7], off
	v_lshl_add_u32 v8, v4, 2, s13
	ds_read_b32 v8, v8
	s_mov_b64 s[4:5], 0
	s_waitcnt lgkmcnt(0)
	v_add_f32_e32 v5, v5, v8
.LBB65_161:                             ;   Parent Loop BB65_156 Depth=1
                                        ; =>  This Inner Loop Header: Depth=2
	s_waitcnt vmcnt(0)
	v_add_f32_e32 v8, v9, v5
	global_atomic_cmpswap v8, v[6:7], v[8:9], off glc
	s_waitcnt vmcnt(0)
	v_cmp_eq_u32_e32 vcc, v8, v9
	s_or_b64 s[4:5], vcc, s[4:5]
	v_mov_b32_e32 v9, v8
	s_andn2_b64 exec, exec, s[4:5]
	s_cbranch_execnz .LBB65_161
; %bb.162:                              ;   in Loop: Header=BB65_156 Depth=1
	s_or_b64 exec, exec, s[4:5]
	v_add_u32_e32 v4, s30, v4
	v_cmp_le_i32_e32 vcc, s25, v4
	s_or_b64 s[2:3], vcc, s[2:3]
	s_andn2_b64 exec, exec, s[2:3]
	s_cbranch_execnz .LBB65_156
.LBB65_163:
	s_or_b64 exec, exec, s[0:1]
	s_mov_b64 s[0:1], 0
.LBB65_164:
	s_andn2_b64 vcc, exec, s[0:1]
	s_cbranch_vccnz .LBB65_189
; %bb.165:
	v_cvt_f32_u32_e32 v3, s12
	s_sub_i32 s0, 0, s12
	v_mov_b32_e32 v8, 0
	v_rcp_iflag_f32_e32 v3, v3
	v_mul_f32_e32 v3, 0x4f7ffffe, v3
	v_cvt_u32_f32_e32 v3, v3
	v_mul_lo_u32 v4, s0, v3
	v_mul_hi_u32 v4, v3, v4
	v_add_u32_e32 v3, v3, v4
	v_mul_hi_u32 v3, v0, v3
	v_mul_lo_u32 v4, v3, s12
	v_sub_u32_e32 v4, v0, v4
	v_add_u32_e32 v5, 1, v3
	v_cmp_le_u32_e32 vcc, s12, v4
	v_cndmask_b32_e32 v3, v3, v5, vcc
	v_subrev_u32_e32 v5, s12, v4
	v_cndmask_b32_e32 v4, v4, v5, vcc
	v_add_u32_e32 v5, 1, v3
	v_cmp_le_u32_e32 vcc, s12, v4
	v_cndmask_b32_e32 v3, v3, v5, vcc
	v_lshlrev_b32_e32 v4, 2, v3
	global_load_dwordx2 v[6:7], v4, s[6:7]
	v_cmp_gt_i32_e32 vcc, s27, v3
	s_and_saveexec_b64 s[0:1], vcc
	s_cbranch_execz .LBB65_179
; %bb.166:
	s_abs_i32 s4, s12
	v_cvt_f32_u32_e32 v5, s4
	s_waitcnt vmcnt(0)
	v_subrev_u32_e32 v4, s33, v6
	v_subrev_u32_e32 v3, s33, v7
	v_sub_u32_e32 v7, v3, v4
	v_rcp_iflag_f32_e32 v5, v5
	s_sub_i32 s2, 0, s4
	v_sub_u32_e32 v8, 0, v7
	v_ashrrev_i32_e32 v10, 31, v7
	v_mul_f32_e32 v5, 0x4f7ffffe, v5
	v_cvt_u32_f32_e32 v5, v5
	v_max_i32_e32 v7, v7, v8
	s_ashr_i32 s5, s12, 31
	v_mul_lo_u32 v8, s2, v5
	v_mul_hi_u32 v8, v5, v8
	v_add_u32_e32 v5, v5, v8
	v_mad_u64_u32 v[8:9], s[2:3], v7, v5, 0
	v_mul_lo_u32 v8, v9, s4
	v_sub_u32_e32 v7, v7, v8
	v_add_u32_e32 v8, 1, v9
	v_cmp_le_u32_e32 vcc, s4, v7
	v_cndmask_b32_e32 v8, v9, v8, vcc
	v_subrev_u32_e32 v9, s4, v7
	v_cndmask_b32_e32 v7, v7, v9, vcc
	v_add_u32_e32 v9, 1, v8
	v_cmp_le_u32_e32 vcc, s4, v7
	v_xor_b32_e32 v5, s5, v10
	v_cndmask_b32_e32 v7, v8, v9, vcc
	v_xor_b32_e32 v7, v7, v5
	v_sub_u32_e32 v5, v7, v5
	s_add_i32 s2, s12, -1
	v_and_b32_e32 v7, s2, v0
	v_cmp_lt_i32_e32 vcc, 0, v5
	v_mov_b32_e32 v8, 0
	s_and_saveexec_b64 s[2:3], vcc
	s_cbranch_execz .LBB65_176
; %bb.167:
	v_cmp_lt_u32_e32 vcc, 7, v5
	v_mov_b32_e32 v9, 0
	v_mov_b32_e32 v8, 0
	s_and_saveexec_b64 s[4:5], vcc
	s_cbranch_execz .LBB65_171
; %bb.168:
	v_add_u32_e32 v8, v6, v7
	v_subrev_u32_e32 v8, s33, v8
	v_and_b32_e32 v9, 0x7ffffff8, v5
	v_lshlrev_b32_e32 v10, 2, v8
	s_lshl_b32 s8, s12, 5
	s_lshl_b32 s9, s12, 2
	s_mov_b32 s13, 0
	s_mov_b64 s[6:7], 0
	v_mov_b32_e32 v8, 0
.LBB65_169:                             ; =>This Inner Loop Header: Depth=1
	ds_read_b32 v11, v10
	v_add_u32_e32 v12, s9, v10
	v_add_u32_e32 v13, s9, v12
	ds_read_b32 v12, v12
	v_add_u32_e32 v14, s9, v13
	ds_read_b32 v13, v13
	;; [unrolled: 2-line block ×4, first 2 shown]
	s_waitcnt lgkmcnt(4)
	v_add_f32_e32 v8, v8, v11
	v_add_u32_e32 v11, s9, v16
	ds_read_b32 v16, v16
	ds_read_b32 v17, v11
	s_waitcnt lgkmcnt(5)
	v_add_f32_e32 v8, v8, v12
	v_add_u32_e32 v11, s9, v11
	s_waitcnt lgkmcnt(4)
	v_add_f32_e32 v8, v8, v13
	ds_read_b32 v11, v11
	s_waitcnt lgkmcnt(4)
	v_add_f32_e32 v8, v8, v14
	s_waitcnt lgkmcnt(3)
	v_add_f32_e32 v8, v8, v15
	s_add_i32 s13, s13, 8
	s_waitcnt lgkmcnt(2)
	v_add_f32_e32 v8, v8, v16
	v_cmp_eq_u32_e32 vcc, s13, v9
	s_waitcnt lgkmcnt(1)
	v_add_f32_e32 v8, v8, v17
	v_add_u32_e32 v10, s8, v10
	s_or_b64 s[6:7], vcc, s[6:7]
	s_waitcnt lgkmcnt(0)
	v_add_f32_e32 v8, v8, v11
	s_andn2_b64 exec, exec, s[6:7]
	s_cbranch_execnz .LBB65_169
; %bb.170:
	s_or_b64 exec, exec, s[6:7]
.LBB65_171:
	s_or_b64 exec, exec, s[4:5]
	v_and_b32_e32 v10, 7, v5
	v_cmp_ne_u32_e32 vcc, 0, v10
	s_and_saveexec_b64 s[4:5], vcc
	s_cbranch_execz .LBB65_175
; %bb.172:
	v_mul_lo_u32 v9, v9, s12
	v_add3_u32 v6, v6, v7, v9
	v_subrev_u32_e32 v6, s33, v6
	v_lshlrev_b32_e32 v6, 2, v6
	s_lshl_b32 s8, s12, 2
	s_mov_b64 s[6:7], 0
.LBB65_173:                             ; =>This Inner Loop Header: Depth=1
	ds_read_b32 v9, v6
	v_add_u32_e32 v10, -1, v10
	v_cmp_eq_u32_e32 vcc, 0, v10
	v_add_u32_e32 v6, s8, v6
	s_or_b64 s[6:7], vcc, s[6:7]
	s_waitcnt lgkmcnt(0)
	v_add_f32_e32 v8, v8, v9
	s_andn2_b64 exec, exec, s[6:7]
	s_cbranch_execnz .LBB65_173
; %bb.174:
	s_or_b64 exec, exec, s[6:7]
.LBB65_175:
	s_or_b64 exec, exec, s[4:5]
.LBB65_176:
	s_or_b64 exec, exec, s[2:3]
	v_mad_u64_u32 v[4:5], s[2:3], v5, s12, v[4:5]
	v_sub_u32_e32 v3, v3, v4
	v_cmp_lt_i32_e32 vcc, v7, v3
	s_and_saveexec_b64 s[2:3], vcc
	s_cbranch_execz .LBB65_178
; %bb.177:
	v_add_lshl_u32 v3, v4, v7, 2
	ds_read_b32 v3, v3
	s_waitcnt lgkmcnt(0)
	v_add_f32_e32 v8, v8, v3
.LBB65_178:
	s_or_b64 exec, exec, s[2:3]
.LBB65_179:
	s_or_b64 exec, exec, s[0:1]
	v_cmp_gt_i32_e32 vcc, s27, v0
	s_barrier
	ds_write_b32 v1, v8
	s_waitcnt lgkmcnt(0)
	s_barrier
	s_and_saveexec_b64 s[0:1], vcc
	s_cbranch_execz .LBB65_189
; %bb.180:
	s_cmp_lt_u32 s12, 8
	v_mul_lo_u32 v1, s12, v0
	s_cbranch_scc1 .LBB65_183
; %bb.181:
	s_and_b32 s0, s12, 0x7ffffff8
	v_lshlrev_b32_e32 v3, 2, v1
	s_mov_b32 s1, 0
	v_mov_b32_e32 v4, 0
.LBB65_182:                             ; =>This Inner Loop Header: Depth=1
	s_waitcnt vmcnt(0)
	ds_read2_b32 v[6:7], v3 offset1:1
	ds_read2_b32 v[8:9], v3 offset0:2 offset1:3
	ds_read2_b32 v[10:11], v3 offset0:4 offset1:5
	;; [unrolled: 1-line block ×3, first 2 shown]
	s_add_i32 s1, s1, 8
	s_waitcnt lgkmcnt(3)
	v_add_f32_e32 v4, v4, v6
	v_add_f32_e32 v4, v4, v7
	s_waitcnt lgkmcnt(2)
	v_add_f32_e32 v4, v4, v8
	v_add_f32_e32 v4, v4, v9
	;; [unrolled: 3-line block ×3, first 2 shown]
	s_waitcnt lgkmcnt(0)
	v_add_f32_e32 v4, v4, v12
	v_add_u32_e32 v3, 32, v3
	s_cmp_eq_u32 s0, s1
	v_add_f32_e32 v4, v4, v13
	s_cbranch_scc0 .LBB65_182
	s_branch .LBB65_184
.LBB65_183:
	s_mov_b32 s0, 0
	v_mov_b32_e32 v4, 0
.LBB65_184:
	s_bfe_u32 s1, s11, 0x30001
	s_cmp_eq_u32 s1, 0
	s_cbranch_scc1 .LBB65_187
; %bb.185:
	v_add_lshl_u32 v1, s0, v1, 2
.LBB65_186:                             ; =>This Inner Loop Header: Depth=1
	ds_read_b32 v3, v1
	s_add_i32 s1, s1, -1
	v_add_u32_e32 v1, 4, v1
	s_cmp_lg_u32 s1, 0
	s_waitcnt lgkmcnt(0)
	v_add_f32_e32 v4, v4, v3
	s_cbranch_scc1 .LBB65_186
.LBB65_187:
	v_ashrrev_i32_e32 v3, 31, v2
	v_lshlrev_b64 v[2:3], 2, v[2:3]
	v_mov_b32_e32 v1, s15
	v_add_co_u32_e32 v2, vcc, s14, v2
	v_addc_co_u32_e32 v3, vcc, v1, v3, vcc
	global_load_dword v1, v[2:3], off
	s_lshl_b32 s0, s10, 2
	s_addk_i32 s0, 0x1000
	v_lshl_add_u32 v0, v0, 2, s0
	ds_read_b32 v0, v0
	s_mov_b64 s[0:1], 0
	s_waitcnt lgkmcnt(0)
	v_add_f32_e32 v4, v4, v0
.LBB65_188:                             ; =>This Inner Loop Header: Depth=1
	s_waitcnt vmcnt(0)
	v_add_f32_e32 v0, v1, v4
	global_atomic_cmpswap v0, v[2:3], v[0:1], off glc
	s_waitcnt vmcnt(0)
	v_cmp_eq_u32_e32 vcc, v0, v1
	s_or_b64 s[0:1], vcc, s[0:1]
	v_mov_b32_e32 v1, v0
	s_andn2_b64 exec, exec, s[0:1]
	s_cbranch_execnz .LBB65_188
.LBB65_189:
	s_endpgm
	.section	.rodata,"a",@progbits
	.p2align	6, 0x0
	.amdhsa_kernel _ZN9rocsparseL27csrmvn_symm_adaptive_kernelIiiDF16_DF16_ffEEvbT_S1_PKS1_NS_24const_host_device_scalarIT4_EES3_PKT0_PKT1_PKT2_S6_PT3_21rocsparse_index_base_b
		.amdhsa_group_segment_fixed_size 4096
		.amdhsa_private_segment_fixed_size 0
		.amdhsa_kernarg_size 344
		.amdhsa_user_sgpr_count 6
		.amdhsa_user_sgpr_private_segment_buffer 1
		.amdhsa_user_sgpr_dispatch_ptr 0
		.amdhsa_user_sgpr_queue_ptr 0
		.amdhsa_user_sgpr_kernarg_segment_ptr 1
		.amdhsa_user_sgpr_dispatch_id 0
		.amdhsa_user_sgpr_flat_scratch_init 0
		.amdhsa_user_sgpr_kernarg_preload_length 0
		.amdhsa_user_sgpr_kernarg_preload_offset 0
		.amdhsa_user_sgpr_private_segment_size 0
		.amdhsa_uses_dynamic_stack 0
		.amdhsa_system_sgpr_private_segment_wavefront_offset 0
		.amdhsa_system_sgpr_workgroup_id_x 1
		.amdhsa_system_sgpr_workgroup_id_y 0
		.amdhsa_system_sgpr_workgroup_id_z 0
		.amdhsa_system_sgpr_workgroup_info 0
		.amdhsa_system_vgpr_workitem_id 0
		.amdhsa_next_free_vgpr 32
		.amdhsa_next_free_sgpr 49
		.amdhsa_accum_offset 32
		.amdhsa_reserve_vcc 1
		.amdhsa_reserve_flat_scratch 0
		.amdhsa_float_round_mode_32 0
		.amdhsa_float_round_mode_16_64 0
		.amdhsa_float_denorm_mode_32 3
		.amdhsa_float_denorm_mode_16_64 3
		.amdhsa_dx10_clamp 1
		.amdhsa_ieee_mode 1
		.amdhsa_fp16_overflow 0
		.amdhsa_tg_split 0
		.amdhsa_exception_fp_ieee_invalid_op 0
		.amdhsa_exception_fp_denorm_src 0
		.amdhsa_exception_fp_ieee_div_zero 0
		.amdhsa_exception_fp_ieee_overflow 0
		.amdhsa_exception_fp_ieee_underflow 0
		.amdhsa_exception_fp_ieee_inexact 0
		.amdhsa_exception_int_div_zero 0
	.end_amdhsa_kernel
	.section	.text._ZN9rocsparseL27csrmvn_symm_adaptive_kernelIiiDF16_DF16_ffEEvbT_S1_PKS1_NS_24const_host_device_scalarIT4_EES3_PKT0_PKT1_PKT2_S6_PT3_21rocsparse_index_base_b,"axG",@progbits,_ZN9rocsparseL27csrmvn_symm_adaptive_kernelIiiDF16_DF16_ffEEvbT_S1_PKS1_NS_24const_host_device_scalarIT4_EES3_PKT0_PKT1_PKT2_S6_PT3_21rocsparse_index_base_b,comdat
.Lfunc_end65:
	.size	_ZN9rocsparseL27csrmvn_symm_adaptive_kernelIiiDF16_DF16_ffEEvbT_S1_PKS1_NS_24const_host_device_scalarIT4_EES3_PKT0_PKT1_PKT2_S6_PT3_21rocsparse_index_base_b, .Lfunc_end65-_ZN9rocsparseL27csrmvn_symm_adaptive_kernelIiiDF16_DF16_ffEEvbT_S1_PKS1_NS_24const_host_device_scalarIT4_EES3_PKT0_PKT1_PKT2_S6_PT3_21rocsparse_index_base_b
                                        ; -- End function
	.section	.AMDGPU.csdata,"",@progbits
; Kernel info:
; codeLenInByte = 7812
; NumSgprs: 53
; NumVgprs: 32
; NumAgprs: 0
; TotalNumVgprs: 32
; ScratchSize: 0
; MemoryBound: 0
; FloatMode: 240
; IeeeMode: 1
; LDSByteSize: 4096 bytes/workgroup (compile time only)
; SGPRBlocks: 6
; VGPRBlocks: 3
; NumSGPRsForWavesPerEU: 53
; NumVGPRsForWavesPerEU: 32
; AccumOffset: 32
; Occupancy: 8
; WaveLimiterHint : 1
; COMPUTE_PGM_RSRC2:SCRATCH_EN: 0
; COMPUTE_PGM_RSRC2:USER_SGPR: 6
; COMPUTE_PGM_RSRC2:TRAP_HANDLER: 0
; COMPUTE_PGM_RSRC2:TGID_X_EN: 1
; COMPUTE_PGM_RSRC2:TGID_Y_EN: 0
; COMPUTE_PGM_RSRC2:TGID_Z_EN: 0
; COMPUTE_PGM_RSRC2:TIDIG_COMP_CNT: 0
; COMPUTE_PGM_RSRC3_GFX90A:ACCUM_OFFSET: 7
; COMPUTE_PGM_RSRC3_GFX90A:TG_SPLIT: 0
	.section	.text._ZL33csrmvn_symm_large_adaptive_kernelIiiDF16_DF16_ffEvbT_PKS0_N9rocsparse24const_host_device_scalarIT4_EES2_PKT0_PKT1_PKT2_S6_PT3_21rocsparse_index_base_b,"axG",@progbits,_ZL33csrmvn_symm_large_adaptive_kernelIiiDF16_DF16_ffEvbT_PKS0_N9rocsparse24const_host_device_scalarIT4_EES2_PKT0_PKT1_PKT2_S6_PT3_21rocsparse_index_base_b,comdat
	.globl	_ZL33csrmvn_symm_large_adaptive_kernelIiiDF16_DF16_ffEvbT_PKS0_N9rocsparse24const_host_device_scalarIT4_EES2_PKT0_PKT1_PKT2_S6_PT3_21rocsparse_index_base_b ; -- Begin function _ZL33csrmvn_symm_large_adaptive_kernelIiiDF16_DF16_ffEvbT_PKS0_N9rocsparse24const_host_device_scalarIT4_EES2_PKT0_PKT1_PKT2_S6_PT3_21rocsparse_index_base_b
	.p2align	8
	.type	_ZL33csrmvn_symm_large_adaptive_kernelIiiDF16_DF16_ffEvbT_PKS0_N9rocsparse24const_host_device_scalarIT4_EES2_PKT0_PKT1_PKT2_S6_PT3_21rocsparse_index_base_b,@function
_ZL33csrmvn_symm_large_adaptive_kernelIiiDF16_DF16_ffEvbT_PKS0_N9rocsparse24const_host_device_scalarIT4_EES2_PKT0_PKT1_PKT2_S6_PT3_21rocsparse_index_base_b: ; @_ZL33csrmvn_symm_large_adaptive_kernelIiiDF16_DF16_ffEvbT_PKS0_N9rocsparse24const_host_device_scalarIT4_EES2_PKT0_PKT1_PKT2_S6_PT3_21rocsparse_index_base_b
; %bb.0:
	s_load_dwordx2 s[20:21], s[4:5], 0x48
	s_load_dwordx2 s[22:23], s[4:5], 0x10
	;; [unrolled: 1-line block ×3, first 2 shown]
	s_waitcnt lgkmcnt(0)
	s_bitcmp1_b32 s21, 0
	s_cselect_b64 s[8:9], -1, 0
	s_xor_b64 s[2:3], s[8:9], -1
	s_and_b64 vcc, exec, s[8:9]
	s_cbranch_vccnz .LBB66_2
; %bb.1:
	s_load_dword s22, s[22:23], 0x0
.LBB66_2:
	s_andn2_b64 vcc, exec, s[2:3]
	s_cbranch_vccnz .LBB66_4
; %bb.3:
	s_load_dword s0, s[0:1], 0x0
.LBB66_4:
	s_waitcnt lgkmcnt(0)
	v_cmp_neq_f32_e64 s[2:3], s22, 0
	v_cmp_neq_f32_e64 s[0:1], s0, 1.0
	s_or_b64 s[0:1], s[2:3], s[0:1]
	s_andn2_b64 vcc, exec, s[0:1]
	s_cbranch_vccnz .LBB66_38
; %bb.5:
	s_load_dwordx2 s[0:1], s[4:5], 0x8
	s_ashr_i32 s7, s6, 31
	s_lshl_b64 s[2:3], s[6:7], 2
	v_lshlrev_b32_e32 v6, 2, v0
	v_mov_b32_e32 v1, 0
	s_waitcnt lgkmcnt(0)
	s_add_u32 s0, s0, s2
	s_addc_u32 s1, s1, s3
	ds_write2st64_b32 v6, v1, v1 offset1:4
	ds_write2st64_b32 v6, v1, v1 offset0:8 offset1:12
	s_waitcnt lgkmcnt(0)
	s_barrier
	s_load_dwordx2 s[24:25], s[0:1], 0x0
	s_load_dwordx8 s[12:19], s[4:5], 0x18
	s_load_dwordx2 s[26:27], s[4:5], 0x40
	s_waitcnt lgkmcnt(0)
	s_cmp_lt_i32 s24, s25
	s_cbranch_scc1 .LBB66_7
; %bb.6:
	s_ashr_i32 s1, s24, 31
	s_mov_b32 s0, s24
	s_lshl_b64 s[0:1], s[0:1], 2
	s_add_u32 s0, s12, s0
	s_addc_u32 s1, s13, s1
	s_load_dword s21, s[0:1], 0x0
	v_subrev_u32_e32 v7, s20, v0
	s_cbranch_execz .LBB66_8
	s_branch .LBB66_28
.LBB66_7:
                                        ; implicit-def: $sgpr21
	v_subrev_u32_e32 v7, s20, v0
.LBB66_8:
	s_ashr_i32 s11, s24, 31
	s_mov_b32 s10, s24
	s_lshl_b64 s[10:11], s[10:11], 2
	s_add_u32 s10, s12, s10
	s_addc_u32 s11, s13, s11
	s_waitcnt lgkmcnt(0)
	s_load_dword s21, s[10:11], 0x0
	s_movk_i32 s0, 0x100
	s_add_u32 s23, s12, 4
	v_cmp_gt_u32_e64 s[0:1], s0, v0
	v_cmp_gt_u32_e64 s[2:3], 64, v0
	;; [unrolled: 1-line block ×4, first 2 shown]
	v_cmp_eq_u32_e64 s[8:9], 0, v0
	s_addc_u32 s33, s13, 0
	v_mov_b32_e32 v8, s19
	v_mov_b32_e32 v9, 0
	s_waitcnt lgkmcnt(0)
	s_mov_b32 s29, s21
	s_mov_b32 s28, s24
	s_branch .LBB66_10
.LBB66_9:                               ;   in Loop: Header=BB66_10 Depth=1
	s_or_b64 exec, exec, s[10:11]
	s_add_i32 s28, s28, 1
	s_cmp_ge_i32 s28, s25
	s_cbranch_scc1 .LBB66_28
.LBB66_10:                              ; =>This Loop Header: Depth=1
                                        ;     Child Loop BB66_12 Depth 2
                                        ;     Child Loop BB66_27 Depth 2
	s_mov_b32 s34, s29
	s_ashr_i32 s29, s28, 31
	s_lshl_b64 s[30:31], s[28:29], 2
	s_add_u32 s10, s23, s30
	s_addc_u32 s11, s33, s31
	s_load_dword s29, s[10:11], 0x0
	v_add_u32_e32 v0, s34, v7
	v_mov_b32_e32 v1, 0
	s_waitcnt lgkmcnt(0)
	s_sub_i32 s38, s29, s20
	v_cmp_gt_i32_e32 vcc, s38, v0
	s_and_saveexec_b64 s[34:35], vcc
	s_cbranch_execz .LBB66_14
; %bb.11:                               ;   in Loop: Header=BB66_10 Depth=1
	v_ashrrev_i32_e32 v1, 31, v0
	v_lshlrev_b64 v[2:3], 2, v[0:1]
	v_mov_b32_e32 v4, s15
	v_add_co_u32_e32 v2, vcc, s14, v2
	v_addc_co_u32_e32 v3, vcc, v4, v3, vcc
	v_lshlrev_b64 v[4:5], 1, v[0:1]
	v_mov_b32_e32 v1, s17
	v_add_co_u32_e32 v4, vcc, s16, v4
	v_addc_co_u32_e32 v5, vcc, v1, v5, vcc
	s_mov_b64 s[36:37], 0
	v_mov_b32_e32 v1, 0
.LBB66_12:                              ;   Parent Loop BB66_10 Depth=1
                                        ; =>  This Inner Loop Header: Depth=2
	global_load_dword v10, v[2:3], off
	global_load_ushort v12, v[4:5], off
	v_add_u32_e32 v0, 0x100, v0
	v_cmp_le_i32_e64 s[10:11], s38, v0
	s_or_b64 s[36:37], s[10:11], s[36:37]
	s_waitcnt vmcnt(1)
	v_subrev_u32_e32 v10, s20, v10
	v_ashrrev_i32_e32 v11, 31, v10
	v_lshlrev_b64 v[10:11], 1, v[10:11]
	v_add_co_u32_e32 v10, vcc, s18, v10
	v_addc_co_u32_e32 v11, vcc, v8, v11, vcc
	global_load_ushort v10, v[10:11], off
	v_add_co_u32_e32 v2, vcc, 0x400, v2
	v_addc_co_u32_e32 v3, vcc, 0, v3, vcc
	v_add_co_u32_e32 v4, vcc, 0x200, v4
	v_addc_co_u32_e32 v5, vcc, 0, v5, vcc
	s_waitcnt vmcnt(0)
	v_fma_mix_f32 v1, v12, v10, v1 op_sel_hi:[1,1,0]
	s_andn2_b64 exec, exec, s[36:37]
	s_cbranch_execnz .LBB66_12
; %bb.13:                               ;   in Loop: Header=BB66_10 Depth=1
	s_or_b64 exec, exec, s[36:37]
.LBB66_14:                              ;   in Loop: Header=BB66_10 Depth=1
	s_or_b64 exec, exec, s[34:35]
	ds_write_b32 v6, v1
	s_waitcnt lgkmcnt(0)
	s_barrier
	s_and_saveexec_b64 s[10:11], s[0:1]
	s_cbranch_execz .LBB66_16
; %bb.15:                               ;   in Loop: Header=BB66_10 Depth=1
	ds_read2st64_b32 v[0:1], v6 offset1:4
	ds_read2st64_b32 v[2:3], v6 offset0:8 offset1:12
	s_waitcnt lgkmcnt(0)
	v_add_f32_e32 v1, v1, v2
	v_add_f32_e32 v1, v1, v3
	;; [unrolled: 1-line block ×3, first 2 shown]
	ds_write_b32 v6, v0
.LBB66_16:                              ;   in Loop: Header=BB66_10 Depth=1
	s_or_b64 exec, exec, s[10:11]
	s_waitcnt lgkmcnt(0)
	s_barrier
	s_and_saveexec_b64 s[10:11], s[2:3]
	s_cbranch_execz .LBB66_18
; %bb.17:                               ;   in Loop: Header=BB66_10 Depth=1
	ds_read2st64_b32 v[0:1], v6 offset1:1
	ds_read2st64_b32 v[2:3], v6 offset0:2 offset1:3
	s_waitcnt lgkmcnt(0)
	v_add_f32_e32 v1, v1, v2
	v_add_f32_e32 v1, v1, v3
	;; [unrolled: 1-line block ×3, first 2 shown]
	ds_write_b32 v6, v0
.LBB66_18:                              ;   in Loop: Header=BB66_10 Depth=1
	s_or_b64 exec, exec, s[10:11]
	s_waitcnt lgkmcnt(0)
	s_barrier
	s_and_saveexec_b64 s[10:11], s[4:5]
	s_cbranch_execz .LBB66_20
; %bb.19:                               ;   in Loop: Header=BB66_10 Depth=1
	ds_read2_b32 v[0:1], v6 offset1:16
	ds_read2_b32 v[2:3], v6 offset0:32 offset1:48
	s_waitcnt lgkmcnt(0)
	v_add_f32_e32 v1, v1, v2
	v_add_f32_e32 v1, v1, v3
	;; [unrolled: 1-line block ×3, first 2 shown]
	ds_write_b32 v6, v0
.LBB66_20:                              ;   in Loop: Header=BB66_10 Depth=1
	s_or_b64 exec, exec, s[10:11]
	s_waitcnt lgkmcnt(0)
	s_barrier
	s_and_saveexec_b64 s[10:11], s[6:7]
	s_cbranch_execz .LBB66_22
; %bb.21:                               ;   in Loop: Header=BB66_10 Depth=1
	ds_read2_b32 v[0:1], v6 offset1:4
	ds_read2_b32 v[2:3], v6 offset0:8 offset1:12
	s_waitcnt lgkmcnt(0)
	v_add_f32_e32 v1, v1, v2
	v_add_f32_e32 v1, v1, v3
	;; [unrolled: 1-line block ×3, first 2 shown]
	ds_write_b32 v6, v0
.LBB66_22:                              ;   in Loop: Header=BB66_10 Depth=1
	s_or_b64 exec, exec, s[10:11]
	s_waitcnt lgkmcnt(0)
	s_barrier
	s_and_saveexec_b64 s[10:11], s[8:9]
	s_cbranch_execz .LBB66_24
; %bb.23:                               ;   in Loop: Header=BB66_10 Depth=1
	ds_read2_b32 v[0:1], v9 offset0:1 offset1:2
	ds_read_b32 v2, v9 offset:12
	ds_read_b32 v3, v6
	s_waitcnt lgkmcnt(2)
	v_add_f32_e32 v0, v0, v1
	s_waitcnt lgkmcnt(1)
	v_add_f32_e32 v0, v0, v2
	;; [unrolled: 2-line block ×3, first 2 shown]
	ds_write_b32 v6, v0
.LBB66_24:                              ;   in Loop: Header=BB66_10 Depth=1
	s_or_b64 exec, exec, s[10:11]
	s_waitcnt lgkmcnt(0)
	s_barrier
	s_and_saveexec_b64 s[10:11], s[8:9]
	s_cbranch_execz .LBB66_9
; %bb.25:                               ;   in Loop: Header=BB66_10 Depth=1
	s_mov_b64 s[34:35], exec
	v_mbcnt_lo_u32_b32 v0, s34, 0
	v_mbcnt_hi_u32_b32 v0, s35, v0
	v_cmp_eq_u32_e32 vcc, 0, v0
	s_and_b64 s[36:37], exec, vcc
	s_mov_b64 exec, s[36:37]
	s_cbranch_execz .LBB66_9
; %bb.26:                               ;   in Loop: Header=BB66_10 Depth=1
	s_add_u32 s30, s26, s30
	s_addc_u32 s31, s27, s31
	global_load_dword v1, v9, s[30:31]
	ds_read_b32 v0, v9
	s_bcnt1_i32_b64 s34, s[34:35]
	v_cvt_f32_ubyte0_e32 v2, s34
	s_mov_b64 s[34:35], 0
	s_waitcnt lgkmcnt(0)
	v_mul_f32_e32 v0, s22, v0
	v_mul_f32_e32 v2, v0, v2
.LBB66_27:                              ;   Parent Loop BB66_10 Depth=1
                                        ; =>  This Inner Loop Header: Depth=2
	s_waitcnt vmcnt(0)
	v_add_f32_e32 v0, v1, v2
	global_atomic_cmpswap v0, v9, v[0:1], s[30:31] glc
	s_waitcnt vmcnt(0)
	v_cmp_eq_u32_e32 vcc, v0, v1
	s_or_b64 s[34:35], vcc, s[34:35]
	v_mov_b32_e32 v1, v0
	s_andn2_b64 exec, exec, s[34:35]
	s_cbranch_execnz .LBB66_27
	s_branch .LBB66_9
.LBB66_28:
	s_ashr_i32 s1, s25, 31
	s_mov_b32 s0, s25
	s_lshl_b64 s[0:1], s[0:1], 2
	s_add_u32 s0, s12, s0
	s_addc_u32 s1, s13, s1
	s_load_dword s0, s[0:1], 0x0
	s_waitcnt lgkmcnt(0)
	v_add_u32_e32 v0, s21, v7
	s_sub_i32 s8, s0, s20
	v_cmp_gt_i32_e32 vcc, s8, v0
	s_and_saveexec_b64 s[0:1], vcc
	s_cbranch_execz .LBB66_38
; %bb.29:
	s_add_i32 s9, s25, -1
	s_cmp_gt_i32 s9, s24
	s_cselect_b64 s[0:1], -1, 0
	s_add_i32 s2, s25, -2
	s_cmp_lg_u32 s2, s24
	s_cselect_b64 s[2:3], -1, 0
	s_and_b64 s[0:1], s[0:1], s[2:3]
	v_cndmask_b32_e64 v1, 0, 1, s[0:1]
	s_mov_b64 s[4:5], 0
	v_cmp_ne_u32_e64 s[0:1], 1, v1
	v_mov_b32_e32 v6, s13
	v_mov_b32_e32 v7, s15
	s_branch .LBB66_31
.LBB66_30:                              ;   in Loop: Header=BB66_31 Depth=1
	s_or_b64 exec, exec, s[2:3]
	v_add_u32_e32 v0, 0x100, v0
	v_cmp_le_i32_e32 vcc, s8, v0
	s_or_b64 s[4:5], vcc, s[4:5]
	s_andn2_b64 exec, exec, s[4:5]
	s_cbranch_execz .LBB66_38
.LBB66_31:                              ; =>This Loop Header: Depth=1
                                        ;     Child Loop BB66_33 Depth 2
                                        ;     Child Loop BB66_37 Depth 2
	s_and_b64 vcc, exec, s[0:1]
	v_mov_b32_e32 v4, s24
	v_mov_b32_e32 v2, s9
	s_cbranch_vccnz .LBB66_35
; %bb.32:                               ;   in Loop: Header=BB66_31 Depth=1
	s_mov_b64 s[6:7], 0
	v_mov_b32_e32 v4, s24
	v_mov_b32_e32 v2, s9
.LBB66_33:                              ;   Parent Loop BB66_31 Depth=1
                                        ; =>  This Inner Loop Header: Depth=2
	v_add_u32_e32 v1, v2, v4
	v_lshrrev_b32_e32 v5, 31, v1
	v_add_u32_e32 v1, v1, v5
	v_ashrrev_i32_e32 v8, 1, v1
	v_ashrrev_i32_e32 v9, 31, v8
	v_lshlrev_b64 v[10:11], 2, v[8:9]
	v_mov_b32_e32 v3, s13
	v_add_co_u32_e32 v10, vcc, s12, v10
	v_addc_co_u32_e32 v11, vcc, v3, v11, vcc
	global_load_dword v1, v[10:11], off
	s_waitcnt vmcnt(0)
	v_subrev_u32_e32 v1, s20, v1
	v_cmp_gt_i32_e32 vcc, v1, v0
	v_cndmask_b32_e32 v2, v2, v8, vcc
	v_cndmask_b32_e32 v4, v8, v4, vcc
	v_add_u32_e32 v1, -1, v2
	v_cmp_ge_i32_e32 vcc, v4, v2
	v_cmp_eq_u32_e64 s[2:3], v4, v1
	s_or_b64 s[2:3], vcc, s[2:3]
	s_and_b64 s[2:3], exec, s[2:3]
	s_or_b64 s[6:7], s[2:3], s[6:7]
	s_andn2_b64 exec, exec, s[6:7]
	s_cbranch_execnz .LBB66_33
; %bb.34:                               ;   in Loop: Header=BB66_31 Depth=1
	s_or_b64 exec, exec, s[6:7]
.LBB66_35:                              ;   in Loop: Header=BB66_31 Depth=1
	v_ashrrev_i32_e32 v3, 31, v2
	v_lshlrev_b64 v[8:9], 2, v[2:3]
	v_add_co_u32_e32 v8, vcc, s12, v8
	v_addc_co_u32_e32 v9, vcc, v6, v9, vcc
	v_ashrrev_i32_e32 v1, 31, v0
	global_load_dword v3, v[8:9], off
	v_lshlrev_b64 v[8:9], 2, v[0:1]
	v_add_co_u32_e32 v8, vcc, s14, v8
	v_addc_co_u32_e32 v9, vcc, v7, v9, vcc
	global_load_dword v5, v[8:9], off
	s_waitcnt vmcnt(1)
	v_subrev_u32_e32 v3, s20, v3
	v_cmp_gt_i32_e32 vcc, v3, v0
	v_cndmask_b32_e32 v2, v2, v4, vcc
	s_waitcnt vmcnt(0)
	v_subrev_u32_e32 v4, s20, v5
	v_cmp_ne_u32_e32 vcc, v4, v2
	s_and_saveexec_b64 s[2:3], vcc
	s_cbranch_execz .LBB66_30
; %bb.36:                               ;   in Loop: Header=BB66_31 Depth=1
	v_lshlrev_b64 v[8:9], 1, v[0:1]
	v_mov_b32_e32 v1, s17
	v_add_co_u32_e32 v8, vcc, s16, v8
	v_ashrrev_i32_e32 v3, 31, v2
	v_addc_co_u32_e32 v9, vcc, v1, v9, vcc
	v_lshlrev_b64 v[2:3], 1, v[2:3]
	global_load_ushort v1, v[8:9], off
	v_mov_b32_e32 v8, s19
	v_add_co_u32_e32 v2, vcc, s18, v2
	v_addc_co_u32_e32 v3, vcc, v8, v3, vcc
	global_load_ushort v8, v[2:3], off
	v_ashrrev_i32_e32 v5, 31, v4
	v_lshlrev_b64 v[4:5], 2, v[4:5]
	v_mov_b32_e32 v3, s27
	v_add_co_u32_e32 v2, vcc, s26, v4
	v_addc_co_u32_e32 v3, vcc, v3, v5, vcc
	global_load_dword v5, v[2:3], off
	s_mov_b64 s[6:7], 0
	s_waitcnt vmcnt(2)
	v_cvt_f32_f16_e32 v1, v1
	v_mul_f32_e32 v1, s22, v1
	s_waitcnt vmcnt(1)
	v_cvt_f32_f16_e32 v4, v8
	v_mul_f32_e32 v1, v1, v4
.LBB66_37:                              ;   Parent Loop BB66_31 Depth=1
                                        ; =>  This Inner Loop Header: Depth=2
	s_waitcnt vmcnt(0)
	v_add_f32_e32 v4, v5, v1
	global_atomic_cmpswap v4, v[2:3], v[4:5], off glc
	s_waitcnt vmcnt(0)
	v_cmp_eq_u32_e32 vcc, v4, v5
	s_or_b64 s[6:7], vcc, s[6:7]
	v_mov_b32_e32 v5, v4
	s_andn2_b64 exec, exec, s[6:7]
	s_cbranch_execnz .LBB66_37
	s_branch .LBB66_30
.LBB66_38:
	s_endpgm
	.section	.rodata,"a",@progbits
	.p2align	6, 0x0
	.amdhsa_kernel _ZL33csrmvn_symm_large_adaptive_kernelIiiDF16_DF16_ffEvbT_PKS0_N9rocsparse24const_host_device_scalarIT4_EES2_PKT0_PKT1_PKT2_S6_PT3_21rocsparse_index_base_b
		.amdhsa_group_segment_fixed_size 4096
		.amdhsa_private_segment_fixed_size 0
		.amdhsa_kernarg_size 80
		.amdhsa_user_sgpr_count 6
		.amdhsa_user_sgpr_private_segment_buffer 1
		.amdhsa_user_sgpr_dispatch_ptr 0
		.amdhsa_user_sgpr_queue_ptr 0
		.amdhsa_user_sgpr_kernarg_segment_ptr 1
		.amdhsa_user_sgpr_dispatch_id 0
		.amdhsa_user_sgpr_flat_scratch_init 0
		.amdhsa_user_sgpr_kernarg_preload_length 0
		.amdhsa_user_sgpr_kernarg_preload_offset 0
		.amdhsa_user_sgpr_private_segment_size 0
		.amdhsa_uses_dynamic_stack 0
		.amdhsa_system_sgpr_private_segment_wavefront_offset 0
		.amdhsa_system_sgpr_workgroup_id_x 1
		.amdhsa_system_sgpr_workgroup_id_y 0
		.amdhsa_system_sgpr_workgroup_id_z 0
		.amdhsa_system_sgpr_workgroup_info 0
		.amdhsa_system_vgpr_workitem_id 0
		.amdhsa_next_free_vgpr 13
		.amdhsa_next_free_sgpr 39
		.amdhsa_accum_offset 16
		.amdhsa_reserve_vcc 1
		.amdhsa_reserve_flat_scratch 0
		.amdhsa_float_round_mode_32 0
		.amdhsa_float_round_mode_16_64 0
		.amdhsa_float_denorm_mode_32 3
		.amdhsa_float_denorm_mode_16_64 3
		.amdhsa_dx10_clamp 1
		.amdhsa_ieee_mode 1
		.amdhsa_fp16_overflow 0
		.amdhsa_tg_split 0
		.amdhsa_exception_fp_ieee_invalid_op 0
		.amdhsa_exception_fp_denorm_src 0
		.amdhsa_exception_fp_ieee_div_zero 0
		.amdhsa_exception_fp_ieee_overflow 0
		.amdhsa_exception_fp_ieee_underflow 0
		.amdhsa_exception_fp_ieee_inexact 0
		.amdhsa_exception_int_div_zero 0
	.end_amdhsa_kernel
	.section	.text._ZL33csrmvn_symm_large_adaptive_kernelIiiDF16_DF16_ffEvbT_PKS0_N9rocsparse24const_host_device_scalarIT4_EES2_PKT0_PKT1_PKT2_S6_PT3_21rocsparse_index_base_b,"axG",@progbits,_ZL33csrmvn_symm_large_adaptive_kernelIiiDF16_DF16_ffEvbT_PKS0_N9rocsparse24const_host_device_scalarIT4_EES2_PKT0_PKT1_PKT2_S6_PT3_21rocsparse_index_base_b,comdat
.Lfunc_end66:
	.size	_ZL33csrmvn_symm_large_adaptive_kernelIiiDF16_DF16_ffEvbT_PKS0_N9rocsparse24const_host_device_scalarIT4_EES2_PKT0_PKT1_PKT2_S6_PT3_21rocsparse_index_base_b, .Lfunc_end66-_ZL33csrmvn_symm_large_adaptive_kernelIiiDF16_DF16_ffEvbT_PKS0_N9rocsparse24const_host_device_scalarIT4_EES2_PKT0_PKT1_PKT2_S6_PT3_21rocsparse_index_base_b
                                        ; -- End function
	.section	.AMDGPU.csdata,"",@progbits
; Kernel info:
; codeLenInByte = 1604
; NumSgprs: 43
; NumVgprs: 13
; NumAgprs: 0
; TotalNumVgprs: 13
; ScratchSize: 0
; MemoryBound: 0
; FloatMode: 240
; IeeeMode: 1
; LDSByteSize: 4096 bytes/workgroup (compile time only)
; SGPRBlocks: 5
; VGPRBlocks: 1
; NumSGPRsForWavesPerEU: 43
; NumVGPRsForWavesPerEU: 13
; AccumOffset: 16
; Occupancy: 8
; WaveLimiterHint : 1
; COMPUTE_PGM_RSRC2:SCRATCH_EN: 0
; COMPUTE_PGM_RSRC2:USER_SGPR: 6
; COMPUTE_PGM_RSRC2:TRAP_HANDLER: 0
; COMPUTE_PGM_RSRC2:TGID_X_EN: 1
; COMPUTE_PGM_RSRC2:TGID_Y_EN: 0
; COMPUTE_PGM_RSRC2:TGID_Z_EN: 0
; COMPUTE_PGM_RSRC2:TIDIG_COMP_CNT: 0
; COMPUTE_PGM_RSRC3_GFX90A:ACCUM_OFFSET: 3
; COMPUTE_PGM_RSRC3_GFX90A:TG_SPLIT: 0
	.section	.text._ZN9rocsparseL22csrmvn_adaptive_kernelIliDF16_DF16_ffEEvbT_PKS1_PjPKT0_NS_24const_host_device_scalarIT4_EES3_S7_PKT1_PKT2_SA_PT3_21rocsparse_index_base_b,"axG",@progbits,_ZN9rocsparseL22csrmvn_adaptive_kernelIliDF16_DF16_ffEEvbT_PKS1_PjPKT0_NS_24const_host_device_scalarIT4_EES3_S7_PKT1_PKT2_SA_PT3_21rocsparse_index_base_b,comdat
	.globl	_ZN9rocsparseL22csrmvn_adaptive_kernelIliDF16_DF16_ffEEvbT_PKS1_PjPKT0_NS_24const_host_device_scalarIT4_EES3_S7_PKT1_PKT2_SA_PT3_21rocsparse_index_base_b ; -- Begin function _ZN9rocsparseL22csrmvn_adaptive_kernelIliDF16_DF16_ffEEvbT_PKS1_PjPKT0_NS_24const_host_device_scalarIT4_EES3_S7_PKT1_PKT2_SA_PT3_21rocsparse_index_base_b
	.p2align	8
	.type	_ZN9rocsparseL22csrmvn_adaptive_kernelIliDF16_DF16_ffEEvbT_PKS1_PjPKT0_NS_24const_host_device_scalarIT4_EES3_S7_PKT1_PKT2_SA_PT3_21rocsparse_index_base_b,@function
_ZN9rocsparseL22csrmvn_adaptive_kernelIliDF16_DF16_ffEEvbT_PKS1_PjPKT0_NS_24const_host_device_scalarIT4_EES3_S7_PKT1_PKT2_SA_PT3_21rocsparse_index_base_b: ; @_ZN9rocsparseL22csrmvn_adaptive_kernelIliDF16_DF16_ffEEvbT_PKS1_PjPKT0_NS_24const_host_device_scalarIT4_EES3_S7_PKT1_PKT2_SA_PT3_21rocsparse_index_base_b
; %bb.0:
	s_load_dwordx2 s[48:49], s[4:5], 0x60
	s_load_dwordx2 s[46:47], s[4:5], 0x28
	;; [unrolled: 1-line block ×3, first 2 shown]
	s_waitcnt lgkmcnt(0)
	s_bitcmp1_b32 s49, 0
	s_cselect_b64 s[2:3], -1, 0
	s_xor_b64 s[0:1], s[2:3], -1
	s_and_b64 vcc, exec, s[2:3]
	s_cbranch_vccnz .LBB67_2
; %bb.1:
	s_load_dword s46, s[46:47], 0x0
.LBB67_2:
	s_andn2_b64 vcc, exec, s[0:1]
	s_cbranch_vccnz .LBB67_4
; %bb.3:
	s_load_dword s34, s[34:35], 0x0
.LBB67_4:
	s_waitcnt lgkmcnt(0)
	v_cmp_neq_f32_e64 s[0:1], s46, 0
	v_cmp_neq_f32_e64 s[2:3], s34, 1.0
	s_or_b64 s[0:1], s[0:1], s[2:3]
	s_andn2_b64 vcc, exec, s[0:1]
	s_cbranch_vccnz .LBB67_121
; %bb.5:
	s_load_dwordx2 s[0:1], s[4:5], 0x10
	s_load_dwordx2 s[8:9], s[4:5], 0x20
	s_ashr_i32 s7, s6, 31
	s_lshl_b64 s[2:3], s[6:7], 3
	s_waitcnt lgkmcnt(0)
	s_add_u32 s0, s0, s2
	s_addc_u32 s1, s1, s3
	s_load_dwordx4 s[36:39], s[0:1], 0x0
	s_load_dwordx2 s[40:41], s[4:5], 0x58
	s_load_dwordx8 s[24:31], s[4:5], 0x30
	s_lshl_b64 s[50:51], s[6:7], 2
	s_waitcnt lgkmcnt(0)
	s_sub_i32 s2, s38, s36
	s_add_u32 s0, s8, s50
	s_addc_u32 s1, s9, s51
	s_lshl_b64 s[8:9], s[36:37], 3
	s_add_u32 s42, s24, s8
	s_addc_u32 s43, s25, s9
	s_load_dword s33, s[0:1], 0x0
	s_load_dwordx2 s[44:45], s[42:43], 0x0
	s_cmp_lt_i32 s2, 2
	s_mov_b64 s[0:1], -1
	s_cbranch_scc0 .LBB67_72
; %bb.6:
	s_cmp_lg_u32 s2, 1
	s_cselect_b64 s[0:1], -1, 0
	s_waitcnt lgkmcnt(0)
	s_cmp_lg_u32 s33, 0
	s_cselect_b64 s[2:3], -1, 0
	s_or_b64 s[2:3], s[0:1], s[2:3]
	s_mov_b64 s[0:1], -1
	s_and_b64 vcc, exec, s[2:3]
	s_cbranch_vccnz .LBB67_35
; %bb.7:
	v_pk_mov_b32 v[2:3], s[36:37], s[36:37] op_sel:[0,1]
	v_cmp_le_i64_e32 vcc, s[38:39], v[2:3]
	s_cbranch_vccnz .LBB67_34
; %bb.8:
	v_subrev_co_u32_e32 v1, vcc, s48, v0
	v_subb_co_u32_e64 v10, s[0:1], 0, 0, vcc
	v_cmp_neq_f32_e64 s[20:21], s34, 0
	s_movk_i32 s0, 0x80
	s_add_u32 s7, s24, 8
	v_cndmask_b32_e64 v2, 0, 1, s[20:21]
	v_lshlrev_b32_e32 v11, 2, v0
	v_cmp_gt_u32_e64 s[0:1], s0, v0
	v_cmp_gt_u32_e64 s[2:3], 64, v0
	;; [unrolled: 1-line block ×7, first 2 shown]
	v_cmp_eq_u32_e64 s[18:19], 0, v0
	s_addc_u32 s35, s25, 0
	v_mov_b32_e32 v12, s31
	s_movk_i32 s47, 0x100
	v_mov_b32_e32 v13, 0
	v_cmp_ne_u32_e64 s[20:21], 1, v2
	v_pk_mov_b32 v[2:3], s[38:39], s[38:39] op_sel:[0,1]
	s_mov_b64 s[54:55], s[44:45]
	s_mov_b64 s[52:53], s[36:37]
	s_branch .LBB67_11
.LBB67_9:                               ;   in Loop: Header=BB67_11 Depth=1
	s_lshl_b64 s[56:57], s[52:53], 2
	s_add_u32 s56, s40, s56
	s_addc_u32 s57, s41, s57
	s_waitcnt lgkmcnt(0)
	global_store_dword v13, v4, s[56:57]
.LBB67_10:                              ;   in Loop: Header=BB67_11 Depth=1
	s_or_b64 exec, exec, s[22:23]
	s_add_u32 s52, s52, 1
	s_addc_u32 s53, s53, 0
	v_cmp_ge_i64_e32 vcc, s[52:53], v[2:3]
	s_cbranch_vccnz .LBB67_34
.LBB67_11:                              ; =>This Loop Header: Depth=1
                                        ;     Child Loop BB67_13 Depth 2
	s_mov_b64 s[22:23], s[54:55]
	s_lshl_b64 s[54:55], s[52:53], 3
	s_add_u32 s54, s7, s54
	s_addc_u32 s55, s35, s55
	s_load_dwordx2 s[54:55], s[54:55], 0x0
	v_mov_b32_e32 v5, s23
	v_add_co_u32_e32 v4, vcc, s22, v1
	v_addc_co_u32_e32 v5, vcc, v5, v10, vcc
	s_waitcnt lgkmcnt(0)
	s_sub_u32 s56, s54, s48
	s_subb_u32 s57, s55, 0
	v_cmp_gt_i64_e32 vcc, s[56:57], v[4:5]
	v_mov_b32_e32 v14, 0
	s_and_saveexec_b64 s[58:59], vcc
	s_cbranch_execz .LBB67_15
; %bb.12:                               ;   in Loop: Header=BB67_11 Depth=1
	v_lshlrev_b64 v[6:7], 1, v[4:5]
	v_mov_b32_e32 v8, s29
	v_add_co_u32_e32 v6, vcc, s28, v6
	v_addc_co_u32_e32 v7, vcc, v8, v7, vcc
	v_lshlrev_b64 v[8:9], 2, v[4:5]
	v_mov_b32_e32 v14, s27
	v_add_co_u32_e32 v8, vcc, s26, v8
	v_addc_co_u32_e32 v9, vcc, v14, v9, vcc
	s_mov_b64 s[60:61], 0
	v_mov_b32_e32 v14, 0
.LBB67_13:                              ;   Parent Loop BB67_11 Depth=1
                                        ; =>  This Inner Loop Header: Depth=2
	global_load_dword v15, v[8:9], off
	global_load_ushort v18, v[6:7], off
	s_waitcnt vmcnt(1)
	v_subrev_u32_e32 v16, s48, v15
	v_ashrrev_i32_e32 v17, 31, v16
	v_lshlrev_b64 v[16:17], 1, v[16:17]
	v_add_co_u32_e32 v16, vcc, s30, v16
	v_addc_co_u32_e32 v17, vcc, v12, v17, vcc
	global_load_ushort v15, v[16:17], off
	v_add_co_u32_e32 v4, vcc, s47, v4
	s_waitcnt vmcnt(1)
	v_cvt_f32_f16_e32 v16, v18
	v_addc_co_u32_e32 v5, vcc, 0, v5, vcc
	v_add_co_u32_e32 v6, vcc, 0x200, v6
	v_addc_co_u32_e32 v7, vcc, 0, v7, vcc
	v_add_co_u32_e32 v8, vcc, 0x400, v8
	v_cmp_le_i64_e64 s[22:23], s[56:57], v[4:5]
	v_mul_f32_e32 v16, s46, v16
	v_addc_co_u32_e32 v9, vcc, 0, v9, vcc
	s_or_b64 s[60:61], s[22:23], s[60:61]
	s_waitcnt vmcnt(0)
	v_fma_mix_f32 v14, v16, v15, v14 op_sel_hi:[0,1,0]
	s_andn2_b64 exec, exec, s[60:61]
	s_cbranch_execnz .LBB67_13
; %bb.14:                               ;   in Loop: Header=BB67_11 Depth=1
	s_or_b64 exec, exec, s[60:61]
.LBB67_15:                              ;   in Loop: Header=BB67_11 Depth=1
	s_or_b64 exec, exec, s[58:59]
	ds_write_b32 v11, v14
	s_waitcnt lgkmcnt(0)
	s_barrier
	s_and_saveexec_b64 s[22:23], s[0:1]
	s_cbranch_execz .LBB67_17
; %bb.16:                               ;   in Loop: Header=BB67_11 Depth=1
	ds_read2st64_b32 v[4:5], v11 offset1:2
	s_waitcnt lgkmcnt(0)
	v_add_f32_e32 v4, v4, v5
	ds_write_b32 v11, v4
.LBB67_17:                              ;   in Loop: Header=BB67_11 Depth=1
	s_or_b64 exec, exec, s[22:23]
	s_waitcnt lgkmcnt(0)
	s_barrier
	s_and_saveexec_b64 s[22:23], s[2:3]
	s_cbranch_execz .LBB67_19
; %bb.18:                               ;   in Loop: Header=BB67_11 Depth=1
	ds_read2st64_b32 v[4:5], v11 offset1:1
	s_waitcnt lgkmcnt(0)
	v_add_f32_e32 v4, v4, v5
	ds_write_b32 v11, v4
.LBB67_19:                              ;   in Loop: Header=BB67_11 Depth=1
	s_or_b64 exec, exec, s[22:23]
	s_waitcnt lgkmcnt(0)
	s_barrier
	s_and_saveexec_b64 s[22:23], s[8:9]
	s_cbranch_execz .LBB67_21
; %bb.20:                               ;   in Loop: Header=BB67_11 Depth=1
	ds_read2_b32 v[4:5], v11 offset1:32
	s_waitcnt lgkmcnt(0)
	v_add_f32_e32 v4, v4, v5
	ds_write_b32 v11, v4
.LBB67_21:                              ;   in Loop: Header=BB67_11 Depth=1
	s_or_b64 exec, exec, s[22:23]
	s_waitcnt lgkmcnt(0)
	s_barrier
	s_and_saveexec_b64 s[22:23], s[10:11]
	s_cbranch_execz .LBB67_23
; %bb.22:                               ;   in Loop: Header=BB67_11 Depth=1
	ds_read2_b32 v[4:5], v11 offset1:16
	s_waitcnt lgkmcnt(0)
	v_add_f32_e32 v4, v4, v5
	ds_write_b32 v11, v4
.LBB67_23:                              ;   in Loop: Header=BB67_11 Depth=1
	;; [unrolled: 11-line block ×5, first 2 shown]
	s_or_b64 exec, exec, s[22:23]
	s_waitcnt lgkmcnt(0)
	s_barrier
	s_and_saveexec_b64 s[22:23], s[18:19]
	s_cbranch_execz .LBB67_31
; %bb.30:                               ;   in Loop: Header=BB67_11 Depth=1
	ds_read_b64 v[4:5], v13
	s_waitcnt lgkmcnt(0)
	v_add_f32_e32 v4, v4, v5
	ds_write_b32 v13, v4
.LBB67_31:                              ;   in Loop: Header=BB67_11 Depth=1
	s_or_b64 exec, exec, s[22:23]
	s_waitcnt lgkmcnt(0)
	s_barrier
	s_and_saveexec_b64 s[22:23], s[18:19]
	s_cbranch_execz .LBB67_10
; %bb.32:                               ;   in Loop: Header=BB67_11 Depth=1
	ds_read_b32 v4, v13
	s_and_b64 vcc, exec, s[20:21]
	s_cbranch_vccnz .LBB67_9
; %bb.33:                               ;   in Loop: Header=BB67_11 Depth=1
	s_lshl_b64 s[56:57], s[52:53], 2
	s_add_u32 s56, s40, s56
	s_addc_u32 s57, s41, s57
	global_load_dword v5, v13, s[56:57]
	s_waitcnt vmcnt(0) lgkmcnt(0)
	v_fmac_f32_e32 v4, s34, v5
	s_branch .LBB67_9
.LBB67_34:
	s_mov_b64 s[0:1], 0
.LBB67_35:
	s_andn2_b64 vcc, exec, s[0:1]
	s_cbranch_vccnz .LBB67_71
; %bb.36:
	s_load_dwordx2 s[8:9], s[4:5], 0x18
	s_sub_i32 s6, s6, s33
	v_or_b32_e32 v1, s33, v0
	v_cmp_eq_u32_e32 vcc, 0, v1
	v_mov_b32_e32 v1, 0
	s_waitcnt lgkmcnt(0)
	s_add_u32 s2, s8, s50
	s_addc_u32 s3, s9, s51
	s_load_dword s16, s[2:3], 0x0
	s_and_saveexec_b64 s[0:1], vcc
	s_cbranch_execz .LBB67_40
; %bb.37:
	s_lshl_b64 s[12:13], s[36:37], 2
	s_add_u32 s12, s40, s12
	s_addc_u32 s13, s41, s13
	s_load_dword s14, s[12:13], 0x0
	s_mov_b64 s[10:11], exec
	v_mbcnt_lo_u32_b32 v2, s10, 0
	v_mbcnt_hi_u32_b32 v2, s11, v2
	v_add_f32_e64 v1, s34, -1.0
	v_cmp_eq_u32_e32 vcc, 0, v2
	s_waitcnt vmcnt(0) expcnt(0) lgkmcnt(0)
	s_and_saveexec_b64 s[12:13], vcc
	s_cbranch_execz .LBB67_39
; %bb.38:
	s_ashr_i32 s7, s6, 31
	s_lshl_b64 s[18:19], s[6:7], 2
	s_add_u32 s18, s8, s18
	s_addc_u32 s19, s9, s19
	s_bcnt1_i32_b64 s7, s[10:11]
	s_and_b32 s7, s7, 1
	v_mov_b32_e32 v2, 0
	v_mov_b32_e32 v3, s7
	global_atomic_xor v2, v3, s[18:19]
.LBB67_39:
	s_or_b64 exec, exec, s[12:13]
	v_mul_f32_e32 v1, s14, v1
.LBB67_40:
	s_or_b64 exec, exec, s[0:1]
	s_load_dwordx2 s[0:1], s[42:43], 0x8
	s_sub_u32 s11, s44, s48
	s_mul_i32 s7, s33, 0xc00
	s_subb_u32 s12, s45, 0
	s_mul_hi_i32 s10, s33, 0xc00
	s_add_u32 s7, s11, s7
	s_addc_u32 s12, s12, s10
	s_waitcnt lgkmcnt(0)
	s_sub_u32 s0, s0, s48
	v_mov_b32_e32 v3, s12
	v_add_co_u32_e32 v2, vcc, s7, v0
	s_subb_u32 s1, s1, 0
	v_addc_co_u32_e32 v3, vcc, 0, v3, vcc
	v_cmp_gt_i64_e32 vcc, s[0:1], v[2:3]
	s_and_saveexec_b64 s[10:11], vcc
	s_cbranch_execz .LBB67_44
; %bb.41:
	s_add_u32 s14, s7, 0xc00
	s_addc_u32 s15, s12, 0
	v_pk_mov_b32 v[4:5], s[0:1], s[0:1] op_sel:[0,1]
	v_cmp_lt_i64_e32 vcc, s[14:15], v[4:5]
	v_lshlrev_b64 v[4:5], 1, v[2:3]
	s_and_b64 s[12:13], vcc, exec
	v_mov_b32_e32 v6, s29
	v_add_co_u32_e32 v4, vcc, s28, v4
	v_addc_co_u32_e32 v5, vcc, v6, v5, vcc
	v_lshlrev_b64 v[6:7], 2, v[2:3]
	v_mov_b32_e32 v8, s27
	v_add_co_u32_e32 v6, vcc, s26, v6
	s_cselect_b32 s13, s15, s1
	s_cselect_b32 s12, s14, s0
	v_addc_co_u32_e32 v7, vcc, v8, v7, vcc
	s_mov_b64 s[14:15], 0
	v_mov_b32_e32 v8, s31
	s_movk_i32 s7, 0x100
.LBB67_42:                              ; =>This Inner Loop Header: Depth=1
	global_load_dword v9, v[6:7], off
	global_load_ushort v12, v[4:5], off
	s_waitcnt vmcnt(1)
	v_subrev_u32_e32 v10, s48, v9
	v_ashrrev_i32_e32 v11, 31, v10
	v_lshlrev_b64 v[10:11], 1, v[10:11]
	v_add_co_u32_e32 v10, vcc, s30, v10
	v_addc_co_u32_e32 v11, vcc, v8, v11, vcc
	global_load_ushort v9, v[10:11], off
	v_add_co_u32_e32 v2, vcc, s7, v2
	s_waitcnt vmcnt(1)
	v_cvt_f32_f16_e32 v10, v12
	v_addc_co_u32_e32 v3, vcc, 0, v3, vcc
	v_add_co_u32_e32 v4, vcc, 0x200, v4
	v_addc_co_u32_e32 v5, vcc, 0, v5, vcc
	v_add_co_u32_e32 v6, vcc, 0x400, v6
	v_cmp_le_i64_e64 s[0:1], s[12:13], v[2:3]
	v_mul_f32_e32 v10, s46, v10
	v_addc_co_u32_e32 v7, vcc, 0, v7, vcc
	s_or_b64 s[14:15], s[0:1], s[14:15]
	s_waitcnt vmcnt(0)
	v_fma_mix_f32 v1, v10, v9, v1 op_sel_hi:[0,1,0]
	s_andn2_b64 exec, exec, s[14:15]
	s_cbranch_execnz .LBB67_42
; %bb.43:
	s_or_b64 exec, exec, s[14:15]
.LBB67_44:
	s_or_b64 exec, exec, s[10:11]
	s_movk_i32 s0, 0x80
	v_lshlrev_b32_e32 v2, 2, v0
	v_cmp_gt_u32_e32 vcc, s0, v0
	ds_write_b32 v2, v1
	s_waitcnt lgkmcnt(0)
	s_barrier
	s_and_saveexec_b64 s[0:1], vcc
	s_cbranch_execz .LBB67_46
; %bb.45:
	ds_read2st64_b32 v[4:5], v2 offset1:2
	s_waitcnt lgkmcnt(0)
	v_add_f32_e32 v1, v4, v5
	ds_write_b32 v2, v1
.LBB67_46:
	s_or_b64 exec, exec, s[0:1]
	v_cmp_gt_u32_e32 vcc, 64, v0
	s_waitcnt lgkmcnt(0)
	s_barrier
	s_and_saveexec_b64 s[0:1], vcc
	s_cbranch_execz .LBB67_48
; %bb.47:
	ds_read2st64_b32 v[4:5], v2 offset1:1
	s_waitcnt lgkmcnt(0)
	v_add_f32_e32 v1, v4, v5
	ds_write_b32 v2, v1
.LBB67_48:
	s_or_b64 exec, exec, s[0:1]
	v_cmp_gt_u32_e32 vcc, 32, v0
	s_waitcnt lgkmcnt(0)
	s_barrier
	s_and_saveexec_b64 s[0:1], vcc
	s_cbranch_execz .LBB67_50
; %bb.49:
	ds_read2_b32 v[4:5], v2 offset1:32
	s_waitcnt lgkmcnt(0)
	v_add_f32_e32 v1, v4, v5
	ds_write_b32 v2, v1
.LBB67_50:
	s_or_b64 exec, exec, s[0:1]
	v_cmp_gt_u32_e32 vcc, 16, v0
	s_waitcnt lgkmcnt(0)
	s_barrier
	s_and_saveexec_b64 s[0:1], vcc
	s_cbranch_execz .LBB67_52
; %bb.51:
	ds_read2_b32 v[4:5], v2 offset1:16
	s_waitcnt lgkmcnt(0)
	v_add_f32_e32 v1, v4, v5
	ds_write_b32 v2, v1
.LBB67_52:
	s_or_b64 exec, exec, s[0:1]
	v_cmp_gt_u32_e32 vcc, 8, v0
	s_waitcnt lgkmcnt(0)
	s_barrier
	s_and_saveexec_b64 s[0:1], vcc
	s_cbranch_execz .LBB67_54
; %bb.53:
	ds_read2_b32 v[4:5], v2 offset1:8
	s_waitcnt lgkmcnt(0)
	v_add_f32_e32 v1, v4, v5
	ds_write_b32 v2, v1
.LBB67_54:
	s_or_b64 exec, exec, s[0:1]
	v_cmp_gt_u32_e32 vcc, 4, v0
	s_waitcnt lgkmcnt(0)
	s_barrier
	s_and_saveexec_b64 s[0:1], vcc
	s_cbranch_execz .LBB67_56
; %bb.55:
	ds_read2_b32 v[4:5], v2 offset1:4
	s_waitcnt lgkmcnt(0)
	v_add_f32_e32 v1, v4, v5
	ds_write_b32 v2, v1
.LBB67_56:
	s_or_b64 exec, exec, s[0:1]
	v_cmp_gt_u32_e32 vcc, 2, v0
	s_waitcnt lgkmcnt(0)
	s_barrier
	s_and_saveexec_b64 s[0:1], vcc
	s_cbranch_execz .LBB67_58
; %bb.57:
	ds_read2_b32 v[4:5], v2 offset1:2
	s_waitcnt lgkmcnt(0)
	v_add_f32_e32 v1, v4, v5
	ds_write_b32 v2, v1
.LBB67_58:
	s_or_b64 exec, exec, s[0:1]
	v_cmp_eq_u32_e32 vcc, 0, v0
	s_waitcnt lgkmcnt(0)
	s_barrier
	s_and_saveexec_b64 s[0:1], vcc
	s_cbranch_execz .LBB67_60
; %bb.59:
	v_mov_b32_e32 v1, 0
	ds_read_b64 v[2:3], v1
	s_waitcnt lgkmcnt(0)
	v_add_f32_e32 v2, v2, v3
	ds_write_b32 v1, v2
.LBB67_60:
	s_or_b64 exec, exec, s[0:1]
	s_waitcnt lgkmcnt(0)
	s_barrier
	s_and_saveexec_b64 s[0:1], vcc
	s_cbranch_execz .LBB67_70
; %bb.61:
	s_cmp_eq_u32 s33, 0
	s_cbranch_scc1 .LBB67_67
; %bb.62:
	s_ashr_i32 s7, s6, 31
	s_lshl_b64 s[6:7], s[6:7], 2
	s_add_u32 s6, s8, s6
	s_addc_u32 s7, s9, s7
	v_mov_b32_e32 v1, 0
	s_branch .LBB67_64
.LBB67_63:                              ;   in Loop: Header=BB67_64 Depth=1
	s_or_b64 exec, exec, s[8:9]
	s_waitcnt vmcnt(0)
	v_readfirstlane_b32 s8, v2
	s_cmp_eq_u32 s8, s16
	s_cbranch_scc0 .LBB67_66
.LBB67_64:                              ; =>This Inner Loop Header: Depth=1
	v_mbcnt_lo_u32_b32 v2, exec_lo, 0
	v_mbcnt_hi_u32_b32 v2, exec_hi, v2
	v_cmp_eq_u32_e32 vcc, 0, v2
                                        ; implicit-def: $vgpr2
	s_and_saveexec_b64 s[8:9], vcc
	s_cbranch_execz .LBB67_63
; %bb.65:                               ;   in Loop: Header=BB67_64 Depth=1
	global_load_dword v2, v1, s[6:7] glc
	s_branch .LBB67_63
.LBB67_66:
	v_mov_b32_e32 v1, 0
	global_load_dword v2, v1, s[2:3]
	s_waitcnt vmcnt(0)
	v_xor_b32_e32 v2, 1, v2
	global_store_dword v1, v2, s[2:3]
.LBB67_67:
	s_mov_b64 s[6:7], exec
	v_mbcnt_lo_u32_b32 v1, s6, 0
	v_mbcnt_hi_u32_b32 v1, s7, v1
	v_cmp_eq_u32_e32 vcc, 0, v1
	s_and_b64 s[2:3], exec, vcc
	s_mov_b64 exec, s[2:3]
	s_cbranch_execz .LBB67_70
; %bb.68:
	s_lshl_b64 s[2:3], s[36:37], 2
	s_add_u32 s2, s40, s2
	s_addc_u32 s3, s41, s3
	v_mov_b32_e32 v1, 0
	global_load_dword v3, v1, s[2:3]
	ds_read_b32 v2, v1
	s_bcnt1_i32_b64 s6, s[6:7]
	v_cvt_f32_ubyte0_e32 v4, s6
	s_mov_b64 s[6:7], 0
	s_waitcnt lgkmcnt(0)
	v_mul_f32_e32 v4, v2, v4
.LBB67_69:                              ; =>This Inner Loop Header: Depth=1
	s_waitcnt vmcnt(0)
	v_add_f32_e32 v2, v3, v4
	global_atomic_cmpswap v2, v1, v[2:3], s[2:3] glc
	s_waitcnt vmcnt(0)
	v_cmp_eq_u32_e32 vcc, v2, v3
	s_or_b64 s[6:7], vcc, s[6:7]
	v_mov_b32_e32 v3, v2
	s_andn2_b64 exec, exec, s[6:7]
	s_cbranch_execnz .LBB67_69
.LBB67_70:
	s_or_b64 exec, exec, s[0:1]
.LBB67_71:
	s_mov_b64 s[0:1], 0
.LBB67_72:
	s_andn2_b64 vcc, exec, s[0:1]
	s_cbranch_vccnz .LBB67_121
; %bb.73:
	s_load_dwordx2 s[0:1], s[4:5], 0x8
	v_subrev_co_u32_e32 v1, vcc, s48, v0
	v_subb_co_u32_e64 v2, s[2:3], 0, 0, vcc
	s_waitcnt lgkmcnt(0)
	v_mov_b32_e32 v3, s45
	v_add_co_u32_e32 v4, vcc, s44, v1
	v_addc_co_u32_e32 v5, vcc, v3, v2, vcc
	v_add_co_u32_e32 v2, vcc, 0x300, v4
	v_addc_co_u32_e32 v3, vcc, 0, v5, vcc
	s_mov_b32 s16, 0
	v_cmp_le_i64_e32 vcc, s[0:1], v[2:3]
	s_and_saveexec_b64 s[0:1], vcc
	s_xor_b64 s[2:3], exec, s[0:1]
	s_cbranch_execz .LBB67_83
; %bb.74:
	s_lshl_b64 s[0:1], s[38:39], 3
	s_add_u32 s0, s24, s0
	s_addc_u32 s1, s25, s1
	s_load_dwordx2 s[0:1], s[0:1], 0x0
	s_waitcnt lgkmcnt(0)
	s_sub_u32 s4, s0, s48
	s_subb_u32 s5, s1, 0
	v_cmp_gt_i64_e32 vcc, s[4:5], v[4:5]
	s_and_saveexec_b64 s[6:7], vcc
	s_cbranch_execz .LBB67_82
; %bb.75:
	v_mov_b32_e32 v1, s45
	v_add_co_u32_e32 v2, vcc, s44, v0
	v_addc_co_u32_e32 v1, vcc, 0, v1, vcc
	v_mov_b32_e32 v3, s16
	v_subrev_co_u32_e32 v2, vcc, s48, v2
	v_subb_co_u32_e32 v1, vcc, v1, v3, vcc
	v_add_co_u32_e32 v2, vcc, 0x100, v2
	v_addc_co_u32_e32 v3, vcc, 0, v1, vcc
	v_mov_b32_e32 v1, s5
	v_cmp_lt_i64_e32 vcc, s[4:5], v[2:3]
	s_not_b64 s[0:1], s[44:45]
	v_cndmask_b32_e32 v1, v1, v3, vcc
	v_mov_b32_e32 v3, s4
	s_add_u32 s0, s0, s48
	v_cndmask_b32_e32 v2, v3, v2, vcc
	s_addc_u32 s1, s1, 0
	v_mov_b32_e32 v3, s1
	v_add_co_u32_e32 v2, vcc, s0, v2
	v_addc_co_u32_e32 v1, vcc, v3, v1, vcc
	v_sub_co_u32_e32 v2, vcc, v2, v0
	v_subbrev_co_u32_e32 v3, vcc, 0, v1, vcc
	s_mov_b64 s[0:1], 0xff
	s_mov_b64 s[8:9], 0x100
	v_cmp_lt_u64_e32 vcc, s[0:1], v[2:3]
	s_mov_b64 s[0:1], -1
	v_pk_mov_b32 v[10:11], 0, 0
	s_and_saveexec_b64 s[10:11], vcc
	s_cbranch_execz .LBB67_79
; %bb.76:
	v_lshrrev_b64 v[2:3], 8, v[2:3]
	v_add_co_u32_e32 v6, vcc, 1, v2
	v_addc_co_u32_e32 v7, vcc, 0, v3, vcc
	v_and_b32_e32 v8, -2, v6
	v_mov_b32_e32 v9, v7
	v_mov_b32_e32 v2, v4
	;; [unrolled: 1-line block ×3, first 2 shown]
	s_mov_b32 s47, s46
	s_mov_b32 s17, s48
	;; [unrolled: 1-line block ×3, first 2 shown]
	v_mov_b32_e32 v1, v0
	s_mov_b64 s[12:13], 0
	v_mov_b32_e32 v12, s29
	v_mov_b32_e32 v13, s27
	;; [unrolled: 1-line block ×3, first 2 shown]
	v_pk_mov_b32 v[10:11], v[8:9], v[8:9] op_sel:[0,1]
	s_mov_b64 s[14:15], 0
.LBB67_77:                              ; =>This Inner Loop Header: Depth=1
	v_mov_b32_e32 v17, s15
	v_add_co_u32_e32 v16, vcc, s14, v4
	v_addc_co_u32_e32 v17, vcc, v17, v5, vcc
	v_mov_b32_e32 v15, s9
	v_add_co_u32_e64 v18, s[0:1], s8, v2
	v_lshlrev_b64 v[20:21], 2, v[16:17]
	v_addc_co_u32_e64 v19, s[0:1], v15, v3, s[0:1]
	v_add_co_u32_e32 v20, vcc, s26, v20
	v_lshlrev_b64 v[22:23], 2, v[18:19]
	v_addc_co_u32_e32 v21, vcc, v13, v21, vcc
	v_add_co_u32_e32 v22, vcc, s26, v22
	v_addc_co_u32_e32 v23, vcc, v13, v23, vcc
	global_load_dword v15, v[20:21], off
	global_load_dword v24, v[22:23], off
	v_lshlrev_b64 v[16:17], 1, v[16:17]
	v_add_co_u32_e32 v16, vcc, s28, v16
	v_lshlrev_b64 v[18:19], 1, v[18:19]
	v_addc_co_u32_e32 v17, vcc, v12, v17, vcc
	v_add_co_u32_e32 v18, vcc, s28, v18
	v_addc_co_u32_e32 v19, vcc, v12, v19, vcc
	global_load_ushort v20, v[16:17], off
	global_load_ushort v21, v[18:19], off
	v_add_lshl_u32 v23, v0, s14, 2
	s_add_u32 s14, s14, 0x200
	s_addc_u32 s15, s15, 0
	s_waitcnt vmcnt(3)
	v_subrev_u32_e32 v16, s17, v15
	v_ashrrev_i32_e32 v17, 31, v16
	s_waitcnt vmcnt(2)
	v_subrev_u32_e32 v18, s18, v24
	v_lshlrev_b64 v[16:17], 1, v[16:17]
	v_ashrrev_i32_e32 v19, 31, v18
	v_add_co_u32_e32 v16, vcc, s30, v16
	v_lshlrev_b64 v[18:19], 1, v[18:19]
	v_addc_co_u32_e32 v17, vcc, v14, v17, vcc
	v_add_co_u32_e32 v18, vcc, s30, v18
	v_addc_co_u32_e32 v19, vcc, v14, v19, vcc
	global_load_ushort v15, v[18:19], off
	global_load_ushort v22, v[16:17], off
	s_waitcnt vmcnt(2)
	v_cvt_f32_f16_e32 v17, v21
	v_cvt_f32_f16_e32 v16, v20
	v_add_co_u32_e32 v10, vcc, -2, v10
	v_add_lshl_u32 v24, v1, s8, 2
	v_addc_co_u32_e32 v11, vcc, -1, v11, vcc
	s_add_u32 s8, s8, 0x200
	v_cmp_eq_u64_e32 vcc, 0, v[10:11]
	s_addc_u32 s9, s9, 0
	v_pk_mul_f32 v[16:17], s[46:47], v[16:17]
	s_or_b64 s[12:13], vcc, s[12:13]
	s_waitcnt vmcnt(1)
	v_cvt_f32_f16_e32 v19, v15
	s_waitcnt vmcnt(0)
	v_cvt_f32_f16_e32 v18, v22
	v_pk_mul_f32 v[16:17], v[16:17], v[18:19]
	ds_write_b32 v23, v16
	ds_write_b32 v24, v17
	s_andn2_b64 exec, exec, s[12:13]
	s_cbranch_execnz .LBB67_77
; %bb.78:
	s_or_b64 exec, exec, s[12:13]
	v_cmp_ne_u64_e32 vcc, v[6:7], v[8:9]
	v_lshlrev_b64 v[10:11], 8, v[8:9]
	s_orn2_b64 s[0:1], vcc, exec
.LBB67_79:
	s_or_b64 exec, exec, s[10:11]
	s_and_b64 exec, exec, s[0:1]
	s_cbranch_execz .LBB67_82
; %bb.80:
	v_mov_b32_e32 v1, s45
	v_add_co_u32_e32 v2, vcc, s44, v10
	v_addc_co_u32_e32 v1, vcc, v11, v1, vcc
	v_add_co_u32_e32 v2, vcc, v2, v0
	v_addc_co_u32_e32 v1, vcc, 0, v1, vcc
	v_mov_b32_e32 v3, s16
	v_subrev_co_u32_e32 v2, vcc, s48, v2
	v_subb_co_u32_e32 v3, vcc, v1, v3, vcc
	v_lshlrev_b64 v[4:5], 1, v[2:3]
	v_mov_b32_e32 v6, s29
	v_add_co_u32_e32 v4, vcc, s28, v4
	v_addc_co_u32_e32 v5, vcc, v6, v5, vcc
	v_lshlrev_b64 v[6:7], 2, v[2:3]
	v_mov_b32_e32 v8, s27
	v_add_co_u32_e32 v6, vcc, s26, v6
	v_add_lshl_u32 v1, v0, v10, 2
	v_addc_co_u32_e32 v7, vcc, v8, v7, vcc
	s_mov_b64 s[8:9], 0
	v_mov_b32_e32 v8, s31
	s_movk_i32 s10, 0x100
.LBB67_81:                              ; =>This Inner Loop Header: Depth=1
	global_load_dword v9, v[6:7], off
	global_load_ushort v12, v[4:5], off
	s_waitcnt vmcnt(1)
	v_subrev_u32_e32 v10, s48, v9
	v_ashrrev_i32_e32 v11, 31, v10
	v_lshlrev_b64 v[10:11], 1, v[10:11]
	v_add_co_u32_e32 v10, vcc, s30, v10
	v_addc_co_u32_e32 v11, vcc, v8, v11, vcc
	global_load_ushort v9, v[10:11], off
	s_waitcnt vmcnt(1)
	v_cvt_f32_f16_e32 v10, v12
	v_add_co_u32_e32 v2, vcc, s10, v2
	v_addc_co_u32_e32 v3, vcc, 0, v3, vcc
	v_add_co_u32_e32 v4, vcc, 0x200, v4
	v_addc_co_u32_e32 v5, vcc, 0, v5, vcc
	v_mul_f32_e32 v10, s46, v10
	v_add_co_u32_e32 v6, vcc, 0x400, v6
	v_cmp_le_i64_e64 s[0:1], s[4:5], v[2:3]
	v_addc_co_u32_e32 v7, vcc, 0, v7, vcc
	s_or_b64 s[8:9], s[0:1], s[8:9]
	s_waitcnt vmcnt(0)
	v_cvt_f32_f16_e32 v9, v9
	v_mul_f32_e32 v9, v10, v9
	ds_write_b32 v1, v9
	v_add_u32_e32 v1, 0x400, v1
	s_andn2_b64 exec, exec, s[8:9]
	s_cbranch_execnz .LBB67_81
.LBB67_82:
	s_or_b64 exec, exec, s[6:7]
                                        ; implicit-def: $vgpr4_vgpr5
.LBB67_83:
	s_or_saveexec_b64 s[0:1], s[2:3]
	v_lshlrev_b32_e32 v1, 2, v0
	s_xor_b64 exec, exec, s[0:1]
	s_cbranch_execz .LBB67_85
; %bb.84:
	v_lshlrev_b64 v[2:3], 2, v[4:5]
	v_mov_b32_e32 v6, s27
	v_add_co_u32_e32 v2, vcc, s26, v2
	v_addc_co_u32_e32 v3, vcc, v6, v3, vcc
	global_load_dword v6, v[2:3], off
	global_load_dword v7, v[2:3], off offset:1024
	global_load_dword v8, v[2:3], off offset:2048
	;; [unrolled: 1-line block ×3, first 2 shown]
	v_lshlrev_b64 v[2:3], 1, v[4:5]
	v_mov_b32_e32 v4, s29
	v_add_co_u32_e32 v2, vcc, s28, v2
	v_addc_co_u32_e32 v3, vcc, v4, v3, vcc
	global_load_ushort v11, v[2:3], off
	global_load_ushort v12, v[2:3], off offset:512
	global_load_ushort v13, v[2:3], off offset:1024
	;; [unrolled: 1-line block ×3, first 2 shown]
	v_mov_b32_e32 v10, s31
	s_waitcnt vmcnt(7)
	v_subrev_u32_e32 v2, s48, v6
	v_ashrrev_i32_e32 v3, 31, v2
	s_waitcnt vmcnt(6)
	v_subrev_u32_e32 v4, s48, v7
	v_lshlrev_b64 v[2:3], 1, v[2:3]
	v_ashrrev_i32_e32 v5, 31, v4
	v_add_co_u32_e32 v2, vcc, s30, v2
	s_waitcnt vmcnt(5)
	v_subrev_u32_e32 v6, s48, v8
	v_lshlrev_b64 v[4:5], 1, v[4:5]
	v_addc_co_u32_e32 v3, vcc, v10, v3, vcc
	v_ashrrev_i32_e32 v7, 31, v6
	v_add_co_u32_e32 v4, vcc, s30, v4
	s_waitcnt vmcnt(4)
	v_subrev_u32_e32 v8, s48, v9
	v_lshlrev_b64 v[6:7], 1, v[6:7]
	v_addc_co_u32_e32 v5, vcc, v10, v5, vcc
	v_ashrrev_i32_e32 v9, 31, v8
	v_add_co_u32_e32 v6, vcc, s30, v6
	v_lshlrev_b64 v[8:9], 1, v[8:9]
	v_addc_co_u32_e32 v7, vcc, v10, v7, vcc
	v_add_co_u32_e32 v8, vcc, s30, v8
	v_addc_co_u32_e32 v9, vcc, v10, v9, vcc
	global_load_ushort v10, v[2:3], off
	global_load_ushort v15, v[4:5], off
	;; [unrolled: 1-line block ×4, first 2 shown]
	s_waitcnt vmcnt(7)
	v_cvt_f32_f16_e32 v2, v11
	s_waitcnt vmcnt(6)
	v_cvt_f32_f16_e32 v3, v12
	;; [unrolled: 2-line block ×4, first 2 shown]
	v_mul_f32_e32 v2, s46, v2
	v_mul_f32_e32 v3, s46, v3
	;; [unrolled: 1-line block ×4, first 2 shown]
	s_waitcnt vmcnt(3)
	v_cvt_f32_f16_e32 v6, v10
	s_waitcnt vmcnt(2)
	v_cvt_f32_f16_e32 v7, v15
	;; [unrolled: 2-line block ×4, first 2 shown]
	v_mul_f32_e32 v2, v2, v6
	v_mul_f32_e32 v3, v3, v7
	;; [unrolled: 1-line block ×4, first 2 shown]
	ds_write2st64_b32 v1, v2, v3 offset1:4
	ds_write2st64_b32 v1, v4, v5 offset0:8 offset1:12
.LBB67_85:
	s_or_b64 exec, exec, s[0:1]
	s_cmp_lt_i32 s33, 2
	s_mov_b64 s[0:1], -1
	s_waitcnt lgkmcnt(0)
	s_barrier
	s_cbranch_scc0 .LBB67_96
; %bb.86:
	v_mov_b32_e32 v2, s37
	v_add_co_u32_e32 v6, vcc, s36, v0
	v_addc_co_u32_e32 v7, vcc, 0, v2, vcc
	v_cmp_gt_i64_e32 vcc, s[38:39], v[6:7]
	s_and_saveexec_b64 s[0:1], vcc
	s_cbranch_execz .LBB67_95
; %bb.87:
	s_lshl_b32 s4, s44, 2
	v_cmp_neq_f32_e64 s[2:3], s34, 0
	s_sub_i32 s10, 0, s4
	s_mov_b64 s[4:5], 0
	v_mov_b32_e32 v8, s25
	v_mov_b32_e32 v9, s41
	s_branch .LBB67_89
.LBB67_88:                              ;   in Loop: Header=BB67_89 Depth=1
	v_add_co_u32_e32 v2, vcc, s40, v2
	v_addc_co_u32_e32 v3, vcc, v9, v3, vcc
	v_add_co_u32_e32 v6, vcc, 0x100, v6
	v_addc_co_u32_e32 v7, vcc, 0, v7, vcc
	v_cmp_le_i64_e32 vcc, s[38:39], v[6:7]
	s_or_b64 s[4:5], vcc, s[4:5]
	global_store_dword v[2:3], v4, off
	s_andn2_b64 exec, exec, s[4:5]
	s_cbranch_execz .LBB67_95
.LBB67_89:                              ; =>This Loop Header: Depth=1
                                        ;     Child Loop BB67_91 Depth 2
	v_lshlrev_b64 v[2:3], 3, v[6:7]
	v_add_co_u32_e32 v2, vcc, s24, v2
	v_addc_co_u32_e32 v3, vcc, v8, v3, vcc
	global_load_dwordx4 v[2:5], v[2:3], off
	s_waitcnt vmcnt(0)
	v_subrev_u32_e32 v3, s44, v2
	v_subrev_u32_e32 v5, s44, v4
	v_cmp_lt_i32_e32 vcc, v3, v5
	v_mov_b32_e32 v4, 0
	s_and_saveexec_b64 s[6:7], vcc
	s_cbranch_execz .LBB67_93
; %bb.90:                               ;   in Loop: Header=BB67_89 Depth=1
	v_lshl_add_u32 v2, v2, 2, s10
	s_mov_b64 s[8:9], 0
	v_mov_b32_e32 v4, 0
.LBB67_91:                              ;   Parent Loop BB67_89 Depth=1
                                        ; =>  This Inner Loop Header: Depth=2
	ds_read_b32 v10, v2
	v_add_u32_e32 v3, 1, v3
	v_cmp_ge_i32_e32 vcc, v3, v5
	v_add_u32_e32 v2, 4, v2
	s_or_b64 s[8:9], vcc, s[8:9]
	s_waitcnt lgkmcnt(0)
	v_add_f32_e32 v4, v4, v10
	s_andn2_b64 exec, exec, s[8:9]
	s_cbranch_execnz .LBB67_91
; %bb.92:                               ;   in Loop: Header=BB67_89 Depth=1
	s_or_b64 exec, exec, s[8:9]
.LBB67_93:                              ;   in Loop: Header=BB67_89 Depth=1
	s_or_b64 exec, exec, s[6:7]
	s_and_b64 vcc, exec, s[2:3]
	v_lshlrev_b64 v[2:3], 2, v[6:7]
	s_cbranch_vccz .LBB67_88
; %bb.94:                               ;   in Loop: Header=BB67_89 Depth=1
	v_mov_b32_e32 v5, s41
	v_add_co_u32_e32 v10, vcc, s40, v2
	v_addc_co_u32_e32 v11, vcc, v5, v3, vcc
	global_load_dword v5, v[10:11], off
	s_waitcnt vmcnt(0)
	v_fmac_f32_e32 v4, s34, v5
	s_branch .LBB67_88
.LBB67_95:
	s_or_b64 exec, exec, s[0:1]
	s_mov_b64 s[0:1], 0
.LBB67_96:
	s_andn2_b64 vcc, exec, s[0:1]
	s_cbranch_vccnz .LBB67_121
; %bb.97:
	s_flbit_i32_b32 s0, s33
	s_xor_b32 s0, s0, 31
	v_lshrrev_b32_e32 v4, s0, v0
	v_mov_b32_e32 v3, s37
	v_add_co_u32_e32 v2, vcc, s36, v4
	v_addc_co_u32_e32 v3, vcc, 0, v3, vcc
	s_add_i32 s0, s33, -1
	v_mov_b32_e32 v5, 0
	v_and_b32_e32 v0, s0, v0
	v_cmp_le_i64_e32 vcc, s[38:39], v[2:3]
	v_cmp_gt_i64_e64 s[0:1], s[38:39], v[2:3]
	s_and_saveexec_b64 s[2:3], s[0:1]
	s_cbranch_execz .LBB67_103
; %bb.98:
	v_lshlrev_b32_e32 v4, 3, v4
	global_load_dword v5, v4, s[42:43] offset:8
	global_load_dword v6, v4, s[42:43]
	s_waitcnt vmcnt(1)
	v_subrev_u32_e32 v4, s44, v5
	s_waitcnt vmcnt(0)
	v_subrev_u32_e32 v5, s44, v6
	v_add_u32_e32 v6, v0, v5
	v_cmp_lt_i32_e64 s[0:1], v6, v4
	v_mov_b32_e32 v5, 0
	s_and_saveexec_b64 s[4:5], s[0:1]
	s_cbranch_execz .LBB67_102
; %bb.99:
	v_lshlrev_b32_e32 v7, 2, v6
	s_lshl_b32 s8, s33, 2
	s_mov_b64 s[6:7], 0
	v_mov_b32_e32 v5, 0
.LBB67_100:                             ; =>This Inner Loop Header: Depth=1
	ds_read_b32 v8, v7
	v_add_u32_e32 v6, s33, v6
	v_cmp_ge_i32_e64 s[0:1], v6, v4
	v_add_u32_e32 v7, s8, v7
	s_or_b64 s[6:7], s[0:1], s[6:7]
	s_waitcnt lgkmcnt(0)
	v_add_f32_e32 v5, v5, v8
	s_andn2_b64 exec, exec, s[6:7]
	s_cbranch_execnz .LBB67_100
; %bb.101:
	s_or_b64 exec, exec, s[6:7]
.LBB67_102:
	s_or_b64 exec, exec, s[4:5]
.LBB67_103:
	s_or_b64 exec, exec, s[2:3]
	s_cmpk_lt_i32 s33, 0x81
	s_barrier
	ds_write_b32 v1, v5
	s_waitcnt lgkmcnt(0)
	s_barrier
	s_cbranch_scc1 .LBB67_105
; %bb.104:
	ds_read_b32 v4, v1 offset:512
	s_waitcnt lgkmcnt(0)
	s_barrier
	v_add_f32_e32 v5, v5, v4
	ds_write_b32 v1, v5
.LBB67_105:
	s_cmpk_lt_i32 s33, 0x41
	s_waitcnt lgkmcnt(0)
	s_barrier
	s_cbranch_scc1 .LBB67_107
; %bb.106:
	ds_read_b32 v4, v1 offset:256
	s_waitcnt lgkmcnt(0)
	s_barrier
	v_add_f32_e32 v5, v5, v4
	ds_write_b32 v1, v5
.LBB67_107:
	s_cmp_lt_i32 s33, 33
	s_waitcnt lgkmcnt(0)
	s_barrier
	s_cbranch_scc1 .LBB67_109
; %bb.108:
	ds_read_b32 v4, v1 offset:128
	s_waitcnt lgkmcnt(0)
	s_barrier
	v_add_f32_e32 v5, v5, v4
	ds_write_b32 v1, v5
.LBB67_109:
	s_cmp_lt_i32 s33, 17
	;; [unrolled: 11-line block ×4, first 2 shown]
	s_waitcnt lgkmcnt(0)
	s_barrier
	s_cbranch_scc1 .LBB67_115
; %bb.114:
	ds_read_b32 v4, v1 offset:16
	s_waitcnt lgkmcnt(0)
	s_barrier
	v_add_f32_e32 v5, v5, v4
	ds_write_b32 v1, v5
.LBB67_115:
	s_cmp_eq_u32 s33, 2
	s_waitcnt lgkmcnt(0)
	s_barrier
	s_cbranch_scc1 .LBB67_117
; %bb.116:
	ds_read_b32 v4, v1 offset:8
	s_waitcnt lgkmcnt(0)
	s_barrier
	v_add_f32_e32 v5, v5, v4
	ds_write_b32 v1, v5
.LBB67_117:
	s_waitcnt lgkmcnt(0)
	s_barrier
	ds_read_b32 v4, v1 offset:4
	v_cmp_eq_u32_e64 s[0:1], 0, v0
	s_xor_b64 s[2:3], vcc, -1
	s_and_b64 s[0:1], s[0:1], s[2:3]
	s_waitcnt lgkmcnt(0)
	v_add_f32_e32 v4, v5, v4
	s_barrier
	ds_write_b32 v1, v4
	s_and_saveexec_b64 s[2:3], s[0:1]
	s_cbranch_execz .LBB67_121
; %bb.118:
	v_cmp_eq_f32_e64 s[0:1], s34, 0
	s_and_b64 vcc, exec, s[0:1]
	v_lshlrev_b64 v[0:1], 2, v[2:3]
	s_cbranch_vccnz .LBB67_120
; %bb.119:
	v_mov_b32_e32 v3, s41
	v_add_co_u32_e32 v2, vcc, s40, v0
	v_addc_co_u32_e32 v3, vcc, v3, v1, vcc
	global_load_dword v2, v[2:3], off
	s_waitcnt vmcnt(0)
	v_fmac_f32_e32 v4, s34, v2
.LBB67_120:
	v_mov_b32_e32 v2, s41
	v_add_co_u32_e32 v0, vcc, s40, v0
	v_addc_co_u32_e32 v1, vcc, v2, v1, vcc
	global_store_dword v[0:1], v4, off
.LBB67_121:
	s_endpgm
	.section	.rodata,"a",@progbits
	.p2align	6, 0x0
	.amdhsa_kernel _ZN9rocsparseL22csrmvn_adaptive_kernelIliDF16_DF16_ffEEvbT_PKS1_PjPKT0_NS_24const_host_device_scalarIT4_EES3_S7_PKT1_PKT2_SA_PT3_21rocsparse_index_base_b
		.amdhsa_group_segment_fixed_size 4096
		.amdhsa_private_segment_fixed_size 0
		.amdhsa_kernarg_size 104
		.amdhsa_user_sgpr_count 6
		.amdhsa_user_sgpr_private_segment_buffer 1
		.amdhsa_user_sgpr_dispatch_ptr 0
		.amdhsa_user_sgpr_queue_ptr 0
		.amdhsa_user_sgpr_kernarg_segment_ptr 1
		.amdhsa_user_sgpr_dispatch_id 0
		.amdhsa_user_sgpr_flat_scratch_init 0
		.amdhsa_user_sgpr_kernarg_preload_length 0
		.amdhsa_user_sgpr_kernarg_preload_offset 0
		.amdhsa_user_sgpr_private_segment_size 0
		.amdhsa_uses_dynamic_stack 0
		.amdhsa_system_sgpr_private_segment_wavefront_offset 0
		.amdhsa_system_sgpr_workgroup_id_x 1
		.amdhsa_system_sgpr_workgroup_id_y 0
		.amdhsa_system_sgpr_workgroup_id_z 0
		.amdhsa_system_sgpr_workgroup_info 0
		.amdhsa_system_vgpr_workitem_id 0
		.amdhsa_next_free_vgpr 25
		.amdhsa_next_free_sgpr 62
		.amdhsa_accum_offset 28
		.amdhsa_reserve_vcc 1
		.amdhsa_reserve_flat_scratch 0
		.amdhsa_float_round_mode_32 0
		.amdhsa_float_round_mode_16_64 0
		.amdhsa_float_denorm_mode_32 3
		.amdhsa_float_denorm_mode_16_64 3
		.amdhsa_dx10_clamp 1
		.amdhsa_ieee_mode 1
		.amdhsa_fp16_overflow 0
		.amdhsa_tg_split 0
		.amdhsa_exception_fp_ieee_invalid_op 0
		.amdhsa_exception_fp_denorm_src 0
		.amdhsa_exception_fp_ieee_div_zero 0
		.amdhsa_exception_fp_ieee_overflow 0
		.amdhsa_exception_fp_ieee_underflow 0
		.amdhsa_exception_fp_ieee_inexact 0
		.amdhsa_exception_int_div_zero 0
	.end_amdhsa_kernel
	.section	.text._ZN9rocsparseL22csrmvn_adaptive_kernelIliDF16_DF16_ffEEvbT_PKS1_PjPKT0_NS_24const_host_device_scalarIT4_EES3_S7_PKT1_PKT2_SA_PT3_21rocsparse_index_base_b,"axG",@progbits,_ZN9rocsparseL22csrmvn_adaptive_kernelIliDF16_DF16_ffEEvbT_PKS1_PjPKT0_NS_24const_host_device_scalarIT4_EES3_S7_PKT1_PKT2_SA_PT3_21rocsparse_index_base_b,comdat
.Lfunc_end67:
	.size	_ZN9rocsparseL22csrmvn_adaptive_kernelIliDF16_DF16_ffEEvbT_PKS1_PjPKT0_NS_24const_host_device_scalarIT4_EES3_S7_PKT1_PKT2_SA_PT3_21rocsparse_index_base_b, .Lfunc_end67-_ZN9rocsparseL22csrmvn_adaptive_kernelIliDF16_DF16_ffEEvbT_PKS1_PjPKT0_NS_24const_host_device_scalarIT4_EES3_S7_PKT1_PKT2_SA_PT3_21rocsparse_index_base_b
                                        ; -- End function
	.section	.AMDGPU.csdata,"",@progbits
; Kernel info:
; codeLenInByte = 4544
; NumSgprs: 66
; NumVgprs: 25
; NumAgprs: 0
; TotalNumVgprs: 25
; ScratchSize: 0
; MemoryBound: 0
; FloatMode: 240
; IeeeMode: 1
; LDSByteSize: 4096 bytes/workgroup (compile time only)
; SGPRBlocks: 8
; VGPRBlocks: 3
; NumSGPRsForWavesPerEU: 66
; NumVGPRsForWavesPerEU: 25
; AccumOffset: 28
; Occupancy: 8
; WaveLimiterHint : 1
; COMPUTE_PGM_RSRC2:SCRATCH_EN: 0
; COMPUTE_PGM_RSRC2:USER_SGPR: 6
; COMPUTE_PGM_RSRC2:TRAP_HANDLER: 0
; COMPUTE_PGM_RSRC2:TGID_X_EN: 1
; COMPUTE_PGM_RSRC2:TGID_Y_EN: 0
; COMPUTE_PGM_RSRC2:TGID_Z_EN: 0
; COMPUTE_PGM_RSRC2:TIDIG_COMP_CNT: 0
; COMPUTE_PGM_RSRC3_GFX90A:ACCUM_OFFSET: 6
; COMPUTE_PGM_RSRC3_GFX90A:TG_SPLIT: 0
	.section	.text._ZN9rocsparseL27csrmvn_symm_adaptive_kernelIliDF16_DF16_ffEEvbT_S1_PKS1_NS_24const_host_device_scalarIT4_EES3_PKT0_PKT1_PKT2_S6_PT3_21rocsparse_index_base_b,"axG",@progbits,_ZN9rocsparseL27csrmvn_symm_adaptive_kernelIliDF16_DF16_ffEEvbT_S1_PKS1_NS_24const_host_device_scalarIT4_EES3_PKT0_PKT1_PKT2_S6_PT3_21rocsparse_index_base_b,comdat
	.globl	_ZN9rocsparseL27csrmvn_symm_adaptive_kernelIliDF16_DF16_ffEEvbT_S1_PKS1_NS_24const_host_device_scalarIT4_EES3_PKT0_PKT1_PKT2_S6_PT3_21rocsparse_index_base_b ; -- Begin function _ZN9rocsparseL27csrmvn_symm_adaptive_kernelIliDF16_DF16_ffEEvbT_S1_PKS1_NS_24const_host_device_scalarIT4_EES3_PKT0_PKT1_PKT2_S6_PT3_21rocsparse_index_base_b
	.p2align	8
	.type	_ZN9rocsparseL27csrmvn_symm_adaptive_kernelIliDF16_DF16_ffEEvbT_S1_PKS1_NS_24const_host_device_scalarIT4_EES3_PKT0_PKT1_PKT2_S6_PT3_21rocsparse_index_base_b,@function
_ZN9rocsparseL27csrmvn_symm_adaptive_kernelIliDF16_DF16_ffEEvbT_S1_PKS1_NS_24const_host_device_scalarIT4_EES3_PKT0_PKT1_PKT2_S6_PT3_21rocsparse_index_base_b: ; @_ZN9rocsparseL27csrmvn_symm_adaptive_kernelIliDF16_DF16_ffEEvbT_S1_PKS1_NS_24const_host_device_scalarIT4_EES3_PKT0_PKT1_PKT2_S6_PT3_21rocsparse_index_base_b
; %bb.0:
	s_load_dwordx2 s[30:31], s[4:5], 0x58
	s_load_dwordx2 s[36:37], s[4:5], 0x20
	;; [unrolled: 1-line block ×3, first 2 shown]
	s_waitcnt lgkmcnt(0)
	s_bitcmp1_b32 s31, 0
	s_cselect_b64 s[8:9], -1, 0
	s_xor_b64 s[2:3], s[8:9], -1
	s_and_b64 vcc, exec, s[8:9]
	s_cbranch_vccnz .LBB68_2
; %bb.1:
	s_load_dword s36, s[36:37], 0x0
.LBB68_2:
	s_andn2_b64 vcc, exec, s[2:3]
	s_cbranch_vccnz .LBB68_4
; %bb.3:
	s_load_dword s0, s[0:1], 0x0
.LBB68_4:
	s_waitcnt lgkmcnt(0)
	v_cmp_neq_f32_e64 s[2:3], s36, 0
	v_cmp_neq_f32_e64 s[0:1], s0, 1.0
	s_or_b64 s[0:1], s[2:3], s[0:1]
	s_andn2_b64 vcc, exec, s[0:1]
	s_cbranch_vccnz .LBB68_179
; %bb.5:
	s_load_dwordx2 s[0:1], s[4:5], 0x18
	s_ashr_i32 s7, s6, 31
	s_lshl_b64 s[2:3], s[6:7], 3
	v_lshlrev_b32_e32 v18, 2, v0
	v_mov_b32_e32 v1, 0
	s_waitcnt lgkmcnt(0)
	s_add_u32 s0, s0, s2
	s_addc_u32 s1, s1, s3
	ds_write2st64_b32 v18, v1, v1 offset1:4
	ds_write2st64_b32 v18, v1, v1 offset0:8 offset1:12
	s_waitcnt lgkmcnt(0)
	s_barrier
	s_load_dwordx4 s[24:27], s[0:1], 0x0
	s_load_dwordx8 s[16:23], s[4:5], 0x28
	s_load_dwordx2 s[14:15], s[4:5], 0x50
	s_mov_b64 s[0:1], -1
	s_waitcnt lgkmcnt(0)
	s_sub_u32 s28, s26, s24
	s_subb_u32 s29, s27, s25
	v_cmp_gt_i64_e64 s[2:3], s[28:29], 2
	s_and_b64 vcc, exec, s[2:3]
	s_cbranch_vccnz .LBB68_40
; %bb.6:
	v_pk_mov_b32 v[2:3], s[24:25], s[24:25] op_sel:[0,1]
	v_cmp_gt_i64_e32 vcc, s[26:27], v[2:3]
	v_subrev_co_u32_e64 v1, s[0:1], s30, v0
	s_mov_b32 s31, 0
	v_subb_co_u32_e64 v10, s[0:1], 0, 0, s[0:1]
	s_cbranch_vccnz .LBB68_8
; %bb.7:
	s_lshl_b64 s[0:1], s[24:25], 3
	s_add_u32 s0, s16, s0
	s_addc_u32 s1, s17, s1
	s_load_dwordx2 s[34:35], s[0:1], 0x0
	s_cbranch_execz .LBB68_9
	s_branch .LBB68_29
.LBB68_8:
                                        ; implicit-def: $sgpr34_sgpr35
.LBB68_9:
	s_lshl_b64 s[12:13], s[24:25], 3
	s_add_u32 s12, s16, s12
	s_addc_u32 s13, s17, s13
	s_waitcnt lgkmcnt(0)
	s_load_dwordx2 s[34:35], s[12:13], 0x0
	s_movk_i32 s33, 0x100
	s_add_u32 s37, s16, 8
	v_cmp_gt_u32_e64 s[0:1], s33, v0
	v_cmp_gt_u32_e64 s[2:3], 64, v0
	v_cmp_gt_u32_e64 s[6:7], 16, v0
	v_cmp_gt_u32_e64 s[8:9], 4, v0
	v_cmp_eq_u32_e64 s[10:11], 0, v0
	s_addc_u32 s48, s17, 0
	v_mov_b32_e32 v11, s23
	v_mov_b32_e32 v12, 0
	v_pk_mov_b32 v[2:3], s[26:27], s[26:27] op_sel:[0,1]
	s_waitcnt lgkmcnt(0)
	s_mov_b64 s[40:41], s[34:35]
	s_mov_b64 s[38:39], s[24:25]
	s_branch .LBB68_11
.LBB68_10:                              ;   in Loop: Header=BB68_11 Depth=1
	s_or_b64 exec, exec, s[12:13]
	s_add_u32 s38, s38, 1
	s_addc_u32 s39, s39, 0
	v_cmp_ge_i64_e32 vcc, s[38:39], v[2:3]
	s_cbranch_vccnz .LBB68_29
.LBB68_11:                              ; =>This Loop Header: Depth=1
                                        ;     Child Loop BB68_13 Depth 2
                                        ;     Child Loop BB68_28 Depth 2
	s_mov_b64 s[12:13], s[40:41]
	s_lshl_b64 s[40:41], s[38:39], 3
	s_add_u32 s40, s37, s40
	s_addc_u32 s41, s48, s41
	s_load_dwordx2 s[40:41], s[40:41], 0x0
	v_mov_b32_e32 v5, s13
	v_add_co_u32_e32 v4, vcc, s12, v1
	v_addc_co_u32_e32 v5, vcc, v5, v10, vcc
	s_waitcnt lgkmcnt(0)
	s_sub_u32 s42, s40, s30
	s_subb_u32 s43, s41, 0
	v_cmp_gt_i64_e32 vcc, s[42:43], v[4:5]
	v_mov_b32_e32 v13, 0
	s_and_saveexec_b64 s[44:45], vcc
	s_cbranch_execz .LBB68_15
; %bb.12:                               ;   in Loop: Header=BB68_11 Depth=1
	v_lshlrev_b64 v[6:7], 2, v[4:5]
	v_mov_b32_e32 v8, s19
	v_add_co_u32_e32 v6, vcc, s18, v6
	v_addc_co_u32_e32 v7, vcc, v8, v7, vcc
	v_lshlrev_b64 v[8:9], 1, v[4:5]
	v_mov_b32_e32 v13, s21
	v_add_co_u32_e32 v8, vcc, s20, v8
	v_addc_co_u32_e32 v9, vcc, v13, v9, vcc
	s_mov_b64 s[46:47], 0
	v_mov_b32_e32 v13, 0
.LBB68_13:                              ;   Parent Loop BB68_11 Depth=1
                                        ; =>  This Inner Loop Header: Depth=2
	global_load_dword v14, v[6:7], off
	global_load_ushort v16, v[8:9], off
	s_waitcnt vmcnt(1)
	v_subrev_u32_e32 v14, s30, v14
	v_ashrrev_i32_e32 v15, 31, v14
	v_lshlrev_b64 v[14:15], 1, v[14:15]
	v_add_co_u32_e32 v14, vcc, s22, v14
	v_addc_co_u32_e32 v15, vcc, v11, v15, vcc
	global_load_ushort v14, v[14:15], off
	v_add_co_u32_e32 v4, vcc, s33, v4
	v_addc_co_u32_e32 v5, vcc, 0, v5, vcc
	v_add_co_u32_e32 v6, vcc, 0x400, v6
	v_addc_co_u32_e32 v7, vcc, 0, v7, vcc
	v_add_co_u32_e32 v8, vcc, 0x200, v8
	v_cmp_le_i64_e64 s[12:13], s[42:43], v[4:5]
	v_addc_co_u32_e32 v9, vcc, 0, v9, vcc
	s_or_b64 s[46:47], s[12:13], s[46:47]
	s_waitcnt vmcnt(0)
	v_fma_mix_f32 v13, v16, v14, v13 op_sel_hi:[1,1,0]
	s_andn2_b64 exec, exec, s[46:47]
	s_cbranch_execnz .LBB68_13
; %bb.14:                               ;   in Loop: Header=BB68_11 Depth=1
	s_or_b64 exec, exec, s[46:47]
.LBB68_15:                              ;   in Loop: Header=BB68_11 Depth=1
	s_or_b64 exec, exec, s[44:45]
	ds_write_b32 v18, v13
	s_waitcnt lgkmcnt(0)
	s_barrier
	s_and_saveexec_b64 s[12:13], s[0:1]
	s_cbranch_execz .LBB68_17
; %bb.16:                               ;   in Loop: Header=BB68_11 Depth=1
	ds_read2st64_b32 v[4:5], v18 offset1:4
	ds_read2st64_b32 v[6:7], v18 offset0:8 offset1:12
	s_waitcnt lgkmcnt(0)
	v_add_f32_e32 v5, v5, v6
	v_add_f32_e32 v5, v5, v7
	;; [unrolled: 1-line block ×3, first 2 shown]
	ds_write_b32 v18, v4
.LBB68_17:                              ;   in Loop: Header=BB68_11 Depth=1
	s_or_b64 exec, exec, s[12:13]
	s_waitcnt lgkmcnt(0)
	s_barrier
	s_and_saveexec_b64 s[12:13], s[2:3]
	s_cbranch_execz .LBB68_19
; %bb.18:                               ;   in Loop: Header=BB68_11 Depth=1
	ds_read2st64_b32 v[4:5], v18 offset1:1
	ds_read2st64_b32 v[6:7], v18 offset0:2 offset1:3
	s_waitcnt lgkmcnt(0)
	v_add_f32_e32 v5, v5, v6
	v_add_f32_e32 v5, v5, v7
	v_add_f32_e32 v4, v4, v5
	ds_write_b32 v18, v4
.LBB68_19:                              ;   in Loop: Header=BB68_11 Depth=1
	s_or_b64 exec, exec, s[12:13]
	s_waitcnt lgkmcnt(0)
	s_barrier
	s_and_saveexec_b64 s[12:13], s[6:7]
	s_cbranch_execz .LBB68_21
; %bb.20:                               ;   in Loop: Header=BB68_11 Depth=1
	ds_read2_b32 v[4:5], v18 offset1:16
	ds_read2_b32 v[6:7], v18 offset0:32 offset1:48
	s_waitcnt lgkmcnt(0)
	v_add_f32_e32 v5, v5, v6
	v_add_f32_e32 v5, v5, v7
	;; [unrolled: 1-line block ×3, first 2 shown]
	ds_write_b32 v18, v4
.LBB68_21:                              ;   in Loop: Header=BB68_11 Depth=1
	s_or_b64 exec, exec, s[12:13]
	s_waitcnt lgkmcnt(0)
	s_barrier
	s_and_saveexec_b64 s[12:13], s[8:9]
	s_cbranch_execz .LBB68_23
; %bb.22:                               ;   in Loop: Header=BB68_11 Depth=1
	ds_read2_b32 v[4:5], v18 offset1:4
	ds_read2_b32 v[6:7], v18 offset0:8 offset1:12
	s_waitcnt lgkmcnt(0)
	v_add_f32_e32 v5, v5, v6
	v_add_f32_e32 v5, v5, v7
	;; [unrolled: 1-line block ×3, first 2 shown]
	ds_write_b32 v18, v4
.LBB68_23:                              ;   in Loop: Header=BB68_11 Depth=1
	s_or_b64 exec, exec, s[12:13]
	s_waitcnt lgkmcnt(0)
	s_barrier
	s_and_saveexec_b64 s[12:13], s[10:11]
	s_cbranch_execz .LBB68_25
; %bb.24:                               ;   in Loop: Header=BB68_11 Depth=1
	ds_read2_b32 v[4:5], v12 offset0:1 offset1:2
	ds_read_b32 v6, v12 offset:12
	ds_read_b32 v7, v18
	s_waitcnt lgkmcnt(2)
	v_add_f32_e32 v4, v4, v5
	s_waitcnt lgkmcnt(1)
	v_add_f32_e32 v4, v4, v6
	;; [unrolled: 2-line block ×3, first 2 shown]
	ds_write_b32 v18, v4
.LBB68_25:                              ;   in Loop: Header=BB68_11 Depth=1
	s_or_b64 exec, exec, s[12:13]
	s_waitcnt lgkmcnt(0)
	s_barrier
	s_and_saveexec_b64 s[12:13], s[10:11]
	s_cbranch_execz .LBB68_10
; %bb.26:                               ;   in Loop: Header=BB68_11 Depth=1
	s_mov_b64 s[44:45], exec
	v_mbcnt_lo_u32_b32 v4, s44, 0
	v_mbcnt_hi_u32_b32 v4, s45, v4
	v_cmp_eq_u32_e32 vcc, 0, v4
	s_and_b64 s[42:43], exec, vcc
	s_mov_b64 exec, s[42:43]
	s_cbranch_execz .LBB68_10
; %bb.27:                               ;   in Loop: Header=BB68_11 Depth=1
	s_lshl_b64 s[42:43], s[38:39], 2
	s_add_u32 s42, s14, s42
	s_addc_u32 s43, s15, s43
	global_load_dword v5, v12, s[42:43]
	ds_read_b32 v4, v12
	s_bcnt1_i32_b64 s44, s[44:45]
	v_cvt_f32_ubyte0_e32 v6, s44
	s_mov_b64 s[44:45], 0
	s_waitcnt lgkmcnt(0)
	v_mul_f32_e32 v4, s36, v4
	v_mul_f32_e32 v6, v4, v6
.LBB68_28:                              ;   Parent Loop BB68_11 Depth=1
                                        ; =>  This Inner Loop Header: Depth=2
	s_waitcnt vmcnt(0)
	v_add_f32_e32 v4, v5, v6
	global_atomic_cmpswap v4, v12, v[4:5], s[42:43] glc
	s_waitcnt vmcnt(0)
	v_cmp_eq_u32_e32 vcc, v4, v5
	s_or_b64 s[44:45], vcc, s[44:45]
	v_mov_b32_e32 v5, v4
	s_andn2_b64 exec, exec, s[44:45]
	s_cbranch_execnz .LBB68_28
	s_branch .LBB68_10
.LBB68_29:
	s_lshl_b64 s[0:1], s[26:27], 3
	s_add_u32 s0, s16, s0
	s_addc_u32 s1, s17, s1
	s_load_dwordx2 s[0:1], s[0:1], 0x0
	s_waitcnt lgkmcnt(0)
	v_mov_b32_e32 v3, s35
	v_add_co_u32_e32 v2, vcc, s34, v1
	v_addc_co_u32_e32 v3, vcc, v3, v10, vcc
	s_sub_u32 s6, s0, s30
	s_subb_u32 s7, s1, 0
	v_cmp_gt_i64_e32 vcc, s[6:7], v[2:3]
	s_and_saveexec_b64 s[8:9], vcc
	s_cbranch_execz .LBB68_39
; %bb.30:
	s_add_u32 s10, s26, -1
	s_addc_u32 s11, s27, -1
	s_add_u32 s0, s26, -2
	s_addc_u32 s1, s27, -1
	v_pk_mov_b32 v[4:5], s[24:25], s[24:25] op_sel:[0,1]
	s_cmp_lg_u64 s[0:1], s[24:25]
	v_cmp_gt_i64_e32 vcc, s[10:11], v[4:5]
	s_cselect_b64 s[0:1], -1, 0
	s_and_b64 s[0:1], vcc, s[0:1]
	v_cndmask_b32_e64 v1, 0, 1, s[0:1]
	s_mov_b64 s[12:13], 0
	v_cmp_ne_u32_e64 s[0:1], 1, v1
	v_mov_b32_e32 v1, s17
	v_mov_b32_e32 v10, s31
	;; [unrolled: 1-line block ×3, first 2 shown]
	s_branch .LBB68_32
.LBB68_31:                              ;   in Loop: Header=BB68_32 Depth=1
	s_or_b64 exec, exec, s[2:3]
	v_add_co_u32_e32 v2, vcc, 0x100, v2
	v_addc_co_u32_e32 v3, vcc, 0, v3, vcc
	v_cmp_le_i64_e32 vcc, s[6:7], v[2:3]
	s_or_b64 s[12:13], vcc, s[12:13]
	s_andn2_b64 exec, exec, s[12:13]
	s_cbranch_execz .LBB68_39
.LBB68_32:                              ; =>This Loop Header: Depth=1
                                        ;     Child Loop BB68_34 Depth 2
                                        ;     Child Loop BB68_38 Depth 2
	s_and_b64 vcc, exec, s[0:1]
	v_pk_mov_b32 v[4:5], s[24:25], s[24:25] op_sel:[0,1]
	v_pk_mov_b32 v[6:7], s[10:11], s[10:11] op_sel:[0,1]
	s_cbranch_vccnz .LBB68_36
; %bb.33:                               ;   in Loop: Header=BB68_32 Depth=1
	s_mov_b64 s[34:35], 0
	v_pk_mov_b32 v[4:5], s[24:25], s[24:25] op_sel:[0,1]
	v_pk_mov_b32 v[6:7], s[10:11], s[10:11] op_sel:[0,1]
.LBB68_34:                              ;   Parent Loop BB68_32 Depth=1
                                        ; =>  This Inner Loop Header: Depth=2
	v_add_co_u32_e32 v8, vcc, v6, v4
	v_addc_co_u32_e32 v9, vcc, v7, v5, vcc
	v_lshrrev_b32_e32 v12, 31, v9
	v_add_co_u32_e32 v8, vcc, v8, v12
	v_addc_co_u32_e32 v9, vcc, 0, v9, vcc
	v_ashrrev_i64 v[8:9], 1, v[8:9]
	v_lshlrev_b64 v[12:13], 3, v[8:9]
	v_mov_b32_e32 v14, s17
	v_add_co_u32_e32 v12, vcc, s16, v12
	v_addc_co_u32_e32 v13, vcc, v14, v13, vcc
	global_load_dwordx2 v[12:13], v[12:13], off
	v_mov_b32_e32 v14, s31
	s_waitcnt vmcnt(0)
	v_subrev_co_u32_e32 v12, vcc, s30, v12
	v_subb_co_u32_e32 v13, vcc, v13, v14, vcc
	v_cmp_gt_i64_e32 vcc, v[12:13], v[2:3]
	v_cndmask_b32_e32 v6, v6, v8, vcc
	v_cndmask_b32_e32 v7, v7, v9, vcc
	;; [unrolled: 1-line block ×3, first 2 shown]
	v_add_co_u32_e64 v8, s[2:3], -1, v6
	v_cndmask_b32_e32 v5, v9, v5, vcc
	v_addc_co_u32_e64 v9, s[2:3], -1, v7, s[2:3]
	v_cmp_ge_i64_e32 vcc, v[4:5], v[6:7]
	v_cmp_eq_u64_e64 s[2:3], v[4:5], v[8:9]
	s_or_b64 s[2:3], vcc, s[2:3]
	s_and_b64 s[2:3], exec, s[2:3]
	s_or_b64 s[34:35], s[2:3], s[34:35]
	s_andn2_b64 exec, exec, s[34:35]
	s_cbranch_execnz .LBB68_34
; %bb.35:                               ;   in Loop: Header=BB68_32 Depth=1
	s_or_b64 exec, exec, s[34:35]
.LBB68_36:                              ;   in Loop: Header=BB68_32 Depth=1
	v_lshlrev_b64 v[8:9], 3, v[6:7]
	v_add_co_u32_e32 v8, vcc, s16, v8
	v_addc_co_u32_e32 v9, vcc, v1, v9, vcc
	v_lshlrev_b64 v[12:13], 2, v[2:3]
	global_load_dwordx2 v[8:9], v[8:9], off
	v_add_co_u32_e32 v12, vcc, s18, v12
	v_addc_co_u32_e32 v13, vcc, v11, v13, vcc
	global_load_dword v14, v[12:13], off
	s_waitcnt vmcnt(1)
	v_subrev_co_u32_e32 v12, vcc, s30, v8
	v_subb_co_u32_e32 v13, vcc, v9, v10, vcc
	v_cmp_gt_i64_e32 vcc, v[12:13], v[2:3]
	s_waitcnt vmcnt(0)
	v_subrev_u32_e32 v8, s30, v14
	v_cndmask_b32_e32 v5, v7, v5, vcc
	v_cndmask_b32_e32 v4, v6, v4, vcc
	v_ashrrev_i32_e32 v9, 31, v8
	v_cmp_ne_u64_e32 vcc, v[4:5], v[8:9]
	s_and_saveexec_b64 s[2:3], vcc
	s_cbranch_execz .LBB68_31
; %bb.37:                               ;   in Loop: Header=BB68_32 Depth=1
	v_lshlrev_b64 v[6:7], 2, v[8:9]
	v_lshlrev_b64 v[8:9], 1, v[2:3]
	v_mov_b32_e32 v12, s21
	v_add_co_u32_e32 v8, vcc, s20, v8
	v_addc_co_u32_e32 v9, vcc, v12, v9, vcc
	v_lshlrev_b64 v[4:5], 1, v[4:5]
	global_load_ushort v8, v[8:9], off
	v_mov_b32_e32 v9, s23
	v_add_co_u32_e32 v4, vcc, s22, v4
	v_addc_co_u32_e32 v5, vcc, v9, v5, vcc
	global_load_ushort v9, v[4:5], off
	v_mov_b32_e32 v5, s15
	v_add_co_u32_e32 v4, vcc, s14, v6
	v_addc_co_u32_e32 v5, vcc, v5, v7, vcc
	global_load_dword v7, v[4:5], off
	s_mov_b64 s[34:35], 0
	s_waitcnt vmcnt(2)
	v_cvt_f32_f16_e32 v6, v8
	v_mul_f32_e32 v6, s36, v6
	s_waitcnt vmcnt(1)
	v_cvt_f32_f16_e32 v8, v9
	v_mul_f32_e32 v8, v6, v8
.LBB68_38:                              ;   Parent Loop BB68_32 Depth=1
                                        ; =>  This Inner Loop Header: Depth=2
	s_waitcnt vmcnt(0)
	v_add_f32_e32 v6, v7, v8
	global_atomic_cmpswap v6, v[4:5], v[6:7], off glc
	s_waitcnt vmcnt(0)
	v_cmp_eq_u32_e32 vcc, v6, v7
	s_or_b64 s[34:35], vcc, s[34:35]
	v_mov_b32_e32 v7, v6
	s_andn2_b64 exec, exec, s[34:35]
	s_cbranch_execnz .LBB68_38
	s_branch .LBB68_31
.LBB68_39:
	s_or_b64 exec, exec, s[8:9]
	s_mov_b64 s[0:1], 0
.LBB68_40:
	s_and_b64 vcc, exec, s[0:1]
	s_cbranch_vccz .LBB68_179
; %bb.41:
	s_load_dword s0, s[4:5], 0x6c
	s_mov_b32 s31, 0
	v_pk_mov_b32 v[2:3], s[28:29], s[28:29] op_sel:[0,1]
	s_mov_b32 s13, s31
	s_mov_b64 s[34:35], 0
	s_waitcnt lgkmcnt(0)
	s_and_b32 s12, s0, 0xffff
	v_cmp_lt_u64_e32 vcc, s[12:13], v[2:3]
	s_cbranch_vccnz .LBB68_43
; %bb.42:
	v_cvt_f32_u32_e32 v1, s28
	s_sub_i32 s0, 0, s28
	v_rcp_iflag_f32_e32 v1, v1
	v_mul_f32_e32 v1, 0x4f7ffffe, v1
	v_cvt_u32_f32_e32 v1, v1
	v_readfirstlane_b32 s1, v1
	s_mul_i32 s0, s0, s1
	s_mul_hi_u32 s0, s1, s0
	s_add_i32 s1, s1, s0
	s_mul_hi_u32 s0, s12, s1
	s_mul_i32 s2, s0, s28
	s_sub_i32 s2, s12, s2
	s_add_i32 s1, s0, 1
	s_sub_i32 s3, s2, s28
	s_cmp_ge_u32 s2, s28
	s_cselect_b32 s0, s1, s0
	s_cselect_b32 s2, s3, s2
	s_add_i32 s1, s0, 1
	s_cmp_ge_u32 s2, s28
	s_cselect_b32 s34, s1, s0
.LBB68_43:
	s_lshl_b64 s[0:1], s[24:25], 3
	s_add_u32 s10, s16, s0
	s_addc_u32 s11, s17, s1
	s_load_dwordx2 s[8:9], s[10:11], 0x0
	v_subrev_co_u32_e32 v2, vcc, s30, v0
	s_load_dwordx4 s[4:7], s[4:5], 0x8
	v_subb_co_u32_e64 v3, s[0:1], 0, 0, vcc
	s_waitcnt lgkmcnt(0)
	v_mov_b32_e32 v4, s9
	v_add_co_u32_e32 v6, vcc, s8, v2
	v_addc_co_u32_e32 v7, vcc, v4, v3, vcc
	v_add_co_u32_e32 v8, vcc, 0x300, v6
	v_addc_co_u32_e32 v9, vcc, 0, v7, vcc
	v_mov_b32_e32 v1, 0
	v_cmp_le_i64_e64 s[0:1], s[4:5], v[8:9]
	s_and_saveexec_b64 s[2:3], s[0:1]
	s_xor_b64 s[4:5], exec, s[2:3]
	s_cbranch_execnz .LBB68_46
; %bb.44:
	s_andn2_saveexec_b64 s[2:3], s[4:5]
	s_cbranch_execnz .LBB68_57
.LBB68_45:
	s_or_b64 exec, exec, s[2:3]
	v_cmp_gt_i64_e32 vcc, s[6:7], v[0:1]
	s_and_saveexec_b64 s[4:5], vcc
	s_cbranch_execnz .LBB68_58
	s_branch .LBB68_65
.LBB68_46:
	s_lshl_b64 s[2:3], s[26:27], 3
	s_add_u32 s2, s16, s2
	s_addc_u32 s3, s17, s3
	s_load_dwordx2 s[2:3], s[2:3], 0x0
	s_waitcnt lgkmcnt(0)
	s_sub_u32 s38, s2, s8
	s_subb_u32 s39, s3, s9
	v_cmp_gt_i64_e32 vcc, s[38:39], v[0:1]
	s_and_saveexec_b64 s[40:41], vcc
	s_cbranch_execz .LBB68_56
; %bb.47:
	s_not_b64 s[42:43], s[8:9]
	s_add_u32 s2, s2, s42
	s_addc_u32 s3, s3, s43
	v_mov_b32_e32 v2, s3
	v_sub_co_u32_e32 v4, vcc, s2, v0
	v_subbrev_co_u32_e32 v5, vcc, 0, v2, vcc
	s_mov_b64 s[2:3], 0xff
	v_cmp_lt_u64_e32 vcc, s[2:3], v[4:5]
	s_mov_b64 s[2:3], 0
                                        ; implicit-def: $vgpr12_vgpr13
                                        ; implicit-def: $vgpr2_vgpr3
	s_and_saveexec_b64 s[42:43], vcc
	s_xor_b64 s[42:43], exec, s[42:43]
	s_cbranch_execnz .LBB68_50
; %bb.48:
	s_andn2_saveexec_b64 s[42:43], s[42:43]
	s_cbranch_execnz .LBB68_53
.LBB68_49:
	s_or_b64 exec, exec, s[42:43]
	s_and_b64 exec, exec, s[2:3]
	s_cbranch_execnz .LBB68_54
	s_branch .LBB68_56
.LBB68_50:
	v_lshrrev_b64 v[2:3], 8, v[4:5]
	v_add_co_u32_e32 v4, vcc, 1, v2
	v_addc_co_u32_e32 v5, vcc, 0, v3, vcc
	v_lshlrev_b64 v[2:3], 1, v[6:7]
	v_mov_b32_e32 v14, s21
	v_add_co_u32_e32 v15, vcc, s20, v2
	v_addc_co_u32_e32 v16, vcc, v3, v14, vcc
	s_movk_i32 s2, 0x200
	v_and_b32_e32 v10, -2, v4
	v_mov_b32_e32 v11, v5
	v_add_co_u32_e32 v14, vcc, s2, v15
	s_mov_b32 s37, s36
	v_mov_b32_e32 v12, v0
	v_mov_b32_e32 v13, v0
	v_addc_co_u32_e32 v15, vcc, 0, v16, vcc
	s_mov_b64 s[46:47], 0x100
	s_mov_b64 s[44:45], 0
	v_pk_mov_b32 v[16:17], v[10:11], v[10:11] op_sel:[0,1]
	s_mov_b64 s[48:49], 0
.LBB68_51:                              ; =>This Inner Loop Header: Depth=1
	global_load_ushort v19, v[14:15], off
	global_load_ushort v20, v[14:15], off offset:-512
	v_add_lshl_u32 v22, v12, s48, 2
	s_add_u32 s48, s48, 0x200
	v_add_co_u32_e32 v14, vcc, 0x400, v14
	v_add_co_u32_e64 v16, s[2:3], -2, v16
	s_addc_u32 s49, s49, 0
	v_add_lshl_u32 v23, v13, s46, 2
	v_addc_co_u32_e64 v17, s[2:3], -1, v17, s[2:3]
	v_addc_co_u32_e32 v15, vcc, 0, v15, vcc
	s_add_u32 s46, s46, 0x200
	v_cmp_eq_u64_e32 vcc, 0, v[16:17]
	s_addc_u32 s47, s47, 0
	s_or_b64 s[44:45], vcc, s[44:45]
	s_waitcnt vmcnt(1)
	v_cvt_f32_f16_e32 v21, v19
	s_waitcnt vmcnt(0)
	v_cvt_f32_f16_e32 v20, v20
	v_pk_mul_f32 v[20:21], s[36:37], v[20:21]
	ds_write_b32 v22, v20
	ds_write_b32 v23, v21
	s_andn2_b64 exec, exec, s[44:45]
	s_cbranch_execnz .LBB68_51
; %bb.52:
	s_or_b64 exec, exec, s[44:45]
	v_cmp_ne_u64_e32 vcc, v[4:5], v[10:11]
	v_lshlrev_b64 v[12:13], 8, v[10:11]
	s_and_b64 s[2:3], vcc, exec
	s_andn2_saveexec_b64 s[42:43], s[42:43]
	s_cbranch_execz .LBB68_49
.LBB68_53:
	v_lshlrev_b64 v[2:3], 1, v[6:7]
	v_pk_mov_b32 v[12:13], 0, 0
	s_or_b64 s[2:3], s[2:3], exec
	s_or_b64 exec, exec, s[42:43]
	s_and_b64 exec, exec, s[2:3]
	s_cbranch_execz .LBB68_56
.LBB68_54:
	v_lshlrev_b64 v[4:5], 1, v[12:13]
	v_add_co_u32_e32 v2, vcc, v4, v2
	v_addc_co_u32_e32 v3, vcc, v5, v3, vcc
	v_mov_b32_e32 v4, s21
	v_add_co_u32_e32 v2, vcc, s20, v2
	v_addc_co_u32_e32 v3, vcc, v4, v3, vcc
	v_add_co_u32_e32 v4, vcc, v12, v0
	v_lshlrev_b32_e32 v10, 2, v12
	v_addc_co_u32_e32 v5, vcc, 0, v13, vcc
	v_lshl_add_u32 v10, v0, 2, v10
	s_mov_b64 s[2:3], 0
.LBB68_55:                              ; =>This Inner Loop Header: Depth=1
	global_load_ushort v11, v[2:3], off
	v_add_co_u32_e32 v2, vcc, 0x200, v2
	v_addc_co_u32_e32 v3, vcc, 0, v3, vcc
	v_add_co_u32_e32 v4, vcc, 0x100, v4
	v_addc_co_u32_e32 v5, vcc, 0, v5, vcc
	v_cmp_le_i64_e32 vcc, s[38:39], v[4:5]
	s_or_b64 s[2:3], vcc, s[2:3]
	s_waitcnt vmcnt(0)
	v_cvt_f32_f16_e32 v11, v11
	v_mul_f32_e32 v11, s36, v11
	ds_write_b32 v10, v11
	v_add_u32_e32 v10, 0x400, v10
	s_andn2_b64 exec, exec, s[2:3]
	s_cbranch_execnz .LBB68_55
.LBB68_56:
	s_or_b64 exec, exec, s[40:41]
	s_andn2_saveexec_b64 s[2:3], s[4:5]
	s_cbranch_execz .LBB68_45
.LBB68_57:
	v_lshlrev_b64 v[2:3], 1, v[6:7]
	v_mov_b32_e32 v4, s21
	v_add_co_u32_e32 v2, vcc, s20, v2
	v_addc_co_u32_e32 v3, vcc, v4, v3, vcc
	global_load_ushort v4, v[2:3], off
	global_load_ushort v5, v[2:3], off offset:512
	global_load_ushort v10, v[2:3], off offset:1024
	;; [unrolled: 1-line block ×3, first 2 shown]
	s_waitcnt vmcnt(3)
	v_cvt_f32_f16_e32 v2, v4
	s_waitcnt vmcnt(2)
	v_cvt_f32_f16_e32 v3, v5
	;; [unrolled: 2-line block ×4, first 2 shown]
	v_mul_f32_e32 v2, s36, v2
	v_mul_f32_e32 v3, s36, v3
	;; [unrolled: 1-line block ×4, first 2 shown]
	ds_write2st64_b32 v18, v2, v3 offset1:4
	ds_write2st64_b32 v18, v4, v5 offset0:8 offset1:12
	s_or_b64 exec, exec, s[2:3]
	v_cmp_gt_i64_e32 vcc, s[6:7], v[0:1]
	s_and_saveexec_b64 s[4:5], vcc
	s_cbranch_execz .LBB68_65
.LBB68_58:
	v_not_b32_e32 v3, v0
	v_not_b32_e32 v2, 0
	v_mov_b32_e32 v5, s7
	v_add_co_u32_e32 v4, vcc, s6, v3
	v_addc_co_u32_e32 v5, vcc, v2, v5, vcc
	s_mov_b64 s[2:3], 0x2ff
	v_cmp_lt_u64_e32 vcc, s[2:3], v[4:5]
	s_mov_b64 s[2:3], -1
	v_pk_mov_b32 v[2:3], v[0:1], v[0:1] op_sel:[0,1]
	s_and_saveexec_b64 s[20:21], vcc
	s_cbranch_execz .LBB68_62
; %bb.59:
	v_lshrrev_b64 v[2:3], 8, v[4:5]
	v_add_co_u32_e32 v10, vcc, 1, v2
	v_addc_co_u32_e32 v11, vcc, 0, v3, vcc
	v_or_b32_e32 v2, 0x100, v0
	v_mov_b32_e32 v3, v1
	v_and_b32_e32 v12, -4, v10
	v_mov_b32_e32 v13, v11
	v_pk_mov_b32 v[4:5], v[2:3], v[2:3] op_sel:[0,1]
	s_mov_b64 s[36:37], 0
	v_mov_b32_e32 v16, 0x1000
	v_mov_b32_e32 v17, 0
	v_pk_mov_b32 v[14:15], v[12:13], v[12:13] op_sel:[0,1]
	v_pk_mov_b32 v[2:3], v[0:1], v[0:1] op_sel:[0,1]
.LBB68_60:                              ; =>This Inner Loop Header: Depth=1
	v_lshl_add_u32 v20, v4, 2, v16
	v_add_co_u32_e32 v4, vcc, 0x400, v4
	v_add_co_u32_e64 v14, s[2:3], -4, v14
	v_addc_co_u32_e32 v5, vcc, 0, v5, vcc
	v_addc_co_u32_e64 v15, s[2:3], -1, v15, s[2:3]
	v_lshl_add_u32 v19, v2, 2, v16
	v_add_co_u32_e32 v2, vcc, 0x400, v2
	v_cmp_eq_u64_e64 s[2:3], 0, v[14:15]
	s_or_b64 s[36:37], s[2:3], s[36:37]
	v_addc_co_u32_e32 v3, vcc, 0, v3, vcc
	ds_write_b32 v19, v17
	ds_write_b32 v20, v17
	ds_write_b32 v19, v17 offset:2048
	ds_write_b32 v20, v17 offset:2048
	s_andn2_b64 exec, exec, s[36:37]
	s_cbranch_execnz .LBB68_60
; %bb.61:
	s_or_b64 exec, exec, s[36:37]
	v_lshlrev_b64 v[2:3], 8, v[12:13]
	v_cmp_ne_u64_e32 vcc, v[10:11], v[12:13]
	v_or_b32_e32 v3, 0, v3
	v_or_b32_e32 v2, v2, v0
	s_orn2_b64 s[2:3], vcc, exec
.LBB68_62:
	s_or_b64 exec, exec, s[20:21]
	s_and_b64 exec, exec, s[2:3]
	s_cbranch_execz .LBB68_65
; %bb.63:
	v_mov_b32_e32 v4, 0x1000
	v_lshl_add_u32 v4, v2, 2, v4
	s_mov_b64 s[2:3], 0
	v_mov_b32_e32 v5, 0
.LBB68_64:                              ; =>This Inner Loop Header: Depth=1
	v_add_co_u32_e32 v2, vcc, 0x100, v2
	v_addc_co_u32_e32 v3, vcc, 0, v3, vcc
	v_cmp_le_i64_e32 vcc, s[6:7], v[2:3]
	ds_write_b32 v4, v5
	s_or_b64 s[2:3], vcc, s[2:3]
	v_add_u32_e32 v4, 0x400, v4
	s_andn2_b64 exec, exec, s[2:3]
	s_cbranch_execnz .LBB68_64
.LBB68_65:
	s_or_b64 exec, exec, s[4:5]
	s_sub_u32 s4, s26, s6
	v_pk_mov_b32 v[2:3], s[6:7], s[6:7] op_sel:[0,1]
	s_subb_u32 s5, s27, s7
	v_cmp_ge_i64_e32 vcc, s[26:27], v[2:3]
	s_and_b64 s[2:3], vcc, exec
	s_cselect_b32 s5, s5, 0
	s_cselect_b32 s4, s4, 0
	s_waitcnt lgkmcnt(0)
	s_barrier
	s_and_saveexec_b64 s[2:3], s[0:1]
	s_xor_b64 s[20:21], exec, s[2:3]
	s_cbranch_execz .LBB68_84
; %bb.66:
	s_lshl_b64 s[0:1], s[26:27], 3
	s_add_u32 s0, s16, s0
	s_addc_u32 s1, s17, s1
	s_load_dwordx2 s[0:1], s[0:1], 0x0
	s_waitcnt lgkmcnt(0)
	s_sub_u32 s36, s0, s8
	s_subb_u32 s37, s1, s9
	v_cmp_gt_i64_e32 vcc, s[36:37], v[0:1]
	s_and_saveexec_b64 s[38:39], vcc
	s_cbranch_execz .LBB68_83
; %bb.67:
	s_add_u32 s40, s26, -1
	s_addc_u32 s41, s27, -1
	s_add_u32 s2, s26, -2
	s_addc_u32 s3, s27, -1
	v_pk_mov_b32 v[2:3], s[24:25], s[24:25] op_sel:[0,1]
	s_cmp_lg_u64 s[2:3], s[24:25]
	v_cmp_gt_i64_e32 vcc, s[40:41], v[2:3]
	s_cselect_b64 s[2:3], -1, 0
	s_and_b64 s[2:3], vcc, s[2:3]
	s_sub_u32 s42, s0, s30
	v_cndmask_b32_e64 v2, 0, 1, s[2:3]
	s_subb_u32 s43, s1, 0
	s_mov_b64 s[44:45], 0
	v_cmp_ne_u32_e64 s[0:1], 1, v2
	v_mov_b32_e32 v12, s17
	v_mov_b32_e32 v13, s31
	;; [unrolled: 1-line block ×4, first 2 shown]
	s_mov_b64 s[46:47], 0
	s_branch .LBB68_70
.LBB68_68:                              ;   in Loop: Header=BB68_70 Depth=1
	s_or_b64 exec, exec, s[2:3]
.LBB68_69:                              ;   in Loop: Header=BB68_70 Depth=1
	s_or_b64 exec, exec, s[48:49]
	v_lshlrev_b64 v[2:3], 1, v[2:3]
	v_mov_b32_e32 v4, s23
	v_add_co_u32_e32 v2, vcc, s22, v2
	v_addc_co_u32_e32 v3, vcc, v4, v3, vcc
	global_load_ushort v2, v[2:3], off
	s_add_u32 s46, s46, 0x100
	s_addc_u32 s47, s47, 0
	v_mov_b32_e32 v3, s47
	v_lshlrev_b32_e32 v4, 2, v16
	s_waitcnt vmcnt(0)
	v_cvt_f32_f16_e32 v5, v2
	v_add_co_u32_e32 v2, vcc, s46, v0
	v_addc_co_u32_e32 v3, vcc, 0, v3, vcc
	v_cmp_le_i64_e32 vcc, s[36:37], v[2:3]
	s_waitcnt lgkmcnt(0)
	v_mul_f32_e32 v2, v10, v5
	s_or_b64 s[44:45], vcc, s[44:45]
	ds_write_b32 v4, v2
	s_andn2_b64 exec, exec, s[44:45]
	s_cbranch_execz .LBB68_83
.LBB68_70:                              ; =>This Loop Header: Depth=1
                                        ;     Child Loop BB68_72 Depth 2
                                        ;     Child Loop BB68_79 Depth 2
	v_mov_b32_e32 v2, s47
	v_add_co_u32_e32 v4, vcc, s46, v6
	v_addc_co_u32_e32 v5, vcc, v2, v7, vcc
	s_and_b64 vcc, exec, s[0:1]
	v_pk_mov_b32 v[8:9], s[24:25], s[24:25] op_sel:[0,1]
	v_pk_mov_b32 v[10:11], s[40:41], s[40:41] op_sel:[0,1]
	s_cbranch_vccnz .LBB68_74
; %bb.71:                               ;   in Loop: Header=BB68_70 Depth=1
	s_mov_b64 s[48:49], 0
	v_pk_mov_b32 v[8:9], s[24:25], s[24:25] op_sel:[0,1]
	v_pk_mov_b32 v[10:11], s[40:41], s[40:41] op_sel:[0,1]
.LBB68_72:                              ;   Parent Loop BB68_70 Depth=1
                                        ; =>  This Inner Loop Header: Depth=2
	v_add_co_u32_e32 v2, vcc, v10, v8
	v_addc_co_u32_e32 v3, vcc, v11, v9, vcc
	v_lshrrev_b32_e32 v16, 31, v3
	v_add_co_u32_e32 v2, vcc, v2, v16
	v_addc_co_u32_e32 v3, vcc, 0, v3, vcc
	v_ashrrev_i64 v[2:3], 1, v[2:3]
	v_lshlrev_b64 v[16:17], 3, v[2:3]
	v_mov_b32_e32 v19, s17
	v_add_co_u32_e32 v16, vcc, s16, v16
	v_addc_co_u32_e32 v17, vcc, v19, v17, vcc
	global_load_dwordx2 v[16:17], v[16:17], off
	v_mov_b32_e32 v19, s31
	s_waitcnt vmcnt(0)
	v_subrev_co_u32_e32 v16, vcc, s30, v16
	v_subb_co_u32_e32 v17, vcc, v17, v19, vcc
	v_cmp_gt_i64_e32 vcc, v[16:17], v[4:5]
	v_cndmask_b32_e32 v10, v10, v2, vcc
	v_cndmask_b32_e32 v11, v11, v3, vcc
	;; [unrolled: 1-line block ×3, first 2 shown]
	v_add_co_u32_e64 v2, s[2:3], -1, v10
	v_cndmask_b32_e32 v9, v3, v9, vcc
	v_addc_co_u32_e64 v3, s[2:3], -1, v11, s[2:3]
	v_cmp_ge_i64_e32 vcc, v[8:9], v[10:11]
	v_cmp_eq_u64_e64 s[2:3], v[8:9], v[2:3]
	s_or_b64 s[2:3], vcc, s[2:3]
	s_and_b64 s[2:3], exec, s[2:3]
	s_or_b64 s[48:49], s[2:3], s[48:49]
	s_andn2_b64 exec, exec, s[48:49]
	s_cbranch_execnz .LBB68_72
; %bb.73:                               ;   in Loop: Header=BB68_70 Depth=1
	s_or_b64 exec, exec, s[48:49]
.LBB68_74:                              ;   in Loop: Header=BB68_70 Depth=1
	v_lshlrev_b64 v[2:3], 3, v[10:11]
	v_add_co_u32_e32 v2, vcc, s16, v2
	v_addc_co_u32_e32 v3, vcc, v12, v3, vcc
	v_lshlrev_b64 v[16:17], 2, v[4:5]
	global_load_dwordx2 v[2:3], v[2:3], off
	v_add_co_u32_e32 v16, vcc, s18, v16
	v_addc_co_u32_e32 v17, vcc, v14, v17, vcc
	global_load_dword v17, v[16:17], off
	v_add_co_u32_e32 v16, vcc, s46, v0
	v_cmp_le_i64_e32 vcc, s[42:43], v[4:5]
	s_waitcnt vmcnt(1)
	v_subrev_co_u32_e64 v20, s[2:3], s30, v2
	v_subb_co_u32_e64 v21, s[2:3], v3, v13, s[2:3]
	v_cmp_gt_i64_e64 s[2:3], v[20:21], v[4:5]
	s_waitcnt vmcnt(0)
	v_subrev_u32_e32 v2, s30, v17
	v_cndmask_b32_e64 v5, v11, v9, s[2:3]
	v_ashrrev_i32_e32 v3, 31, v2
	v_cndmask_b32_e64 v4, v10, v8, s[2:3]
	v_cmp_eq_u64_e64 s[2:3], v[4:5], v[2:3]
	s_or_b64 s[2:3], s[2:3], vcc
	v_lshlrev_b32_e32 v8, 2, v16
                                        ; implicit-def: $vgpr10
	s_and_saveexec_b64 s[48:49], s[2:3]
	s_xor_b64 s[2:3], exec, s[48:49]
	s_cbranch_execz .LBB68_76
; %bb.75:                               ;   in Loop: Header=BB68_70 Depth=1
	ds_read_b32 v10, v8
                                        ; implicit-def: $vgpr8
                                        ; implicit-def: $vgpr4_vgpr5
.LBB68_76:                              ;   in Loop: Header=BB68_70 Depth=1
	s_andn2_saveexec_b64 s[48:49], s[2:3]
	s_cbranch_execz .LBB68_69
; %bb.77:                               ;   in Loop: Header=BB68_70 Depth=1
	v_cmp_gt_i64_e32 vcc, s[4:5], v[2:3]
	v_cmp_le_i64_e64 s[2:3], s[26:27], v[2:3]
	s_or_b64 s[2:3], vcc, s[2:3]
	v_lshlrev_b64 v[4:5], 1, v[4:5]
                                        ; implicit-def: $vgpr10
	s_and_saveexec_b64 s[50:51], s[2:3]
	s_xor_b64 s[2:3], exec, s[50:51]
	s_cbranch_execz .LBB68_81
; %bb.78:                               ;   in Loop: Header=BB68_70 Depth=1
	v_mov_b32_e32 v9, s23
	v_add_co_u32_e32 v4, vcc, s22, v4
	v_addc_co_u32_e32 v5, vcc, v9, v5, vcc
	global_load_ushort v17, v[4:5], off
	s_waitcnt lgkmcnt(0)
	v_lshlrev_b64 v[10:11], 2, v[2:3]
	v_mov_b32_e32 v5, s15
	v_add_co_u32_e32 v4, vcc, s14, v10
	v_addc_co_u32_e32 v5, vcc, v5, v11, vcc
	global_load_dword v9, v[4:5], off
	ds_read_b32 v10, v8
	s_mov_b64 s[50:51], 0
	s_waitcnt vmcnt(1)
	v_cvt_f32_f16_e32 v8, v17
	s_waitcnt lgkmcnt(0)
	v_mul_f32_e32 v11, v10, v8
.LBB68_79:                              ;   Parent Loop BB68_70 Depth=1
                                        ; =>  This Inner Loop Header: Depth=2
	s_waitcnt vmcnt(0)
	v_add_f32_e32 v8, v9, v11
	global_atomic_cmpswap v8, v[4:5], v[8:9], off glc
	s_waitcnt vmcnt(0)
	v_cmp_eq_u32_e32 vcc, v8, v9
	s_or_b64 s[50:51], vcc, s[50:51]
	v_mov_b32_e32 v9, v8
	s_andn2_b64 exec, exec, s[50:51]
	s_cbranch_execnz .LBB68_79
; %bb.80:                               ;   in Loop: Header=BB68_70 Depth=1
	s_or_b64 exec, exec, s[50:51]
                                        ; implicit-def: $vgpr8
                                        ; implicit-def: $vgpr4_vgpr5
.LBB68_81:                              ;   in Loop: Header=BB68_70 Depth=1
	s_andn2_saveexec_b64 s[2:3], s[2:3]
	s_cbranch_execz .LBB68_68
; %bb.82:                               ;   in Loop: Header=BB68_70 Depth=1
	v_mov_b32_e32 v9, s23
	v_add_co_u32_e32 v4, vcc, s22, v4
	v_addc_co_u32_e32 v5, vcc, v9, v5, vcc
	global_load_ushort v4, v[4:5], off
	s_waitcnt lgkmcnt(0)
	ds_read_b32 v10, v8
	v_subrev_u32_e32 v5, s4, v2
	v_lshl_add_u32 v5, v5, 2, v15
	s_waitcnt vmcnt(0)
	v_cvt_f32_f16_e32 v4, v4
	s_waitcnt lgkmcnt(0)
	v_mul_f32_e32 v4, v10, v4
	ds_add_f32 v5, v4
	s_branch .LBB68_68
.LBB68_83:
	s_or_b64 exec, exec, s[38:39]
                                        ; implicit-def: $vgpr8_vgpr9
                                        ; implicit-def: $vgpr6
.LBB68_84:
	s_andn2_saveexec_b64 s[20:21], s[20:21]
	s_cbranch_execz .LBB68_134
; %bb.85:
	s_add_u32 s36, s26, -1
	s_addc_u32 s37, s27, -1
	s_add_u32 s0, s26, -2
	s_addc_u32 s1, s27, -1
	v_pk_mov_b32 v[4:5], s[24:25], s[24:25] op_sel:[0,1]
	s_cmp_eq_u64 s[0:1], s[24:25]
	v_cmp_le_i64_e32 vcc, s[36:37], v[4:5]
	s_cselect_b64 s[0:1], -1, 0
	s_or_b64 s[2:3], vcc, s[0:1]
	s_and_b64 vcc, exec, s[2:3]
	v_pk_mov_b32 v[12:13], s[36:37], s[36:37] op_sel:[0,1]
	s_cbranch_vccnz .LBB68_89
; %bb.86:
	s_mov_b64 s[38:39], 0
	v_pk_mov_b32 v[4:5], s[24:25], s[24:25] op_sel:[0,1]
	v_pk_mov_b32 v[12:13], s[36:37], s[36:37] op_sel:[0,1]
	v_mov_b32_e32 v2, s17
	v_mov_b32_e32 v3, s31
.LBB68_87:                              ; =>This Inner Loop Header: Depth=1
	v_add_co_u32_e32 v10, vcc, v12, v4
	v_addc_co_u32_e32 v11, vcc, v13, v5, vcc
	v_lshrrev_b32_e32 v14, 31, v11
	v_add_co_u32_e32 v10, vcc, v10, v14
	v_addc_co_u32_e32 v11, vcc, 0, v11, vcc
	v_ashrrev_i64 v[10:11], 1, v[10:11]
	v_lshlrev_b64 v[14:15], 3, v[10:11]
	v_add_co_u32_e32 v14, vcc, s16, v14
	v_addc_co_u32_e32 v15, vcc, v2, v15, vcc
	global_load_dwordx2 v[14:15], v[14:15], off
	s_waitcnt vmcnt(0)
	v_subrev_co_u32_e32 v14, vcc, s30, v14
	v_subb_co_u32_e32 v15, vcc, v15, v3, vcc
	v_cmp_gt_i64_e32 vcc, v[14:15], v[6:7]
	v_cndmask_b32_e32 v12, v12, v10, vcc
	v_cndmask_b32_e32 v13, v13, v11, vcc
	;; [unrolled: 1-line block ×3, first 2 shown]
	v_add_co_u32_e64 v10, s[0:1], -1, v12
	v_cndmask_b32_e32 v5, v11, v5, vcc
	v_addc_co_u32_e64 v11, s[0:1], -1, v13, s[0:1]
	v_cmp_ge_i64_e32 vcc, v[4:5], v[12:13]
	v_cmp_eq_u64_e64 s[0:1], v[4:5], v[10:11]
	s_or_b64 s[0:1], vcc, s[0:1]
	s_and_b64 s[0:1], exec, s[0:1]
	s_or_b64 s[38:39], s[0:1], s[38:39]
	s_andn2_b64 exec, exec, s[38:39]
	s_cbranch_execnz .LBB68_87
; %bb.88:
	s_or_b64 exec, exec, s[38:39]
.LBB68_89:
	v_lshlrev_b64 v[2:3], 3, v[12:13]
	v_mov_b32_e32 v10, s17
	v_add_co_u32_e32 v2, vcc, s16, v2
	v_addc_co_u32_e32 v3, vcc, v10, v3, vcc
	global_load_dwordx2 v[10:11], v[2:3], off
	v_lshlrev_b64 v[2:3], 2, v[6:7]
	v_mov_b32_e32 v14, s19
	v_add_co_u32_e32 v2, vcc, s18, v2
	v_addc_co_u32_e32 v3, vcc, v14, v3, vcc
	global_load_dword v16, v[2:3], off
	v_mov_b32_e32 v15, s31
	s_xor_b64 s[2:3], s[2:3], -1
	s_lshl_b64 s[0:1], s[26:27], 3
	s_add_u32 s18, s16, s0
	s_addc_u32 s19, s17, s1
	s_waitcnt vmcnt(1)
	v_subrev_co_u32_e32 v14, vcc, s30, v10
	v_subb_co_u32_e32 v15, vcc, v11, v15, vcc
	v_cmp_gt_i64_e32 vcc, v[14:15], v[6:7]
	v_cndmask_b32_e32 v5, v13, v5, vcc
	v_cndmask_b32_e32 v4, v12, v4, vcc
	s_waitcnt vmcnt(0)
	v_subrev_u32_e32 v10, s30, v16
	v_ashrrev_i32_e32 v11, 31, v10
	v_cmp_ne_u64_e32 vcc, v[4:5], v[10:11]
	s_and_saveexec_b64 s[38:39], vcc
	s_cbranch_execz .LBB68_97
; %bb.90:
	s_load_dwordx2 s[0:1], s[18:19], 0x0
	s_waitcnt lgkmcnt(0)
	s_sub_u32 s0, s0, s30
	s_subb_u32 s1, s1, 0
	v_cmp_gt_i64_e32 vcc, s[0:1], v[6:7]
	s_and_b64 exec, exec, vcc
	s_cbranch_execz .LBB68_97
; %bb.91:
	v_cmp_gt_i64_e32 vcc, s[4:5], v[10:11]
	v_cmp_le_i64_e64 s[0:1], s[26:27], v[10:11]
	s_or_b64 s[0:1], vcc, s[0:1]
	v_lshlrev_b64 v[4:5], 1, v[4:5]
	s_and_saveexec_b64 s[40:41], s[0:1]
	s_xor_b64 s[0:1], exec, s[40:41]
	s_cbranch_execz .LBB68_95
; %bb.92:
	v_mov_b32_e32 v14, s23
	v_add_co_u32_e32 v4, vcc, s22, v4
	v_addc_co_u32_e32 v5, vcc, v14, v5, vcc
	global_load_ushort v14, v[4:5], off
	v_lshlrev_b64 v[12:13], 2, v[10:11]
	v_mov_b32_e32 v5, s15
	v_add_co_u32_e32 v4, vcc, s14, v12
	v_addc_co_u32_e32 v5, vcc, v5, v13, vcc
	global_load_dword v13, v[4:5], off
	ds_read_b32 v12, v18
	s_mov_b64 s[40:41], 0
	s_waitcnt vmcnt(1)
	v_cvt_f32_f16_e32 v14, v14
	s_waitcnt lgkmcnt(0)
	v_mul_f32_e32 v14, v12, v14
.LBB68_93:                              ; =>This Inner Loop Header: Depth=1
	s_waitcnt vmcnt(0)
	v_add_f32_e32 v12, v13, v14
	global_atomic_cmpswap v12, v[4:5], v[12:13], off glc
	s_waitcnt vmcnt(0)
	v_cmp_eq_u32_e32 vcc, v12, v13
	s_or_b64 s[40:41], vcc, s[40:41]
	v_mov_b32_e32 v13, v12
	s_andn2_b64 exec, exec, s[40:41]
	s_cbranch_execnz .LBB68_93
; %bb.94:
	s_or_b64 exec, exec, s[40:41]
                                        ; implicit-def: $vgpr4_vgpr5
.LBB68_95:
	s_andn2_saveexec_b64 s[0:1], s[0:1]
	s_cbranch_execz .LBB68_97
; %bb.96:
	v_mov_b32_e32 v12, s23
	v_add_co_u32_e32 v4, vcc, s22, v4
	v_addc_co_u32_e32 v5, vcc, v12, v5, vcc
	global_load_ushort v4, v[4:5], off
	ds_read_b32 v5, v18
	v_subrev_u32_e32 v12, s4, v10
	v_mov_b32_e32 v13, 0x1000
	v_lshl_add_u32 v12, v12, 2, v13
	s_waitcnt vmcnt(0)
	v_cvt_f32_f16_e32 v4, v4
	s_waitcnt lgkmcnt(0)
	v_mul_f32_e32 v4, v5, v4
	ds_add_f32 v12, v4
.LBB68_97:
	s_or_b64 exec, exec, s[38:39]
	v_lshlrev_b64 v[4:5], 1, v[10:11]
	v_mov_b32_e32 v10, s23
	v_add_co_u32_e32 v4, vcc, s22, v4
	v_addc_co_u32_e32 v5, vcc, v10, v5, vcc
	global_load_ushort v5, v[4:5], off
	ds_read_b32 v10, v18
	v_add_co_u32_e32 v4, vcc, 0x100, v6
	v_cndmask_b32_e64 v11, 0, 1, s[2:3]
	v_pk_mov_b32 v[12:13], s[24:25], s[24:25] op_sel:[0,1]
	v_cmp_ne_u32_e64 s[0:1], 1, v11
	s_waitcnt vmcnt(0)
	v_cvt_f32_f16_e32 v14, v5
	v_addc_co_u32_e32 v5, vcc, 0, v7, vcc
	s_andn2_b64 vcc, exec, s[2:3]
	s_waitcnt lgkmcnt(0)
	v_mul_f32_e32 v10, v10, v14
	v_pk_mov_b32 v[14:15], s[36:37], s[36:37] op_sel:[0,1]
	ds_write_b32 v18, v10
	s_cbranch_vccnz .LBB68_101
; %bb.98:
	s_mov_b64 s[38:39], 0
	v_pk_mov_b32 v[12:13], s[24:25], s[24:25] op_sel:[0,1]
	v_pk_mov_b32 v[14:15], s[36:37], s[36:37] op_sel:[0,1]
	v_mov_b32_e32 v10, s17
	v_mov_b32_e32 v11, s31
.LBB68_99:                              ; =>This Inner Loop Header: Depth=1
	v_add_co_u32_e32 v16, vcc, v14, v12
	v_addc_co_u32_e32 v17, vcc, v15, v13, vcc
	v_lshrrev_b32_e32 v19, 31, v17
	v_add_co_u32_e32 v16, vcc, v16, v19
	v_addc_co_u32_e32 v17, vcc, 0, v17, vcc
	v_ashrrev_i64 v[16:17], 1, v[16:17]
	v_lshlrev_b64 v[20:21], 3, v[16:17]
	v_add_co_u32_e32 v20, vcc, s16, v20
	v_addc_co_u32_e32 v21, vcc, v10, v21, vcc
	global_load_dwordx2 v[20:21], v[20:21], off
	s_waitcnt vmcnt(0)
	v_subrev_co_u32_e32 v20, vcc, s30, v20
	v_subb_co_u32_e32 v21, vcc, v21, v11, vcc
	v_cmp_gt_i64_e32 vcc, v[20:21], v[4:5]
	v_cndmask_b32_e32 v14, v14, v16, vcc
	v_cndmask_b32_e32 v15, v15, v17, vcc
	;; [unrolled: 1-line block ×3, first 2 shown]
	v_add_co_u32_e64 v16, s[2:3], -1, v14
	v_cndmask_b32_e32 v13, v17, v13, vcc
	v_addc_co_u32_e64 v17, s[2:3], -1, v15, s[2:3]
	v_cmp_ge_i64_e32 vcc, v[12:13], v[14:15]
	v_cmp_eq_u64_e64 s[2:3], v[12:13], v[16:17]
	s_or_b64 s[2:3], vcc, s[2:3]
	s_and_b64 s[2:3], exec, s[2:3]
	s_or_b64 s[38:39], s[2:3], s[38:39]
	s_andn2_b64 exec, exec, s[38:39]
	s_cbranch_execnz .LBB68_99
; %bb.100:
	s_or_b64 exec, exec, s[38:39]
.LBB68_101:
	v_lshlrev_b64 v[10:11], 3, v[14:15]
	v_mov_b32_e32 v16, s17
	v_add_co_u32_e32 v10, vcc, s16, v10
	v_addc_co_u32_e32 v11, vcc, v16, v11, vcc
	global_load_dwordx2 v[16:17], v[10:11], off
	global_load_dword v19, v[2:3], off offset:1024
	v_mov_b32_e32 v11, s31
	s_waitcnt vmcnt(1)
	v_subrev_co_u32_e32 v16, vcc, s30, v16
	v_subb_co_u32_e32 v17, vcc, v17, v11, vcc
	s_waitcnt vmcnt(0)
	v_subrev_u32_e32 v10, s30, v19
	v_cmp_gt_i64_e32 vcc, v[16:17], v[4:5]
	v_cndmask_b32_e32 v13, v15, v13, vcc
	v_cndmask_b32_e32 v12, v14, v12, vcc
	v_ashrrev_i32_e32 v11, 31, v10
	v_cmp_ne_u64_e32 vcc, v[12:13], v[10:11]
	s_and_saveexec_b64 s[38:39], vcc
	s_cbranch_execz .LBB68_109
; %bb.102:
	s_load_dwordx2 s[2:3], s[18:19], 0x0
	s_waitcnt lgkmcnt(0)
	s_sub_u32 s2, s2, s30
	s_subb_u32 s3, s3, 0
	v_cmp_gt_i64_e32 vcc, s[2:3], v[4:5]
	s_and_b64 exec, exec, vcc
	s_cbranch_execz .LBB68_109
; %bb.103:
	v_cmp_gt_i64_e32 vcc, s[4:5], v[10:11]
	v_cmp_le_i64_e64 s[2:3], s[26:27], v[10:11]
	s_or_b64 s[2:3], vcc, s[2:3]
	v_lshlrev_b64 v[4:5], 1, v[12:13]
	s_and_saveexec_b64 s[40:41], s[2:3]
	s_xor_b64 s[2:3], exec, s[40:41]
	s_cbranch_execz .LBB68_107
; %bb.104:
	v_mov_b32_e32 v14, s23
	v_add_co_u32_e32 v4, vcc, s22, v4
	v_addc_co_u32_e32 v5, vcc, v14, v5, vcc
	global_load_ushort v14, v[4:5], off
	v_lshlrev_b64 v[12:13], 2, v[10:11]
	v_mov_b32_e32 v5, s15
	v_add_co_u32_e32 v4, vcc, s14, v12
	v_addc_co_u32_e32 v5, vcc, v5, v13, vcc
	global_load_dword v13, v[4:5], off
	ds_read_b32 v12, v18 offset:1024
	s_mov_b64 s[40:41], 0
	s_waitcnt vmcnt(1)
	v_cvt_f32_f16_e32 v14, v14
	s_waitcnt lgkmcnt(0)
	v_mul_f32_e32 v14, v12, v14
.LBB68_105:                             ; =>This Inner Loop Header: Depth=1
	s_waitcnt vmcnt(0)
	v_add_f32_e32 v12, v13, v14
	global_atomic_cmpswap v12, v[4:5], v[12:13], off glc
	s_waitcnt vmcnt(0)
	v_cmp_eq_u32_e32 vcc, v12, v13
	s_or_b64 s[40:41], vcc, s[40:41]
	v_mov_b32_e32 v13, v12
	s_andn2_b64 exec, exec, s[40:41]
	s_cbranch_execnz .LBB68_105
; %bb.106:
	s_or_b64 exec, exec, s[40:41]
                                        ; implicit-def: $vgpr4_vgpr5
.LBB68_107:
	s_andn2_saveexec_b64 s[2:3], s[2:3]
	s_cbranch_execz .LBB68_109
; %bb.108:
	v_mov_b32_e32 v12, s23
	v_add_co_u32_e32 v4, vcc, s22, v4
	v_addc_co_u32_e32 v5, vcc, v12, v5, vcc
	global_load_ushort v4, v[4:5], off
	ds_read_b32 v5, v18 offset:1024
	v_subrev_u32_e32 v12, s4, v10
	v_mov_b32_e32 v13, 0x1000
	v_lshl_add_u32 v12, v12, 2, v13
	s_waitcnt vmcnt(0)
	v_cvt_f32_f16_e32 v4, v4
	s_waitcnt lgkmcnt(0)
	v_mul_f32_e32 v4, v5, v4
	ds_add_f32 v12, v4
.LBB68_109:
	s_or_b64 exec, exec, s[38:39]
	v_lshlrev_b64 v[4:5], 1, v[10:11]
	v_mov_b32_e32 v10, s23
	v_add_co_u32_e32 v4, vcc, s22, v4
	v_addc_co_u32_e32 v5, vcc, v10, v5, vcc
	global_load_ushort v5, v[4:5], off
	ds_read_b32 v12, v18 offset:1024
	v_add_co_u32_e32 v4, vcc, 0x200, v6
	v_pk_mov_b32 v[10:11], s[24:25], s[24:25] op_sel:[0,1]
	s_waitcnt vmcnt(0)
	v_cvt_f32_f16_e32 v6, v5
	v_addc_co_u32_e32 v5, vcc, 0, v7, vcc
	s_and_b64 vcc, exec, s[0:1]
	s_waitcnt lgkmcnt(0)
	v_mul_f32_e32 v6, v12, v6
	v_pk_mov_b32 v[12:13], s[36:37], s[36:37] op_sel:[0,1]
	ds_write_b32 v18, v6 offset:1024
	s_cbranch_vccnz .LBB68_113
; %bb.110:
	s_mov_b64 s[38:39], 0
	v_pk_mov_b32 v[10:11], s[24:25], s[24:25] op_sel:[0,1]
	v_pk_mov_b32 v[12:13], s[36:37], s[36:37] op_sel:[0,1]
	v_mov_b32_e32 v6, s17
	v_mov_b32_e32 v7, s31
.LBB68_111:                             ; =>This Inner Loop Header: Depth=1
	v_add_co_u32_e32 v14, vcc, v12, v10
	v_addc_co_u32_e32 v15, vcc, v13, v11, vcc
	v_lshrrev_b32_e32 v16, 31, v15
	v_add_co_u32_e32 v14, vcc, v14, v16
	v_addc_co_u32_e32 v15, vcc, 0, v15, vcc
	v_ashrrev_i64 v[14:15], 1, v[14:15]
	v_lshlrev_b64 v[16:17], 3, v[14:15]
	v_add_co_u32_e32 v16, vcc, s16, v16
	v_addc_co_u32_e32 v17, vcc, v6, v17, vcc
	global_load_dwordx2 v[16:17], v[16:17], off
	s_waitcnt vmcnt(0)
	v_subrev_co_u32_e32 v16, vcc, s30, v16
	v_subb_co_u32_e32 v17, vcc, v17, v7, vcc
	v_cmp_gt_i64_e32 vcc, v[16:17], v[4:5]
	v_cndmask_b32_e32 v12, v12, v14, vcc
	v_cndmask_b32_e32 v13, v13, v15, vcc
	;; [unrolled: 1-line block ×3, first 2 shown]
	v_add_co_u32_e64 v14, s[2:3], -1, v12
	v_cndmask_b32_e32 v11, v15, v11, vcc
	v_addc_co_u32_e64 v15, s[2:3], -1, v13, s[2:3]
	v_cmp_ge_i64_e32 vcc, v[10:11], v[12:13]
	v_cmp_eq_u64_e64 s[2:3], v[10:11], v[14:15]
	s_or_b64 s[2:3], vcc, s[2:3]
	s_and_b64 s[2:3], exec, s[2:3]
	s_or_b64 s[38:39], s[2:3], s[38:39]
	s_andn2_b64 exec, exec, s[38:39]
	s_cbranch_execnz .LBB68_111
; %bb.112:
	s_or_b64 exec, exec, s[38:39]
.LBB68_113:
	v_lshlrev_b64 v[6:7], 3, v[12:13]
	v_mov_b32_e32 v14, s17
	v_add_co_u32_e32 v6, vcc, s16, v6
	v_addc_co_u32_e32 v7, vcc, v14, v7, vcc
	global_load_dwordx2 v[14:15], v[6:7], off
	global_load_dword v16, v[2:3], off offset:2048
	v_mov_b32_e32 v7, s31
	s_waitcnt vmcnt(1)
	v_subrev_co_u32_e32 v14, vcc, s30, v14
	v_subb_co_u32_e32 v15, vcc, v15, v7, vcc
	s_waitcnt vmcnt(0)
	v_subrev_u32_e32 v6, s30, v16
	v_cmp_gt_i64_e32 vcc, v[14:15], v[4:5]
	v_cndmask_b32_e32 v11, v13, v11, vcc
	v_cndmask_b32_e32 v10, v12, v10, vcc
	v_ashrrev_i32_e32 v7, 31, v6
	v_cmp_ne_u64_e32 vcc, v[10:11], v[6:7]
	s_and_saveexec_b64 s[38:39], vcc
	s_cbranch_execz .LBB68_121
; %bb.114:
	s_load_dwordx2 s[2:3], s[18:19], 0x0
	s_waitcnt lgkmcnt(0)
	s_sub_u32 s2, s2, s30
	s_subb_u32 s3, s3, 0
	v_cmp_gt_i64_e32 vcc, s[2:3], v[4:5]
	s_and_b64 exec, exec, vcc
	s_cbranch_execz .LBB68_121
; %bb.115:
	v_cmp_gt_i64_e32 vcc, s[4:5], v[6:7]
	v_cmp_le_i64_e64 s[2:3], s[26:27], v[6:7]
	s_or_b64 s[2:3], vcc, s[2:3]
	v_lshlrev_b64 v[4:5], 1, v[10:11]
	s_and_saveexec_b64 s[40:41], s[2:3]
	s_xor_b64 s[2:3], exec, s[40:41]
	s_cbranch_execz .LBB68_119
; %bb.116:
	v_mov_b32_e32 v12, s23
	v_add_co_u32_e32 v4, vcc, s22, v4
	v_addc_co_u32_e32 v5, vcc, v12, v5, vcc
	global_load_ushort v12, v[4:5], off
	v_lshlrev_b64 v[10:11], 2, v[6:7]
	v_mov_b32_e32 v5, s15
	v_add_co_u32_e32 v4, vcc, s14, v10
	v_addc_co_u32_e32 v5, vcc, v5, v11, vcc
	global_load_dword v11, v[4:5], off
	ds_read_b32 v10, v18 offset:2048
	s_mov_b64 s[40:41], 0
	s_waitcnt vmcnt(1)
	v_cvt_f32_f16_e32 v12, v12
	s_waitcnt lgkmcnt(0)
	v_mul_f32_e32 v12, v10, v12
.LBB68_117:                             ; =>This Inner Loop Header: Depth=1
	s_waitcnt vmcnt(0)
	v_add_f32_e32 v10, v11, v12
	global_atomic_cmpswap v10, v[4:5], v[10:11], off glc
	s_waitcnt vmcnt(0)
	v_cmp_eq_u32_e32 vcc, v10, v11
	s_or_b64 s[40:41], vcc, s[40:41]
	v_mov_b32_e32 v11, v10
	s_andn2_b64 exec, exec, s[40:41]
	s_cbranch_execnz .LBB68_117
; %bb.118:
	s_or_b64 exec, exec, s[40:41]
                                        ; implicit-def: $vgpr4_vgpr5
.LBB68_119:
	s_andn2_saveexec_b64 s[2:3], s[2:3]
	s_cbranch_execz .LBB68_121
; %bb.120:
	v_mov_b32_e32 v10, s23
	v_add_co_u32_e32 v4, vcc, s22, v4
	v_addc_co_u32_e32 v5, vcc, v10, v5, vcc
	global_load_ushort v4, v[4:5], off
	ds_read_b32 v5, v18 offset:2048
	v_subrev_u32_e32 v10, s4, v6
	v_mov_b32_e32 v11, 0x1000
	v_lshl_add_u32 v10, v10, 2, v11
	s_waitcnt vmcnt(0)
	v_cvt_f32_f16_e32 v4, v4
	s_waitcnt lgkmcnt(0)
	v_mul_f32_e32 v4, v5, v4
	ds_add_f32 v10, v4
.LBB68_121:
	s_or_b64 exec, exec, s[38:39]
	v_lshlrev_b64 v[4:5], 1, v[6:7]
	v_mov_b32_e32 v6, s23
	v_add_co_u32_e32 v4, vcc, s22, v4
	v_addc_co_u32_e32 v5, vcc, v6, v5, vcc
	global_load_ushort v4, v[4:5], off
	ds_read_b32 v6, v18 offset:2048
	s_and_b64 vcc, exec, s[0:1]
	s_waitcnt vmcnt(0)
	v_cvt_f32_f16_e32 v7, v4
	v_pk_mov_b32 v[4:5], s[24:25], s[24:25] op_sel:[0,1]
	s_waitcnt lgkmcnt(0)
	v_mul_f32_e32 v6, v6, v7
	ds_write_b32 v18, v6 offset:2048
	v_pk_mov_b32 v[6:7], s[36:37], s[36:37] op_sel:[0,1]
	s_cbranch_vccnz .LBB68_125
; %bb.122:
	s_mov_b64 s[2:3], 0
	v_pk_mov_b32 v[4:5], s[24:25], s[24:25] op_sel:[0,1]
	v_pk_mov_b32 v[6:7], s[36:37], s[36:37] op_sel:[0,1]
	v_mov_b32_e32 v10, s17
	v_mov_b32_e32 v11, s31
.LBB68_123:                             ; =>This Inner Loop Header: Depth=1
	v_add_co_u32_e32 v12, vcc, v6, v4
	v_addc_co_u32_e32 v13, vcc, v7, v5, vcc
	v_lshrrev_b32_e32 v14, 31, v13
	v_add_co_u32_e32 v12, vcc, v12, v14
	v_addc_co_u32_e32 v13, vcc, 0, v13, vcc
	v_ashrrev_i64 v[12:13], 1, v[12:13]
	v_lshlrev_b64 v[14:15], 3, v[12:13]
	v_add_co_u32_e32 v14, vcc, s16, v14
	v_addc_co_u32_e32 v15, vcc, v10, v15, vcc
	global_load_dwordx2 v[14:15], v[14:15], off
	s_waitcnt vmcnt(0)
	v_subrev_co_u32_e32 v14, vcc, s30, v14
	v_subb_co_u32_e32 v15, vcc, v15, v11, vcc
	v_cmp_gt_i64_e32 vcc, v[14:15], v[8:9]
	v_cndmask_b32_e32 v6, v6, v12, vcc
	v_cndmask_b32_e32 v7, v7, v13, vcc
	v_cndmask_b32_e32 v4, v12, v4, vcc
	v_add_co_u32_e64 v12, s[0:1], -1, v6
	v_cndmask_b32_e32 v5, v13, v5, vcc
	v_addc_co_u32_e64 v13, s[0:1], -1, v7, s[0:1]
	v_cmp_ge_i64_e32 vcc, v[4:5], v[6:7]
	v_cmp_eq_u64_e64 s[0:1], v[4:5], v[12:13]
	s_or_b64 s[0:1], vcc, s[0:1]
	s_and_b64 s[0:1], exec, s[0:1]
	s_or_b64 s[2:3], s[0:1], s[2:3]
	s_andn2_b64 exec, exec, s[2:3]
	s_cbranch_execnz .LBB68_123
; %bb.124:
	s_or_b64 exec, exec, s[2:3]
.LBB68_125:
	v_lshlrev_b64 v[10:11], 3, v[6:7]
	v_mov_b32_e32 v12, s17
	global_load_dword v13, v[2:3], off offset:3072
	v_add_co_u32_e32 v2, vcc, s16, v10
	v_addc_co_u32_e32 v3, vcc, v12, v11, vcc
	global_load_dwordx2 v[10:11], v[2:3], off
	v_mov_b32_e32 v3, s31
	s_waitcnt vmcnt(1)
	v_subrev_u32_e32 v2, s30, v13
	s_waitcnt vmcnt(0)
	v_subrev_co_u32_e32 v10, vcc, s30, v10
	v_subb_co_u32_e32 v11, vcc, v11, v3, vcc
	v_cmp_gt_i64_e32 vcc, v[10:11], v[8:9]
	v_cndmask_b32_e32 v5, v7, v5, vcc
	v_cndmask_b32_e32 v4, v6, v4, vcc
	v_ashrrev_i32_e32 v3, 31, v2
	v_cmp_ne_u64_e32 vcc, v[4:5], v[2:3]
	s_and_saveexec_b64 s[2:3], vcc
	s_cbranch_execz .LBB68_133
; %bb.126:
	s_load_dwordx2 s[0:1], s[18:19], 0x0
	s_waitcnt lgkmcnt(0)
	s_sub_u32 s0, s0, s30
	s_subb_u32 s1, s1, 0
	v_cmp_gt_i64_e32 vcc, s[0:1], v[8:9]
	s_and_b64 exec, exec, vcc
	s_cbranch_execz .LBB68_133
; %bb.127:
	v_cmp_gt_i64_e32 vcc, s[4:5], v[2:3]
	v_cmp_le_i64_e64 s[0:1], s[26:27], v[2:3]
	s_or_b64 s[0:1], vcc, s[0:1]
	v_lshlrev_b64 v[4:5], 1, v[4:5]
	s_and_saveexec_b64 s[18:19], s[0:1]
	s_xor_b64 s[0:1], exec, s[18:19]
	s_cbranch_execz .LBB68_131
; %bb.128:
	v_mov_b32_e32 v8, s23
	v_add_co_u32_e32 v4, vcc, s22, v4
	v_addc_co_u32_e32 v5, vcc, v8, v5, vcc
	global_load_ushort v8, v[4:5], off
	v_lshlrev_b64 v[6:7], 2, v[2:3]
	v_mov_b32_e32 v5, s15
	v_add_co_u32_e32 v4, vcc, s14, v6
	v_addc_co_u32_e32 v5, vcc, v5, v7, vcc
	global_load_dword v7, v[4:5], off
	ds_read_b32 v6, v18 offset:3072
	s_mov_b64 s[18:19], 0
	s_waitcnt vmcnt(1)
	v_cvt_f32_f16_e32 v8, v8
	s_waitcnt lgkmcnt(0)
	v_mul_f32_e32 v8, v6, v8
.LBB68_129:                             ; =>This Inner Loop Header: Depth=1
	s_waitcnt vmcnt(0)
	v_add_f32_e32 v6, v7, v8
	global_atomic_cmpswap v6, v[4:5], v[6:7], off glc
	s_waitcnt vmcnt(0)
	v_cmp_eq_u32_e32 vcc, v6, v7
	s_or_b64 s[18:19], vcc, s[18:19]
	v_mov_b32_e32 v7, v6
	s_andn2_b64 exec, exec, s[18:19]
	s_cbranch_execnz .LBB68_129
; %bb.130:
	s_or_b64 exec, exec, s[18:19]
                                        ; implicit-def: $vgpr4_vgpr5
.LBB68_131:
	s_andn2_saveexec_b64 s[0:1], s[0:1]
	s_cbranch_execz .LBB68_133
; %bb.132:
	v_mov_b32_e32 v6, s23
	v_add_co_u32_e32 v4, vcc, s22, v4
	v_addc_co_u32_e32 v5, vcc, v6, v5, vcc
	global_load_ushort v4, v[4:5], off
	ds_read_b32 v5, v18 offset:3072
	v_subrev_u32_e32 v6, s4, v2
	v_mov_b32_e32 v7, 0x1000
	v_lshl_add_u32 v6, v6, 2, v7
	s_waitcnt vmcnt(0)
	v_cvt_f32_f16_e32 v4, v4
	s_waitcnt lgkmcnt(0)
	v_mul_f32_e32 v4, v5, v4
	ds_add_f32 v6, v4
.LBB68_133:
	s_or_b64 exec, exec, s[2:3]
	v_lshlrev_b64 v[2:3], 1, v[2:3]
	v_mov_b32_e32 v4, s23
	v_add_co_u32_e32 v2, vcc, s22, v2
	v_addc_co_u32_e32 v3, vcc, v4, v3, vcc
	global_load_ushort v2, v[2:3], off
	ds_read_b32 v3, v18 offset:3072
	s_waitcnt vmcnt(0)
	v_cvt_f32_f16_e32 v2, v2
	s_waitcnt lgkmcnt(0)
	v_mul_f32_e32 v2, v3, v2
	ds_write_b32 v18, v2 offset:3072
.LBB68_134:
	s_or_b64 exec, exec, s[20:21]
	v_pk_mov_b32 v[2:3], s[6:7], s[6:7] op_sel:[0,1]
	v_cmp_lt_i64_e32 vcc, s[26:27], v[2:3]
	s_and_b64 s[0:1], vcc, exec
	s_cselect_b32 s18, s26, s6
	s_cselect_b32 s0, s27, s7
	s_sub_u32 s2, s18, s28
	s_subb_u32 s3, s0, s29
	v_cmp_gt_i64_e32 vcc, s[2:3], v[0:1]
	s_waitcnt lgkmcnt(0)
	s_barrier
	s_and_saveexec_b64 s[0:1], vcc
	s_cbranch_execz .LBB68_139
; %bb.135:
	s_lshl_b64 s[4:5], s[4:5], 2
	s_add_u32 s19, s14, s4
	s_addc_u32 s6, s15, s5
	s_mov_b64 s[4:5], 0
	v_mov_b32_e32 v8, s6
	v_mov_b32_e32 v9, 0x1000
	v_pk_mov_b32 v[2:3], v[0:1], v[0:1] op_sel:[0,1]
.LBB68_136:                             ; =>This Loop Header: Depth=1
                                        ;     Child Loop BB68_137 Depth 2
	v_lshlrev_b64 v[4:5], 2, v[2:3]
	v_add_co_u32_e32 v4, vcc, s19, v4
	v_addc_co_u32_e32 v5, vcc, v8, v5, vcc
	global_load_dword v7, v[4:5], off
	v_lshl_add_u32 v6, v2, 2, v9
	ds_read_b32 v10, v6
	s_mov_b64 s[6:7], 0
.LBB68_137:                             ;   Parent Loop BB68_136 Depth=1
                                        ; =>  This Inner Loop Header: Depth=2
	s_waitcnt vmcnt(0) lgkmcnt(0)
	v_add_f32_e32 v6, v7, v10
	global_atomic_cmpswap v6, v[4:5], v[6:7], off glc
	s_waitcnt vmcnt(0)
	v_cmp_eq_u32_e32 vcc, v6, v7
	s_or_b64 s[6:7], vcc, s[6:7]
	v_mov_b32_e32 v7, v6
	s_andn2_b64 exec, exec, s[6:7]
	s_cbranch_execnz .LBB68_137
; %bb.138:                              ;   in Loop: Header=BB68_136 Depth=1
	s_or_b64 exec, exec, s[6:7]
	v_add_co_u32_e32 v2, vcc, 0x100, v2
	v_addc_co_u32_e32 v3, vcc, 0, v3, vcc
	v_cmp_le_i64_e32 vcc, s[2:3], v[2:3]
	s_or_b64 s[4:5], vcc, s[4:5]
	s_andn2_b64 exec, exec, s[4:5]
	s_cbranch_execnz .LBB68_136
.LBB68_139:
	s_or_b64 exec, exec, s[0:1]
	s_add_i32 s0, s34, -1
	s_ashr_i32 s1, s0, 1
	s_or_b32 s0, s1, s0
	s_ashr_i32 s1, s0, 2
	s_or_b32 s0, s1, s0
	;; [unrolled: 2-line block ×5, first 2 shown]
	s_add_i32 s3, s3, 1
	s_ashr_i32 s20, s3, 1
	v_mov_b32_e32 v2, s25
	v_add_co_u32_e32 v6, vcc, s24, v0
	v_addc_co_u32_e32 v7, vcc, 0, v2, vcc
	s_cmp_gt_i32 s20, 1
	s_mov_b64 s[0:1], -1
	s_barrier
	s_cbranch_scc1 .LBB68_150
; %bb.140:
	v_cmp_gt_i64_e32 vcc, s[26:27], v[6:7]
	s_and_saveexec_b64 s[0:1], vcc
	s_cbranch_execz .LBB68_149
; %bb.141:
	s_sub_i32 s4, s18, s26
	s_lshl_b32 s4, s4, 2
	s_add_i32 s21, s4, 0x1000
	s_lshl_b32 s4, s8, 2
	s_sub_i32 s22, 0, s4
	s_mov_b64 s[4:5], 0
	v_mov_b32_e32 v12, s17
	v_mov_b32_e32 v13, s15
	;; [unrolled: 1-line block ×3, first 2 shown]
	v_pk_mov_b32 v[8:9], v[6:7], v[6:7] op_sel:[0,1]
.LBB68_142:                             ; =>This Loop Header: Depth=1
                                        ;     Child Loop BB68_144 Depth 2
                                        ;     Child Loop BB68_147 Depth 2
	v_lshlrev_b64 v[2:3], 3, v[8:9]
	v_add_co_u32_e32 v2, vcc, s16, v2
	v_addc_co_u32_e32 v3, vcc, v12, v3, vcc
	global_load_dwordx4 v[2:5], v[2:3], off
	v_mov_b32_e32 v15, 0
	s_waitcnt vmcnt(0)
	v_cmp_lt_i64_e32 vcc, v[2:3], v[4:5]
	s_and_saveexec_b64 s[6:7], vcc
	s_cbranch_execz .LBB68_146
; %bb.143:                              ;   in Loop: Header=BB68_142 Depth=1
	v_mov_b32_e32 v11, s9
	v_subrev_co_u32_e32 v4, vcc, s8, v4
	v_subb_co_u32_e32 v5, vcc, v5, v11, vcc
	v_subrev_co_u32_e32 v10, vcc, s8, v2
	v_subb_co_u32_e32 v11, vcc, v3, v11, vcc
	v_lshl_add_u32 v2, v2, 2, s22
	s_mov_b64 s[18:19], 0
	v_mov_b32_e32 v15, 0
.LBB68_144:                             ;   Parent Loop BB68_142 Depth=1
                                        ; =>  This Inner Loop Header: Depth=2
	ds_read_b32 v3, v2
	v_add_co_u32_e32 v10, vcc, 1, v10
	v_addc_co_u32_e32 v11, vcc, 0, v11, vcc
	v_cmp_ge_i64_e32 vcc, v[10:11], v[4:5]
	v_add_u32_e32 v2, 4, v2
	s_or_b64 s[18:19], vcc, s[18:19]
	s_waitcnt lgkmcnt(0)
	v_add_f32_e32 v15, v15, v3
	s_andn2_b64 exec, exec, s[18:19]
	s_cbranch_execnz .LBB68_144
; %bb.145:                              ;   in Loop: Header=BB68_142 Depth=1
	s_or_b64 exec, exec, s[18:19]
.LBB68_146:                             ;   in Loop: Header=BB68_142 Depth=1
	s_or_b64 exec, exec, s[6:7]
	v_lshlrev_b64 v[2:3], 2, v[8:9]
	v_add_co_u32_e32 v2, vcc, s14, v2
	v_addc_co_u32_e32 v3, vcc, v13, v3, vcc
	global_load_dword v5, v[2:3], off
	v_lshl_add_u32 v4, v8, 2, s21
	ds_read_b32 v4, v4
	s_mov_b64 s[6:7], 0
	s_waitcnt lgkmcnt(0)
	v_add_f32_e32 v10, v15, v4
.LBB68_147:                             ;   Parent Loop BB68_142 Depth=1
                                        ; =>  This Inner Loop Header: Depth=2
	s_waitcnt vmcnt(0)
	v_add_f32_e32 v4, v5, v10
	global_atomic_cmpswap v4, v[2:3], v[4:5], off glc
	s_waitcnt vmcnt(0)
	v_cmp_eq_u32_e32 vcc, v4, v5
	s_or_b64 s[6:7], vcc, s[6:7]
	v_mov_b32_e32 v5, v4
	s_andn2_b64 exec, exec, s[6:7]
	s_cbranch_execnz .LBB68_147
; %bb.148:                              ;   in Loop: Header=BB68_142 Depth=1
	s_or_b64 exec, exec, s[6:7]
	v_add_co_u32_e32 v8, vcc, s12, v8
	v_addc_co_u32_e32 v9, vcc, v9, v14, vcc
	v_cmp_le_i64_e32 vcc, s[26:27], v[8:9]
	s_or_b64 s[4:5], vcc, s[4:5]
	s_andn2_b64 exec, exec, s[4:5]
	s_cbranch_execnz .LBB68_142
.LBB68_149:
	s_or_b64 exec, exec, s[0:1]
	s_mov_b64 s[0:1], 0
.LBB68_150:
	s_andn2_b64 vcc, exec, s[0:1]
	s_cbranch_vccnz .LBB68_179
; %bb.151:
	v_cvt_f32_u32_e32 v14, s20
	s_sub_i32 s6, 0, s20
	v_mov_b32_e32 v11, 0
	v_mov_b32_e32 v4, s11
	v_rcp_iflag_f32_e32 v2, v14
	v_mov_b32_e32 v12, s9
	v_mul_f32_e32 v2, 0x4f7ffffe, v2
	v_cvt_u32_f32_e32 v2, v2
	v_mul_lo_u32 v3, s6, v2
	v_mul_hi_u32 v3, v2, v3
	v_add_u32_e32 v2, v2, v3
	v_mul_hi_u32 v2, v0, v2
	v_mul_lo_u32 v3, v2, s20
	v_sub_u32_e32 v3, v0, v3
	v_add_u32_e32 v5, 1, v2
	v_cmp_le_u32_e32 vcc, s20, v3
	v_cndmask_b32_e32 v2, v2, v5, vcc
	v_subrev_u32_e32 v5, s20, v3
	v_cndmask_b32_e32 v3, v3, v5, vcc
	v_add_u32_e32 v5, 1, v2
	v_cmp_le_u32_e32 vcc, s20, v3
	v_cndmask_b32_e32 v10, v2, v5, vcc
	v_lshlrev_b64 v[2:3], 3, v[10:11]
	v_add_co_u32_e32 v2, vcc, s10, v2
	v_addc_co_u32_e32 v3, vcc, v4, v3, vcc
	global_load_dwordx4 v[2:5], v[2:3], off
	s_waitcnt vmcnt(0)
	v_subrev_co_u32_e32 v8, vcc, s8, v2
	v_subb_co_u32_e32 v9, vcc, v3, v12, vcc
	v_subrev_co_u32_e32 v16, vcc, s8, v4
	v_subb_co_u32_e32 v17, vcc, v5, v12, vcc
	v_sub_co_u32_e32 v3, vcc, v16, v8
	v_subb_co_u32_e32 v13, vcc, v17, v9, vcc
	v_mov_b32_e32 v12, v11
	v_cmp_ne_u64_e32 vcc, 0, v[12:13]
                                        ; implicit-def: $vgpr4_vgpr5
	s_and_saveexec_b64 s[0:1], vcc
	s_xor_b64 s[4:5], exec, s[0:1]
	s_cbranch_execz .LBB68_153
; %bb.152:
	v_cvt_f32_ubyte0_e32 v4, 0
	v_madmk_f32 v4, v4, 0x4f800000, v14
	v_rcp_f32_e32 v4, v4
	s_sub_u32 s0, 0, s20
	s_subb_u32 s1, 0, 0
	v_mul_f32_e32 v4, 0x5f7ffffc, v4
	v_mul_f32_e32 v5, 0x2f800000, v4
	v_trunc_f32_e32 v5, v5
	v_madmk_f32 v4, v5, 0xcf800000, v4
	v_cvt_u32_f32_e32 v5, v5
	v_cvt_u32_f32_e32 v4, v4
	v_mul_lo_u32 v12, s0, v5
	v_mul_hi_u32 v15, s0, v4
	v_mul_lo_u32 v14, s1, v4
	v_add_u32_e32 v12, v15, v12
	v_add_u32_e32 v12, v12, v14
	v_mul_lo_u32 v19, s0, v4
	v_mul_lo_u32 v15, v4, v12
	v_mul_hi_u32 v20, v4, v19
	v_mul_hi_u32 v14, v4, v12
	v_add_co_u32_e32 v15, vcc, v20, v15
	v_addc_co_u32_e32 v14, vcc, 0, v14, vcc
	v_mul_hi_u32 v21, v5, v19
	v_mul_lo_u32 v19, v5, v19
	v_add_co_u32_e32 v15, vcc, v15, v19
	v_mul_hi_u32 v20, v5, v12
	v_addc_co_u32_e32 v14, vcc, v14, v21, vcc
	v_addc_co_u32_e32 v15, vcc, 0, v20, vcc
	v_mul_lo_u32 v12, v5, v12
	v_add_co_u32_e32 v12, vcc, v14, v12
	v_addc_co_u32_e32 v14, vcc, 0, v15, vcc
	v_add_co_u32_e32 v4, vcc, v4, v12
	v_addc_co_u32_e32 v5, vcc, v5, v14, vcc
	v_mul_lo_u32 v12, s0, v5
	v_mul_hi_u32 v14, s0, v4
	v_add_u32_e32 v12, v14, v12
	v_mul_lo_u32 v14, s1, v4
	v_add_u32_e32 v12, v12, v14
	v_mul_lo_u32 v15, s0, v4
	v_mul_hi_u32 v19, v5, v15
	v_mul_lo_u32 v20, v5, v15
	v_mul_lo_u32 v22, v4, v12
	v_mul_hi_u32 v15, v4, v15
	v_mul_hi_u32 v21, v4, v12
	v_add_co_u32_e32 v15, vcc, v15, v22
	v_addc_co_u32_e32 v21, vcc, 0, v21, vcc
	v_add_co_u32_e32 v15, vcc, v15, v20
	v_mul_hi_u32 v14, v5, v12
	v_addc_co_u32_e32 v15, vcc, v21, v19, vcc
	v_addc_co_u32_e32 v14, vcc, 0, v14, vcc
	v_mul_lo_u32 v12, v5, v12
	v_add_co_u32_e32 v12, vcc, v15, v12
	v_addc_co_u32_e32 v14, vcc, 0, v14, vcc
	v_add_co_u32_e32 v12, vcc, v4, v12
	v_addc_co_u32_e32 v14, vcc, v5, v14, vcc
	v_ashrrev_i32_e32 v15, 31, v13
	v_add_co_u32_e32 v3, vcc, v3, v15
	v_addc_co_u32_e32 v4, vcc, v13, v15, vcc
	v_xor_b32_e32 v3, v3, v15
	v_xor_b32_e32 v19, v4, v15
	v_mad_u64_u32 v[4:5], s[0:1], v3, v14, 0
	v_mul_hi_u32 v13, v3, v12
	v_add_co_u32_e32 v20, vcc, v13, v4
	v_addc_co_u32_e32 v21, vcc, 0, v5, vcc
	v_mad_u64_u32 v[12:13], s[0:1], v19, v12, 0
	v_add_co_u32_e32 v12, vcc, v20, v12
	v_mad_u64_u32 v[4:5], s[0:1], v19, v14, 0
	v_addc_co_u32_e32 v12, vcc, v21, v13, vcc
	v_addc_co_u32_e32 v5, vcc, 0, v5, vcc
	v_add_co_u32_e32 v14, vcc, v12, v4
	v_addc_co_u32_e32 v20, vcc, 0, v5, vcc
	v_mad_u64_u32 v[4:5], s[0:1], s20, v14, 0
	v_mov_b32_e32 v12, v5
	v_mad_u64_u32 v[12:13], s[0:1], s20, v20, v[12:13]
	v_sub_co_u32_e32 v3, vcc, v3, v4
	v_subb_co_u32_e32 v4, vcc, v19, v12, vcc
	v_subrev_co_u32_e32 v5, vcc, s20, v3
	v_subbrev_co_u32_e32 v12, vcc, 0, v4, vcc
	v_cmp_le_u32_e32 vcc, s20, v5
	v_cndmask_b32_e64 v5, 0, -1, vcc
	v_cmp_eq_u32_e32 vcc, 0, v12
	v_cndmask_b32_e32 v5, -1, v5, vcc
	v_add_co_u32_e32 v12, vcc, 2, v14
	v_addc_co_u32_e32 v13, vcc, 0, v20, vcc
	v_add_co_u32_e32 v19, vcc, 1, v14
	v_cmp_le_u32_e64 s[0:1], s20, v3
	v_addc_co_u32_e32 v21, vcc, 0, v20, vcc
	v_cndmask_b32_e64 v3, 0, -1, s[0:1]
	v_cmp_eq_u32_e64 s[0:1], 0, v4
	v_cmp_ne_u32_e32 vcc, 0, v5
	v_cndmask_b32_e64 v3, -1, v3, s[0:1]
	v_cmp_ne_u32_e64 s[0:1], 0, v3
	v_cndmask_b32_e32 v4, v19, v12, vcc
	v_cndmask_b32_e32 v5, v21, v13, vcc
	v_cndmask_b32_e64 v4, v14, v4, s[0:1]
	v_cndmask_b32_e64 v3, v20, v5, s[0:1]
	v_xor_b32_e32 v4, v4, v15
	v_xor_b32_e32 v3, v3, v15
	v_sub_co_u32_e32 v4, vcc, v4, v15
	v_subb_co_u32_e32 v5, vcc, v3, v15, vcc
                                        ; implicit-def: $vgpr3
.LBB68_153:
	s_andn2_saveexec_b64 s[0:1], s[4:5]
	s_cbranch_execz .LBB68_155
; %bb.154:
	v_cvt_f32_u32_e32 v4, s20
	v_rcp_iflag_f32_e32 v4, v4
	v_mul_f32_e32 v4, 0x4f7ffffe, v4
	v_cvt_u32_f32_e32 v4, v4
	v_mul_lo_u32 v5, s6, v4
	v_mul_hi_u32 v5, v4, v5
	v_add_u32_e32 v4, v4, v5
	v_mul_hi_u32 v4, v3, v4
	v_mul_lo_u32 v5, v4, s20
	v_sub_u32_e32 v3, v3, v5
	v_add_u32_e32 v12, 1, v4
	v_subrev_u32_e32 v5, s20, v3
	v_cmp_le_u32_e32 vcc, s20, v3
	v_cndmask_b32_e32 v3, v3, v5, vcc
	v_cndmask_b32_e32 v4, v4, v12, vcc
	v_add_u32_e32 v5, 1, v4
	v_cmp_le_u32_e32 vcc, s20, v3
	v_cndmask_b32_e32 v4, v4, v5, vcc
	v_mov_b32_e32 v5, 0
.LBB68_155:
	s_or_b64 exec, exec, s[0:1]
	v_cmp_gt_i64_e32 vcc, s[28:29], v[10:11]
	v_mov_b32_e32 v19, 0
	s_and_saveexec_b64 s[0:1], vcc
	s_cbranch_execz .LBB68_169
; %bb.156:
	s_add_i32 s4, s20, -1
	v_and_b32_e32 v10, s4, v0
	v_cmp_lt_i64_e32 vcc, 0, v[4:5]
	v_mov_b32_e32 v19, 0
	s_and_saveexec_b64 s[4:5], vcc
	s_cbranch_execz .LBB68_166
; %bb.157:
	v_cmp_lt_u64_e32 vcc, 3, v[4:5]
	v_pk_mov_b32 v[12:13], 0, 0
	v_mov_b32_e32 v19, 0
	s_and_saveexec_b64 s[6:7], vcc
	s_cbranch_execz .LBB68_161
; %bb.158:
	s_lshl_b32 s10, s8, 2
	s_lshl_b32 s11, s20, 3
	;; [unrolled: 1-line block ×3, first 2 shown]
	v_lshlrev_b32_e32 v3, 2, v2
	s_sub_i32 s17, s11, s10
	s_mul_i32 s11, s20, 12
	v_and_b32_e32 v13, 0x7fffffff, v5
	v_and_b32_e32 v12, -4, v4
	s_sub_i32 s9, s9, s10
	v_lshl_add_u32 v3, v10, 2, v3
	s_lshl_b32 s16, s20, 4
	s_sub_i32 s18, s11, s10
	s_sub_i32 s19, 0, s10
	s_mov_b64 s[10:11], 0
	v_mov_b32_e32 v19, 0
	s_mov_b64 s[12:13], 0
.LBB68_159:                             ; =>This Inner Loop Header: Depth=1
	v_add_u32_e32 v11, s19, v3
	v_add_u32_e32 v14, s9, v3
	;; [unrolled: 1-line block ×4, first 2 shown]
	ds_read_b32 v11, v11
	ds_read_b32 v14, v14
	;; [unrolled: 1-line block ×4, first 2 shown]
	s_add_u32 s12, s12, 4
	s_waitcnt lgkmcnt(3)
	v_add_f32_e32 v11, v19, v11
	s_addc_u32 s13, s13, 0
	s_waitcnt lgkmcnt(2)
	v_add_f32_e32 v11, v11, v14
	v_cmp_eq_u64_e32 vcc, s[12:13], v[12:13]
	s_waitcnt lgkmcnt(1)
	v_add_f32_e32 v11, v11, v15
	v_add_u32_e32 v3, s16, v3
	s_or_b64 s[10:11], vcc, s[10:11]
	s_waitcnt lgkmcnt(0)
	v_add_f32_e32 v19, v11, v20
	s_andn2_b64 exec, exec, s[10:11]
	s_cbranch_execnz .LBB68_159
; %bb.160:
	s_or_b64 exec, exec, s[10:11]
.LBB68_161:
	s_or_b64 exec, exec, s[6:7]
	v_and_b32_e32 v14, 3, v4
	v_mov_b32_e32 v15, 0
	s_mov_b64 s[10:11], 0
	v_cmp_ne_u64_e32 vcc, 0, v[14:15]
	s_and_saveexec_b64 s[6:7], vcc
	s_cbranch_execz .LBB68_165
; %bb.162:
	v_mul_lo_u32 v3, s20, v12
	v_add3_u32 v2, v10, v3, v2
	v_subrev_u32_e32 v2, s8, v2
	v_lshlrev_b32_e32 v2, 2, v2
	s_lshl_b32 s8, s20, 2
.LBB68_163:                             ; =>This Inner Loop Header: Depth=1
	ds_read_b32 v3, v2
	v_add_co_u32_e32 v14, vcc, -1, v14
	v_addc_co_u32_e32 v15, vcc, -1, v15, vcc
	v_cmp_eq_u64_e32 vcc, 0, v[14:15]
	v_add_u32_e32 v2, s8, v2
	s_or_b64 s[10:11], vcc, s[10:11]
	s_waitcnt lgkmcnt(0)
	v_add_f32_e32 v19, v19, v3
	s_andn2_b64 exec, exec, s[10:11]
	s_cbranch_execnz .LBB68_163
; %bb.164:
	s_or_b64 exec, exec, s[10:11]
.LBB68_165:
	s_or_b64 exec, exec, s[6:7]
.LBB68_166:
	s_or_b64 exec, exec, s[4:5]
	v_mad_u64_u32 v[2:3], s[4:5], v4, s20, v[8:9]
	v_mov_b32_e32 v4, v3
	v_mad_u64_u32 v[4:5], s[4:5], v5, s20, v[4:5]
	v_mov_b32_e32 v3, v4
	v_sub_co_u32_e32 v4, vcc, v16, v2
	v_mov_b32_e32 v11, 0
	v_subb_co_u32_e32 v5, vcc, v17, v3, vcc
	v_cmp_gt_i64_e32 vcc, v[4:5], v[10:11]
	s_and_saveexec_b64 s[4:5], vcc
	s_cbranch_execz .LBB68_168
; %bb.167:
	v_add_lshl_u32 v2, v10, v2, 2
	ds_read_b32 v2, v2
	s_waitcnt lgkmcnt(0)
	v_add_f32_e32 v19, v19, v2
.LBB68_168:
	s_or_b64 exec, exec, s[4:5]
.LBB68_169:
	s_or_b64 exec, exec, s[0:1]
	v_cmp_gt_i64_e32 vcc, s[28:29], v[0:1]
	s_barrier
	ds_write_b32 v18, v19
	s_waitcnt lgkmcnt(0)
	s_barrier
	s_and_saveexec_b64 s[0:1], vcc
	s_cbranch_execz .LBB68_179
; %bb.170:
	s_cmp_lt_u32 s20, 8
	v_mul_lo_u32 v1, s20, v0
	s_cbranch_scc1 .LBB68_173
; %bb.171:
	s_and_b32 s0, s20, 0x7ffffff8
	v_lshlrev_b32_e32 v2, 2, v1
	s_mov_b32 s1, 0
	v_mov_b32_e32 v4, 0
.LBB68_172:                             ; =>This Inner Loop Header: Depth=1
	ds_read2_b32 v[8:9], v2 offset1:1
	ds_read2_b32 v[10:11], v2 offset0:2 offset1:3
	ds_read2_b32 v[12:13], v2 offset0:4 offset1:5
	;; [unrolled: 1-line block ×3, first 2 shown]
	s_add_i32 s1, s1, 8
	s_waitcnt lgkmcnt(3)
	v_add_f32_e32 v3, v4, v8
	v_add_f32_e32 v3, v3, v9
	s_waitcnt lgkmcnt(2)
	v_add_f32_e32 v3, v3, v10
	v_add_f32_e32 v3, v3, v11
	;; [unrolled: 3-line block ×3, first 2 shown]
	s_waitcnt lgkmcnt(0)
	v_add_f32_e32 v3, v3, v14
	v_add_u32_e32 v2, 32, v2
	s_cmp_eq_u32 s0, s1
	v_add_f32_e32 v4, v3, v15
	s_cbranch_scc0 .LBB68_172
	s_branch .LBB68_174
.LBB68_173:
	s_mov_b32 s0, 0
	v_mov_b32_e32 v4, 0
.LBB68_174:
	s_bfe_u32 s1, s3, 0x30001
	s_cmp_eq_u32 s1, 0
	s_cbranch_scc1 .LBB68_177
; %bb.175:
	v_add_lshl_u32 v1, s0, v1, 2
.LBB68_176:                             ; =>This Inner Loop Header: Depth=1
	ds_read_b32 v2, v1
	s_add_i32 s1, s1, -1
	v_add_u32_e32 v1, 4, v1
	s_cmp_lg_u32 s1, 0
	s_waitcnt lgkmcnt(0)
	v_add_f32_e32 v4, v4, v2
	s_cbranch_scc1 .LBB68_176
.LBB68_177:
	v_lshlrev_b64 v[2:3], 2, v[6:7]
	v_mov_b32_e32 v1, s15
	v_add_co_u32_e32 v2, vcc, s14, v2
	v_addc_co_u32_e32 v3, vcc, v1, v3, vcc
	global_load_dword v1, v[2:3], off
	s_lshl_b32 s0, s2, 2
	s_addk_i32 s0, 0x1000
	v_lshl_add_u32 v0, v0, 2, s0
	ds_read_b32 v0, v0
	s_mov_b64 s[0:1], 0
	s_waitcnt lgkmcnt(0)
	v_add_f32_e32 v4, v4, v0
.LBB68_178:                             ; =>This Inner Loop Header: Depth=1
	s_waitcnt vmcnt(0)
	v_add_f32_e32 v0, v1, v4
	global_atomic_cmpswap v0, v[2:3], v[0:1], off glc
	s_waitcnt vmcnt(0)
	v_cmp_eq_u32_e32 vcc, v0, v1
	s_or_b64 s[0:1], vcc, s[0:1]
	v_mov_b32_e32 v1, v0
	s_andn2_b64 exec, exec, s[0:1]
	s_cbranch_execnz .LBB68_178
.LBB68_179:
	s_endpgm
	.section	.rodata,"a",@progbits
	.p2align	6, 0x0
	.amdhsa_kernel _ZN9rocsparseL27csrmvn_symm_adaptive_kernelIliDF16_DF16_ffEEvbT_S1_PKS1_NS_24const_host_device_scalarIT4_EES3_PKT0_PKT1_PKT2_S6_PT3_21rocsparse_index_base_b
		.amdhsa_group_segment_fixed_size 4096
		.amdhsa_private_segment_fixed_size 0
		.amdhsa_kernarg_size 352
		.amdhsa_user_sgpr_count 6
		.amdhsa_user_sgpr_private_segment_buffer 1
		.amdhsa_user_sgpr_dispatch_ptr 0
		.amdhsa_user_sgpr_queue_ptr 0
		.amdhsa_user_sgpr_kernarg_segment_ptr 1
		.amdhsa_user_sgpr_dispatch_id 0
		.amdhsa_user_sgpr_flat_scratch_init 0
		.amdhsa_user_sgpr_kernarg_preload_length 0
		.amdhsa_user_sgpr_kernarg_preload_offset 0
		.amdhsa_user_sgpr_private_segment_size 0
		.amdhsa_uses_dynamic_stack 0
		.amdhsa_system_sgpr_private_segment_wavefront_offset 0
		.amdhsa_system_sgpr_workgroup_id_x 1
		.amdhsa_system_sgpr_workgroup_id_y 0
		.amdhsa_system_sgpr_workgroup_id_z 0
		.amdhsa_system_sgpr_workgroup_info 0
		.amdhsa_system_vgpr_workitem_id 0
		.amdhsa_next_free_vgpr 24
		.amdhsa_next_free_sgpr 52
		.amdhsa_accum_offset 24
		.amdhsa_reserve_vcc 1
		.amdhsa_reserve_flat_scratch 0
		.amdhsa_float_round_mode_32 0
		.amdhsa_float_round_mode_16_64 0
		.amdhsa_float_denorm_mode_32 3
		.amdhsa_float_denorm_mode_16_64 3
		.amdhsa_dx10_clamp 1
		.amdhsa_ieee_mode 1
		.amdhsa_fp16_overflow 0
		.amdhsa_tg_split 0
		.amdhsa_exception_fp_ieee_invalid_op 0
		.amdhsa_exception_fp_denorm_src 0
		.amdhsa_exception_fp_ieee_div_zero 0
		.amdhsa_exception_fp_ieee_overflow 0
		.amdhsa_exception_fp_ieee_underflow 0
		.amdhsa_exception_fp_ieee_inexact 0
		.amdhsa_exception_int_div_zero 0
	.end_amdhsa_kernel
	.section	.text._ZN9rocsparseL27csrmvn_symm_adaptive_kernelIliDF16_DF16_ffEEvbT_S1_PKS1_NS_24const_host_device_scalarIT4_EES3_PKT0_PKT1_PKT2_S6_PT3_21rocsparse_index_base_b,"axG",@progbits,_ZN9rocsparseL27csrmvn_symm_adaptive_kernelIliDF16_DF16_ffEEvbT_S1_PKS1_NS_24const_host_device_scalarIT4_EES3_PKT0_PKT1_PKT2_S6_PT3_21rocsparse_index_base_b,comdat
.Lfunc_end68:
	.size	_ZN9rocsparseL27csrmvn_symm_adaptive_kernelIliDF16_DF16_ffEEvbT_S1_PKS1_NS_24const_host_device_scalarIT4_EES3_PKT0_PKT1_PKT2_S6_PT3_21rocsparse_index_base_b, .Lfunc_end68-_ZN9rocsparseL27csrmvn_symm_adaptive_kernelIliDF16_DF16_ffEEvbT_S1_PKS1_NS_24const_host_device_scalarIT4_EES3_PKT0_PKT1_PKT2_S6_PT3_21rocsparse_index_base_b
                                        ; -- End function
	.section	.AMDGPU.csdata,"",@progbits
; Kernel info:
; codeLenInByte = 8724
; NumSgprs: 56
; NumVgprs: 24
; NumAgprs: 0
; TotalNumVgprs: 24
; ScratchSize: 0
; MemoryBound: 0
; FloatMode: 240
; IeeeMode: 1
; LDSByteSize: 4096 bytes/workgroup (compile time only)
; SGPRBlocks: 6
; VGPRBlocks: 2
; NumSGPRsForWavesPerEU: 56
; NumVGPRsForWavesPerEU: 24
; AccumOffset: 24
; Occupancy: 8
; WaveLimiterHint : 1
; COMPUTE_PGM_RSRC2:SCRATCH_EN: 0
; COMPUTE_PGM_RSRC2:USER_SGPR: 6
; COMPUTE_PGM_RSRC2:TRAP_HANDLER: 0
; COMPUTE_PGM_RSRC2:TGID_X_EN: 1
; COMPUTE_PGM_RSRC2:TGID_Y_EN: 0
; COMPUTE_PGM_RSRC2:TGID_Z_EN: 0
; COMPUTE_PGM_RSRC2:TIDIG_COMP_CNT: 0
; COMPUTE_PGM_RSRC3_GFX90A:ACCUM_OFFSET: 5
; COMPUTE_PGM_RSRC3_GFX90A:TG_SPLIT: 0
	.section	.text._ZL33csrmvn_symm_large_adaptive_kernelIliDF16_DF16_ffEvbT_PKS0_N9rocsparse24const_host_device_scalarIT4_EES2_PKT0_PKT1_PKT2_S6_PT3_21rocsparse_index_base_b,"axG",@progbits,_ZL33csrmvn_symm_large_adaptive_kernelIliDF16_DF16_ffEvbT_PKS0_N9rocsparse24const_host_device_scalarIT4_EES2_PKT0_PKT1_PKT2_S6_PT3_21rocsparse_index_base_b,comdat
	.globl	_ZL33csrmvn_symm_large_adaptive_kernelIliDF16_DF16_ffEvbT_PKS0_N9rocsparse24const_host_device_scalarIT4_EES2_PKT0_PKT1_PKT2_S6_PT3_21rocsparse_index_base_b ; -- Begin function _ZL33csrmvn_symm_large_adaptive_kernelIliDF16_DF16_ffEvbT_PKS0_N9rocsparse24const_host_device_scalarIT4_EES2_PKT0_PKT1_PKT2_S6_PT3_21rocsparse_index_base_b
	.p2align	8
	.type	_ZL33csrmvn_symm_large_adaptive_kernelIliDF16_DF16_ffEvbT_PKS0_N9rocsparse24const_host_device_scalarIT4_EES2_PKT0_PKT1_PKT2_S6_PT3_21rocsparse_index_base_b,@function
_ZL33csrmvn_symm_large_adaptive_kernelIliDF16_DF16_ffEvbT_PKS0_N9rocsparse24const_host_device_scalarIT4_EES2_PKT0_PKT1_PKT2_S6_PT3_21rocsparse_index_base_b: ; @_ZL33csrmvn_symm_large_adaptive_kernelIliDF16_DF16_ffEvbT_PKS0_N9rocsparse24const_host_device_scalarIT4_EES2_PKT0_PKT1_PKT2_S6_PT3_21rocsparse_index_base_b
; %bb.0:
	s_load_dwordx2 s[24:25], s[4:5], 0x50
	s_load_dwordx2 s[26:27], s[4:5], 0x18
	;; [unrolled: 1-line block ×3, first 2 shown]
	s_waitcnt lgkmcnt(0)
	s_bitcmp1_b32 s25, 0
	s_cselect_b64 s[8:9], -1, 0
	s_xor_b64 s[2:3], s[8:9], -1
	s_and_b64 vcc, exec, s[8:9]
	s_cbranch_vccnz .LBB69_2
; %bb.1:
	s_load_dword s26, s[26:27], 0x0
.LBB69_2:
	s_andn2_b64 vcc, exec, s[2:3]
	s_cbranch_vccnz .LBB69_4
; %bb.3:
	s_load_dword s0, s[0:1], 0x0
.LBB69_4:
	s_waitcnt lgkmcnt(0)
	v_cmp_neq_f32_e64 s[2:3], s26, 0
	v_cmp_neq_f32_e64 s[0:1], s0, 1.0
	s_or_b64 s[0:1], s[2:3], s[0:1]
	s_andn2_b64 vcc, exec, s[0:1]
	s_mov_b32 s25, 0
	s_cbranch_vccnz .LBB69_38
; %bb.5:
	s_load_dwordx2 s[0:1], s[4:5], 0x10
	s_ashr_i32 s7, s6, 31
	s_lshl_b64 s[2:3], s[6:7], 3
	v_lshlrev_b32_e32 v8, 2, v0
	v_mov_b32_e32 v1, 0
	s_waitcnt lgkmcnt(0)
	s_add_u32 s0, s0, s2
	s_addc_u32 s1, s1, s3
	ds_write2st64_b32 v8, v1, v1 offset1:4
	ds_write2st64_b32 v8, v1, v1 offset0:8 offset1:12
	s_waitcnt lgkmcnt(0)
	s_barrier
	s_load_dwordx4 s[20:23], s[0:1], 0x0
	s_load_dwordx8 s[12:19], s[4:5], 0x20
	s_load_dwordx2 s[28:29], s[4:5], 0x48
	v_subrev_co_u32_e64 v9, s[0:1], s24, v0
	s_waitcnt lgkmcnt(0)
	v_pk_mov_b32 v[2:3], s[22:23], s[22:23] op_sel:[0,1]
	v_cmp_lt_i64_e32 vcc, s[20:21], v[2:3]
	v_subb_co_u32_e64 v10, s[0:1], 0, 0, s[0:1]
	s_cbranch_vccnz .LBB69_7
; %bb.6:
	s_lshl_b64 s[0:1], s[20:21], 3
	s_add_u32 s0, s12, s0
	s_addc_u32 s1, s13, s1
	s_load_dwordx2 s[30:31], s[0:1], 0x0
	s_cbranch_execz .LBB69_8
	s_branch .LBB69_28
.LBB69_7:
                                        ; implicit-def: $sgpr30_sgpr31
.LBB69_8:
	s_lshl_b64 s[10:11], s[20:21], 3
	s_add_u32 s10, s12, s10
	s_addc_u32 s11, s13, s11
	s_waitcnt lgkmcnt(0)
	s_load_dwordx2 s[30:31], s[10:11], 0x0
	s_movk_i32 s27, 0x100
	s_add_u32 s33, s12, 8
	v_cmp_gt_u32_e64 s[0:1], s27, v0
	v_cmp_gt_u32_e64 s[2:3], 64, v0
	;; [unrolled: 1-line block ×4, first 2 shown]
	v_cmp_eq_u32_e64 s[8:9], 0, v0
	s_addc_u32 s44, s13, 0
	v_mov_b32_e32 v11, s19
	v_mov_b32_e32 v12, 0
	v_pk_mov_b32 v[0:1], s[22:23], s[22:23] op_sel:[0,1]
	s_waitcnt lgkmcnt(0)
	s_mov_b64 s[36:37], s[30:31]
	s_mov_b64 s[34:35], s[20:21]
	s_branch .LBB69_10
.LBB69_9:                               ;   in Loop: Header=BB69_10 Depth=1
	s_or_b64 exec, exec, s[10:11]
	s_add_u32 s34, s34, 1
	s_addc_u32 s35, s35, 0
	v_cmp_ge_i64_e32 vcc, s[34:35], v[0:1]
	s_cbranch_vccnz .LBB69_28
.LBB69_10:                              ; =>This Loop Header: Depth=1
                                        ;     Child Loop BB69_12 Depth 2
                                        ;     Child Loop BB69_27 Depth 2
	s_mov_b64 s[10:11], s[36:37]
	s_lshl_b64 s[36:37], s[34:35], 3
	s_add_u32 s36, s33, s36
	s_addc_u32 s37, s44, s37
	s_load_dwordx2 s[36:37], s[36:37], 0x0
	v_mov_b32_e32 v3, s11
	v_add_co_u32_e32 v2, vcc, s10, v9
	v_addc_co_u32_e32 v3, vcc, v3, v10, vcc
	s_waitcnt lgkmcnt(0)
	s_sub_u32 s38, s36, s24
	s_subb_u32 s39, s37, 0
	v_cmp_gt_i64_e32 vcc, s[38:39], v[2:3]
	v_mov_b32_e32 v13, 0
	s_and_saveexec_b64 s[40:41], vcc
	s_cbranch_execz .LBB69_14
; %bb.11:                               ;   in Loop: Header=BB69_10 Depth=1
	v_lshlrev_b64 v[4:5], 2, v[2:3]
	v_mov_b32_e32 v6, s15
	v_add_co_u32_e32 v4, vcc, s14, v4
	v_addc_co_u32_e32 v5, vcc, v6, v5, vcc
	v_lshlrev_b64 v[6:7], 1, v[2:3]
	v_mov_b32_e32 v13, s17
	v_add_co_u32_e32 v6, vcc, s16, v6
	v_addc_co_u32_e32 v7, vcc, v13, v7, vcc
	s_mov_b64 s[42:43], 0
	v_mov_b32_e32 v13, 0
.LBB69_12:                              ;   Parent Loop BB69_10 Depth=1
                                        ; =>  This Inner Loop Header: Depth=2
	global_load_dword v14, v[4:5], off
	global_load_ushort v16, v[6:7], off
	s_waitcnt vmcnt(1)
	v_subrev_u32_e32 v14, s24, v14
	v_ashrrev_i32_e32 v15, 31, v14
	v_lshlrev_b64 v[14:15], 1, v[14:15]
	v_add_co_u32_e32 v14, vcc, s18, v14
	v_addc_co_u32_e32 v15, vcc, v11, v15, vcc
	global_load_ushort v14, v[14:15], off
	v_add_co_u32_e32 v2, vcc, s27, v2
	v_addc_co_u32_e32 v3, vcc, 0, v3, vcc
	v_add_co_u32_e32 v4, vcc, 0x400, v4
	v_addc_co_u32_e32 v5, vcc, 0, v5, vcc
	v_add_co_u32_e32 v6, vcc, 0x200, v6
	v_cmp_le_i64_e64 s[10:11], s[38:39], v[2:3]
	v_addc_co_u32_e32 v7, vcc, 0, v7, vcc
	s_or_b64 s[42:43], s[10:11], s[42:43]
	s_waitcnt vmcnt(0)
	v_fma_mix_f32 v13, v16, v14, v13 op_sel_hi:[1,1,0]
	s_andn2_b64 exec, exec, s[42:43]
	s_cbranch_execnz .LBB69_12
; %bb.13:                               ;   in Loop: Header=BB69_10 Depth=1
	s_or_b64 exec, exec, s[42:43]
.LBB69_14:                              ;   in Loop: Header=BB69_10 Depth=1
	s_or_b64 exec, exec, s[40:41]
	ds_write_b32 v8, v13
	s_waitcnt lgkmcnt(0)
	s_barrier
	s_and_saveexec_b64 s[10:11], s[0:1]
	s_cbranch_execz .LBB69_16
; %bb.15:                               ;   in Loop: Header=BB69_10 Depth=1
	ds_read2st64_b32 v[2:3], v8 offset1:4
	ds_read2st64_b32 v[4:5], v8 offset0:8 offset1:12
	s_waitcnt lgkmcnt(0)
	v_add_f32_e32 v3, v3, v4
	v_add_f32_e32 v3, v3, v5
	;; [unrolled: 1-line block ×3, first 2 shown]
	ds_write_b32 v8, v2
.LBB69_16:                              ;   in Loop: Header=BB69_10 Depth=1
	s_or_b64 exec, exec, s[10:11]
	s_waitcnt lgkmcnt(0)
	s_barrier
	s_and_saveexec_b64 s[10:11], s[2:3]
	s_cbranch_execz .LBB69_18
; %bb.17:                               ;   in Loop: Header=BB69_10 Depth=1
	ds_read2st64_b32 v[2:3], v8 offset1:1
	ds_read2st64_b32 v[4:5], v8 offset0:2 offset1:3
	s_waitcnt lgkmcnt(0)
	v_add_f32_e32 v3, v3, v4
	v_add_f32_e32 v3, v3, v5
	;; [unrolled: 1-line block ×3, first 2 shown]
	ds_write_b32 v8, v2
.LBB69_18:                              ;   in Loop: Header=BB69_10 Depth=1
	s_or_b64 exec, exec, s[10:11]
	s_waitcnt lgkmcnt(0)
	s_barrier
	s_and_saveexec_b64 s[10:11], s[4:5]
	s_cbranch_execz .LBB69_20
; %bb.19:                               ;   in Loop: Header=BB69_10 Depth=1
	ds_read2_b32 v[2:3], v8 offset1:16
	ds_read2_b32 v[4:5], v8 offset0:32 offset1:48
	s_waitcnt lgkmcnt(0)
	v_add_f32_e32 v3, v3, v4
	v_add_f32_e32 v3, v3, v5
	;; [unrolled: 1-line block ×3, first 2 shown]
	ds_write_b32 v8, v2
.LBB69_20:                              ;   in Loop: Header=BB69_10 Depth=1
	s_or_b64 exec, exec, s[10:11]
	s_waitcnt lgkmcnt(0)
	s_barrier
	s_and_saveexec_b64 s[10:11], s[6:7]
	s_cbranch_execz .LBB69_22
; %bb.21:                               ;   in Loop: Header=BB69_10 Depth=1
	ds_read2_b32 v[2:3], v8 offset1:4
	ds_read2_b32 v[4:5], v8 offset0:8 offset1:12
	s_waitcnt lgkmcnt(0)
	v_add_f32_e32 v3, v3, v4
	v_add_f32_e32 v3, v3, v5
	;; [unrolled: 1-line block ×3, first 2 shown]
	ds_write_b32 v8, v2
.LBB69_22:                              ;   in Loop: Header=BB69_10 Depth=1
	s_or_b64 exec, exec, s[10:11]
	s_waitcnt lgkmcnt(0)
	s_barrier
	s_and_saveexec_b64 s[10:11], s[8:9]
	s_cbranch_execz .LBB69_24
; %bb.23:                               ;   in Loop: Header=BB69_10 Depth=1
	ds_read2_b32 v[2:3], v12 offset0:1 offset1:2
	ds_read_b32 v4, v12 offset:12
	ds_read_b32 v5, v8
	s_waitcnt lgkmcnt(2)
	v_add_f32_e32 v2, v2, v3
	s_waitcnt lgkmcnt(1)
	v_add_f32_e32 v2, v2, v4
	;; [unrolled: 2-line block ×3, first 2 shown]
	ds_write_b32 v8, v2
.LBB69_24:                              ;   in Loop: Header=BB69_10 Depth=1
	s_or_b64 exec, exec, s[10:11]
	s_waitcnt lgkmcnt(0)
	s_barrier
	s_and_saveexec_b64 s[10:11], s[8:9]
	s_cbranch_execz .LBB69_9
; %bb.25:                               ;   in Loop: Header=BB69_10 Depth=1
	s_mov_b64 s[40:41], exec
	v_mbcnt_lo_u32_b32 v2, s40, 0
	v_mbcnt_hi_u32_b32 v2, s41, v2
	v_cmp_eq_u32_e32 vcc, 0, v2
	s_and_b64 s[38:39], exec, vcc
	s_mov_b64 exec, s[38:39]
	s_cbranch_execz .LBB69_9
; %bb.26:                               ;   in Loop: Header=BB69_10 Depth=1
	s_lshl_b64 s[38:39], s[34:35], 2
	s_add_u32 s38, s28, s38
	s_addc_u32 s39, s29, s39
	global_load_dword v3, v12, s[38:39]
	ds_read_b32 v2, v12
	s_bcnt1_i32_b64 s40, s[40:41]
	v_cvt_f32_ubyte0_e32 v4, s40
	s_mov_b64 s[40:41], 0
	s_waitcnt lgkmcnt(0)
	v_mul_f32_e32 v2, s26, v2
	v_mul_f32_e32 v4, v2, v4
.LBB69_27:                              ;   Parent Loop BB69_10 Depth=1
                                        ; =>  This Inner Loop Header: Depth=2
	s_waitcnt vmcnt(0)
	v_add_f32_e32 v2, v3, v4
	global_atomic_cmpswap v2, v12, v[2:3], s[38:39] glc
	s_waitcnt vmcnt(0)
	v_cmp_eq_u32_e32 vcc, v2, v3
	s_or_b64 s[40:41], vcc, s[40:41]
	v_mov_b32_e32 v3, v2
	s_andn2_b64 exec, exec, s[40:41]
	s_cbranch_execnz .LBB69_27
	s_branch .LBB69_9
.LBB69_28:
	s_lshl_b64 s[0:1], s[22:23], 3
	s_add_u32 s0, s12, s0
	s_addc_u32 s1, s13, s1
	s_load_dwordx2 s[0:1], s[0:1], 0x0
	s_waitcnt lgkmcnt(0)
	v_mov_b32_e32 v1, s31
	v_add_co_u32_e32 v0, vcc, s30, v9
	v_addc_co_u32_e32 v1, vcc, v1, v10, vcc
	s_sub_u32 s4, s0, s24
	s_subb_u32 s5, s1, 0
	v_cmp_gt_i64_e32 vcc, s[4:5], v[0:1]
	s_and_saveexec_b64 s[0:1], vcc
	s_cbranch_execz .LBB69_38
; %bb.29:
	s_add_u32 s6, s22, -1
	s_addc_u32 s7, s23, -1
	s_add_u32 s0, s22, -2
	s_addc_u32 s1, s23, -1
	v_pk_mov_b32 v[2:3], s[20:21], s[20:21] op_sel:[0,1]
	s_cmp_lg_u64 s[0:1], s[20:21]
	v_cmp_gt_i64_e32 vcc, s[6:7], v[2:3]
	s_cselect_b64 s[0:1], -1, 0
	s_and_b64 s[0:1], vcc, s[0:1]
	v_cndmask_b32_e64 v2, 0, 1, s[0:1]
	s_mov_b64 s[8:9], 0
	v_cmp_ne_u32_e64 s[0:1], 1, v2
	v_mov_b32_e32 v8, s13
	v_mov_b32_e32 v9, s25
	;; [unrolled: 1-line block ×3, first 2 shown]
	s_branch .LBB69_31
.LBB69_30:                              ;   in Loop: Header=BB69_31 Depth=1
	s_or_b64 exec, exec, s[2:3]
	v_add_co_u32_e32 v0, vcc, 0x100, v0
	v_addc_co_u32_e32 v1, vcc, 0, v1, vcc
	v_cmp_le_i64_e32 vcc, s[4:5], v[0:1]
	s_or_b64 s[8:9], vcc, s[8:9]
	s_andn2_b64 exec, exec, s[8:9]
	s_cbranch_execz .LBB69_38
.LBB69_31:                              ; =>This Loop Header: Depth=1
                                        ;     Child Loop BB69_33 Depth 2
                                        ;     Child Loop BB69_37 Depth 2
	s_and_b64 vcc, exec, s[0:1]
	v_pk_mov_b32 v[2:3], s[20:21], s[20:21] op_sel:[0,1]
	v_pk_mov_b32 v[4:5], s[6:7], s[6:7] op_sel:[0,1]
	s_cbranch_vccnz .LBB69_35
; %bb.32:                               ;   in Loop: Header=BB69_31 Depth=1
	s_mov_b64 s[10:11], 0
	v_pk_mov_b32 v[2:3], s[20:21], s[20:21] op_sel:[0,1]
	v_pk_mov_b32 v[4:5], s[6:7], s[6:7] op_sel:[0,1]
.LBB69_33:                              ;   Parent Loop BB69_31 Depth=1
                                        ; =>  This Inner Loop Header: Depth=2
	v_add_co_u32_e32 v6, vcc, v4, v2
	v_addc_co_u32_e32 v7, vcc, v5, v3, vcc
	v_lshrrev_b32_e32 v12, 31, v7
	v_add_co_u32_e32 v6, vcc, v6, v12
	v_addc_co_u32_e32 v7, vcc, 0, v7, vcc
	v_ashrrev_i64 v[6:7], 1, v[6:7]
	v_lshlrev_b64 v[12:13], 3, v[6:7]
	v_mov_b32_e32 v11, s13
	v_add_co_u32_e32 v12, vcc, s12, v12
	v_addc_co_u32_e32 v13, vcc, v11, v13, vcc
	global_load_dwordx2 v[12:13], v[12:13], off
	v_mov_b32_e32 v11, s25
	s_waitcnt vmcnt(0)
	v_subrev_co_u32_e32 v12, vcc, s24, v12
	v_subb_co_u32_e32 v13, vcc, v13, v11, vcc
	v_cmp_gt_i64_e32 vcc, v[12:13], v[0:1]
	v_cndmask_b32_e32 v4, v4, v6, vcc
	v_cndmask_b32_e32 v5, v5, v7, vcc
	;; [unrolled: 1-line block ×3, first 2 shown]
	v_add_co_u32_e64 v6, s[2:3], -1, v4
	v_cndmask_b32_e32 v3, v7, v3, vcc
	v_addc_co_u32_e64 v7, s[2:3], -1, v5, s[2:3]
	v_cmp_ge_i64_e32 vcc, v[2:3], v[4:5]
	v_cmp_eq_u64_e64 s[2:3], v[2:3], v[6:7]
	s_or_b64 s[2:3], vcc, s[2:3]
	s_and_b64 s[2:3], exec, s[2:3]
	s_or_b64 s[10:11], s[2:3], s[10:11]
	s_andn2_b64 exec, exec, s[10:11]
	s_cbranch_execnz .LBB69_33
; %bb.34:                               ;   in Loop: Header=BB69_31 Depth=1
	s_or_b64 exec, exec, s[10:11]
.LBB69_35:                              ;   in Loop: Header=BB69_31 Depth=1
	v_lshlrev_b64 v[6:7], 3, v[4:5]
	v_add_co_u32_e32 v6, vcc, s12, v6
	v_addc_co_u32_e32 v7, vcc, v8, v7, vcc
	v_lshlrev_b64 v[12:13], 2, v[0:1]
	global_load_dwordx2 v[6:7], v[6:7], off
	v_add_co_u32_e32 v12, vcc, s14, v12
	v_addc_co_u32_e32 v13, vcc, v10, v13, vcc
	global_load_dword v11, v[12:13], off
	s_waitcnt vmcnt(1)
	v_subrev_co_u32_e32 v12, vcc, s24, v6
	v_subb_co_u32_e32 v13, vcc, v7, v9, vcc
	v_cmp_gt_i64_e32 vcc, v[12:13], v[0:1]
	s_waitcnt vmcnt(0)
	v_subrev_u32_e32 v6, s24, v11
	v_cndmask_b32_e32 v3, v5, v3, vcc
	v_cndmask_b32_e32 v2, v4, v2, vcc
	v_ashrrev_i32_e32 v7, 31, v6
	v_cmp_ne_u64_e32 vcc, v[2:3], v[6:7]
	s_and_saveexec_b64 s[2:3], vcc
	s_cbranch_execz .LBB69_30
; %bb.36:                               ;   in Loop: Header=BB69_31 Depth=1
	v_lshlrev_b64 v[4:5], 2, v[6:7]
	v_lshlrev_b64 v[6:7], 1, v[0:1]
	v_mov_b32_e32 v11, s17
	v_add_co_u32_e32 v6, vcc, s16, v6
	v_addc_co_u32_e32 v7, vcc, v11, v7, vcc
	v_lshlrev_b64 v[2:3], 1, v[2:3]
	global_load_ushort v6, v[6:7], off
	v_mov_b32_e32 v7, s19
	v_add_co_u32_e32 v2, vcc, s18, v2
	v_addc_co_u32_e32 v3, vcc, v7, v3, vcc
	global_load_ushort v7, v[2:3], off
	v_mov_b32_e32 v3, s29
	v_add_co_u32_e32 v2, vcc, s28, v4
	v_addc_co_u32_e32 v3, vcc, v3, v5, vcc
	global_load_dword v5, v[2:3], off
	s_mov_b64 s[10:11], 0
	s_waitcnt vmcnt(2)
	v_cvt_f32_f16_e32 v4, v6
	v_mul_f32_e32 v4, s26, v4
	s_waitcnt vmcnt(1)
	v_cvt_f32_f16_e32 v6, v7
	v_mul_f32_e32 v6, v4, v6
.LBB69_37:                              ;   Parent Loop BB69_31 Depth=1
                                        ; =>  This Inner Loop Header: Depth=2
	s_waitcnt vmcnt(0)
	v_add_f32_e32 v4, v5, v6
	global_atomic_cmpswap v4, v[2:3], v[4:5], off glc
	s_waitcnt vmcnt(0)
	v_cmp_eq_u32_e32 vcc, v4, v5
	s_or_b64 s[10:11], vcc, s[10:11]
	v_mov_b32_e32 v5, v4
	s_andn2_b64 exec, exec, s[10:11]
	s_cbranch_execnz .LBB69_37
	s_branch .LBB69_30
.LBB69_38:
	s_endpgm
	.section	.rodata,"a",@progbits
	.p2align	6, 0x0
	.amdhsa_kernel _ZL33csrmvn_symm_large_adaptive_kernelIliDF16_DF16_ffEvbT_PKS0_N9rocsparse24const_host_device_scalarIT4_EES2_PKT0_PKT1_PKT2_S6_PT3_21rocsparse_index_base_b
		.amdhsa_group_segment_fixed_size 4096
		.amdhsa_private_segment_fixed_size 0
		.amdhsa_kernarg_size 88
		.amdhsa_user_sgpr_count 6
		.amdhsa_user_sgpr_private_segment_buffer 1
		.amdhsa_user_sgpr_dispatch_ptr 0
		.amdhsa_user_sgpr_queue_ptr 0
		.amdhsa_user_sgpr_kernarg_segment_ptr 1
		.amdhsa_user_sgpr_dispatch_id 0
		.amdhsa_user_sgpr_flat_scratch_init 0
		.amdhsa_user_sgpr_kernarg_preload_length 0
		.amdhsa_user_sgpr_kernarg_preload_offset 0
		.amdhsa_user_sgpr_private_segment_size 0
		.amdhsa_uses_dynamic_stack 0
		.amdhsa_system_sgpr_private_segment_wavefront_offset 0
		.amdhsa_system_sgpr_workgroup_id_x 1
		.amdhsa_system_sgpr_workgroup_id_y 0
		.amdhsa_system_sgpr_workgroup_id_z 0
		.amdhsa_system_sgpr_workgroup_info 0
		.amdhsa_system_vgpr_workitem_id 0
		.amdhsa_next_free_vgpr 17
		.amdhsa_next_free_sgpr 45
		.amdhsa_accum_offset 20
		.amdhsa_reserve_vcc 1
		.amdhsa_reserve_flat_scratch 0
		.amdhsa_float_round_mode_32 0
		.amdhsa_float_round_mode_16_64 0
		.amdhsa_float_denorm_mode_32 3
		.amdhsa_float_denorm_mode_16_64 3
		.amdhsa_dx10_clamp 1
		.amdhsa_ieee_mode 1
		.amdhsa_fp16_overflow 0
		.amdhsa_tg_split 0
		.amdhsa_exception_fp_ieee_invalid_op 0
		.amdhsa_exception_fp_denorm_src 0
		.amdhsa_exception_fp_ieee_div_zero 0
		.amdhsa_exception_fp_ieee_overflow 0
		.amdhsa_exception_fp_ieee_underflow 0
		.amdhsa_exception_fp_ieee_inexact 0
		.amdhsa_exception_int_div_zero 0
	.end_amdhsa_kernel
	.section	.text._ZL33csrmvn_symm_large_adaptive_kernelIliDF16_DF16_ffEvbT_PKS0_N9rocsparse24const_host_device_scalarIT4_EES2_PKT0_PKT1_PKT2_S6_PT3_21rocsparse_index_base_b,"axG",@progbits,_ZL33csrmvn_symm_large_adaptive_kernelIliDF16_DF16_ffEvbT_PKS0_N9rocsparse24const_host_device_scalarIT4_EES2_PKT0_PKT1_PKT2_S6_PT3_21rocsparse_index_base_b,comdat
.Lfunc_end69:
	.size	_ZL33csrmvn_symm_large_adaptive_kernelIliDF16_DF16_ffEvbT_PKS0_N9rocsparse24const_host_device_scalarIT4_EES2_PKT0_PKT1_PKT2_S6_PT3_21rocsparse_index_base_b, .Lfunc_end69-_ZL33csrmvn_symm_large_adaptive_kernelIliDF16_DF16_ffEvbT_PKS0_N9rocsparse24const_host_device_scalarIT4_EES2_PKT0_PKT1_PKT2_S6_PT3_21rocsparse_index_base_b
                                        ; -- End function
	.section	.AMDGPU.csdata,"",@progbits
; Kernel info:
; codeLenInByte = 1700
; NumSgprs: 49
; NumVgprs: 17
; NumAgprs: 0
; TotalNumVgprs: 17
; ScratchSize: 0
; MemoryBound: 0
; FloatMode: 240
; IeeeMode: 1
; LDSByteSize: 4096 bytes/workgroup (compile time only)
; SGPRBlocks: 6
; VGPRBlocks: 2
; NumSGPRsForWavesPerEU: 49
; NumVGPRsForWavesPerEU: 17
; AccumOffset: 20
; Occupancy: 8
; WaveLimiterHint : 1
; COMPUTE_PGM_RSRC2:SCRATCH_EN: 0
; COMPUTE_PGM_RSRC2:USER_SGPR: 6
; COMPUTE_PGM_RSRC2:TRAP_HANDLER: 0
; COMPUTE_PGM_RSRC2:TGID_X_EN: 1
; COMPUTE_PGM_RSRC2:TGID_Y_EN: 0
; COMPUTE_PGM_RSRC2:TGID_Z_EN: 0
; COMPUTE_PGM_RSRC2:TIDIG_COMP_CNT: 0
; COMPUTE_PGM_RSRC3_GFX90A:ACCUM_OFFSET: 4
; COMPUTE_PGM_RSRC3_GFX90A:TG_SPLIT: 0
	.section	.text._ZN9rocsparseL22csrmvn_adaptive_kernelIllDF16_DF16_ffEEvbT_PKS1_PjPKT0_NS_24const_host_device_scalarIT4_EES3_S7_PKT1_PKT2_SA_PT3_21rocsparse_index_base_b,"axG",@progbits,_ZN9rocsparseL22csrmvn_adaptive_kernelIllDF16_DF16_ffEEvbT_PKS1_PjPKT0_NS_24const_host_device_scalarIT4_EES3_S7_PKT1_PKT2_SA_PT3_21rocsparse_index_base_b,comdat
	.globl	_ZN9rocsparseL22csrmvn_adaptive_kernelIllDF16_DF16_ffEEvbT_PKS1_PjPKT0_NS_24const_host_device_scalarIT4_EES3_S7_PKT1_PKT2_SA_PT3_21rocsparse_index_base_b ; -- Begin function _ZN9rocsparseL22csrmvn_adaptive_kernelIllDF16_DF16_ffEEvbT_PKS1_PjPKT0_NS_24const_host_device_scalarIT4_EES3_S7_PKT1_PKT2_SA_PT3_21rocsparse_index_base_b
	.p2align	8
	.type	_ZN9rocsparseL22csrmvn_adaptive_kernelIllDF16_DF16_ffEEvbT_PKS1_PjPKT0_NS_24const_host_device_scalarIT4_EES3_S7_PKT1_PKT2_SA_PT3_21rocsparse_index_base_b,@function
_ZN9rocsparseL22csrmvn_adaptive_kernelIllDF16_DF16_ffEEvbT_PKS1_PjPKT0_NS_24const_host_device_scalarIT4_EES3_S7_PKT1_PKT2_SA_PT3_21rocsparse_index_base_b: ; @_ZN9rocsparseL22csrmvn_adaptive_kernelIllDF16_DF16_ffEEvbT_PKS1_PjPKT0_NS_24const_host_device_scalarIT4_EES3_S7_PKT1_PKT2_SA_PT3_21rocsparse_index_base_b
; %bb.0:
	s_load_dwordx2 s[50:51], s[4:5], 0x60
	s_load_dwordx2 s[48:49], s[4:5], 0x28
	;; [unrolled: 1-line block ×3, first 2 shown]
	s_waitcnt lgkmcnt(0)
	s_bitcmp1_b32 s51, 0
	s_cselect_b64 s[2:3], -1, 0
	s_xor_b64 s[0:1], s[2:3], -1
	s_and_b64 vcc, exec, s[2:3]
	s_cbranch_vccnz .LBB70_2
; %bb.1:
	s_load_dword s48, s[48:49], 0x0
.LBB70_2:
	s_andn2_b64 vcc, exec, s[0:1]
	s_cbranch_vccnz .LBB70_4
; %bb.3:
	s_load_dword s34, s[34:35], 0x0
.LBB70_4:
	s_waitcnt lgkmcnt(0)
	v_cmp_neq_f32_e64 s[0:1], s48, 0
	v_cmp_neq_f32_e64 s[2:3], s34, 1.0
	s_or_b64 s[0:1], s[0:1], s[2:3]
	s_andn2_b64 vcc, exec, s[0:1]
	s_cbranch_vccnz .LBB70_116
; %bb.5:
	s_load_dwordx2 s[0:1], s[4:5], 0x10
	s_load_dwordx2 s[2:3], s[4:5], 0x20
	s_ashr_i32 s7, s6, 31
	s_lshl_b64 s[8:9], s[6:7], 3
	s_waitcnt lgkmcnt(0)
	s_add_u32 s0, s0, s8
	s_addc_u32 s1, s1, s9
	s_load_dwordx4 s[36:39], s[0:1], 0x0
	s_load_dwordx2 s[40:41], s[4:5], 0x58
	s_load_dwordx8 s[24:31], s[4:5], 0x30
	s_waitcnt lgkmcnt(0)
	s_sub_u32 s0, s38, s36
	s_subb_u32 s1, s39, s37
	s_add_u32 s2, s2, s8
	s_addc_u32 s3, s3, s9
	s_lshl_b64 s[8:9], s[36:37], 3
	s_add_u32 s46, s24, s8
	s_addc_u32 s47, s25, s9
	s_load_dwordx2 s[42:43], s[2:3], 0x0
	s_load_dwordx2 s[44:45], s[46:47], 0x0
	v_cmp_lt_i64_e64 s[8:9], s[0:1], 2
	s_mov_b64 s[2:3], -1
	s_and_b64 vcc, exec, s[8:9]
	s_cbranch_vccz .LBB70_72
; %bb.6:
	s_cmp_lg_u64 s[0:1], 1
	s_cselect_b64 s[0:1], -1, 0
	s_waitcnt lgkmcnt(0)
	s_cmp_lg_u64 s[42:43], 0
	s_cselect_b64 s[2:3], -1, 0
	s_or_b64 s[2:3], s[0:1], s[2:3]
	s_mov_b64 s[0:1], -1
	s_and_b64 vcc, exec, s[2:3]
	s_cbranch_vccnz .LBB70_35
; %bb.7:
	v_pk_mov_b32 v[2:3], s[36:37], s[36:37] op_sel:[0,1]
	v_cmp_le_i64_e32 vcc, s[38:39], v[2:3]
	s_cbranch_vccnz .LBB70_34
; %bb.8:
	s_mov_b32 s20, 0
	v_subrev_co_u32_e32 v1, vcc, s50, v0
	v_subb_co_u32_e64 v10, s[0:1], 0, 0, vcc
	v_mov_b32_e32 v12, s20
	v_cmp_neq_f32_e64 s[20:21], s34, 0
	s_movk_i32 s0, 0x80
	s_add_u32 s33, s24, 8
	v_cndmask_b32_e64 v4, 0, 1, s[20:21]
	v_lshlrev_b32_e32 v11, 2, v0
	v_cmp_gt_u32_e64 s[0:1], s0, v0
	v_cmp_gt_u32_e64 s[2:3], 64, v0
	;; [unrolled: 1-line block ×7, first 2 shown]
	v_cmp_eq_u32_e64 s[18:19], 0, v0
	s_addc_u32 s35, s25, 0
	v_mov_b32_e32 v13, s31
	s_movk_i32 s49, 0x100
	v_mov_b32_e32 v14, 0
	v_pk_mov_b32 v[2:3], s[38:39], s[38:39] op_sel:[0,1]
	v_cmp_ne_u32_e64 s[20:21], 1, v4
	s_mov_b64 s[54:55], s[44:45]
	s_mov_b64 s[52:53], s[36:37]
	s_branch .LBB70_11
.LBB70_9:                               ;   in Loop: Header=BB70_11 Depth=1
	s_lshl_b64 s[56:57], s[52:53], 2
	s_add_u32 s56, s40, s56
	s_addc_u32 s57, s41, s57
	s_waitcnt lgkmcnt(0)
	global_store_dword v14, v4, s[56:57]
.LBB70_10:                              ;   in Loop: Header=BB70_11 Depth=1
	s_or_b64 exec, exec, s[22:23]
	s_add_u32 s52, s52, 1
	s_addc_u32 s53, s53, 0
	v_cmp_ge_i64_e32 vcc, s[52:53], v[2:3]
	s_cbranch_vccnz .LBB70_34
.LBB70_11:                              ; =>This Loop Header: Depth=1
                                        ;     Child Loop BB70_13 Depth 2
	s_mov_b64 s[22:23], s[54:55]
	s_lshl_b64 s[54:55], s[52:53], 3
	s_add_u32 s54, s33, s54
	s_addc_u32 s55, s35, s55
	s_load_dwordx2 s[54:55], s[54:55], 0x0
	v_mov_b32_e32 v5, s23
	v_add_co_u32_e32 v4, vcc, s22, v1
	v_addc_co_u32_e32 v5, vcc, v5, v10, vcc
	s_waitcnt lgkmcnt(0)
	s_sub_u32 s56, s54, s50
	s_subb_u32 s57, s55, 0
	v_cmp_gt_i64_e32 vcc, s[56:57], v[4:5]
	v_mov_b32_e32 v15, 0
	s_and_saveexec_b64 s[58:59], vcc
	s_cbranch_execz .LBB70_15
; %bb.12:                               ;   in Loop: Header=BB70_11 Depth=1
	v_lshlrev_b64 v[6:7], 1, v[4:5]
	v_mov_b32_e32 v8, s29
	v_add_co_u32_e32 v6, vcc, s28, v6
	v_addc_co_u32_e32 v7, vcc, v8, v7, vcc
	v_lshlrev_b64 v[8:9], 3, v[4:5]
	v_mov_b32_e32 v15, s27
	v_add_co_u32_e32 v8, vcc, s26, v8
	v_addc_co_u32_e32 v9, vcc, v15, v9, vcc
	s_mov_b64 s[60:61], 0
	v_mov_b32_e32 v15, 0
.LBB70_13:                              ;   Parent Loop BB70_11 Depth=1
                                        ; =>  This Inner Loop Header: Depth=2
	global_load_dwordx2 v[16:17], v[8:9], off
	global_load_ushort v18, v[6:7], off
	s_waitcnt vmcnt(1)
	v_subrev_co_u32_e32 v16, vcc, s50, v16
	v_subb_co_u32_e32 v17, vcc, v17, v12, vcc
	v_lshlrev_b64 v[16:17], 1, v[16:17]
	v_add_co_u32_e32 v16, vcc, s30, v16
	v_addc_co_u32_e32 v17, vcc, v13, v17, vcc
	global_load_ushort v16, v[16:17], off
	v_add_co_u32_e32 v4, vcc, s49, v4
	s_waitcnt vmcnt(1)
	v_cvt_f32_f16_e32 v17, v18
	v_addc_co_u32_e32 v5, vcc, 0, v5, vcc
	v_add_co_u32_e32 v6, vcc, 0x200, v6
	v_addc_co_u32_e32 v7, vcc, 0, v7, vcc
	v_add_co_u32_e32 v8, vcc, 0x800, v8
	v_cmp_le_i64_e64 s[22:23], s[56:57], v[4:5]
	v_mul_f32_e32 v17, s48, v17
	v_addc_co_u32_e32 v9, vcc, 0, v9, vcc
	s_or_b64 s[60:61], s[22:23], s[60:61]
	s_waitcnt vmcnt(0)
	v_fma_mix_f32 v15, v17, v16, v15 op_sel_hi:[0,1,0]
	s_andn2_b64 exec, exec, s[60:61]
	s_cbranch_execnz .LBB70_13
; %bb.14:                               ;   in Loop: Header=BB70_11 Depth=1
	s_or_b64 exec, exec, s[60:61]
.LBB70_15:                              ;   in Loop: Header=BB70_11 Depth=1
	s_or_b64 exec, exec, s[58:59]
	ds_write_b32 v11, v15
	s_waitcnt lgkmcnt(0)
	s_barrier
	s_and_saveexec_b64 s[22:23], s[0:1]
	s_cbranch_execz .LBB70_17
; %bb.16:                               ;   in Loop: Header=BB70_11 Depth=1
	ds_read2st64_b32 v[4:5], v11 offset1:2
	s_waitcnt lgkmcnt(0)
	v_add_f32_e32 v4, v4, v5
	ds_write_b32 v11, v4
.LBB70_17:                              ;   in Loop: Header=BB70_11 Depth=1
	s_or_b64 exec, exec, s[22:23]
	s_waitcnt lgkmcnt(0)
	s_barrier
	s_and_saveexec_b64 s[22:23], s[2:3]
	s_cbranch_execz .LBB70_19
; %bb.18:                               ;   in Loop: Header=BB70_11 Depth=1
	ds_read2st64_b32 v[4:5], v11 offset1:1
	s_waitcnt lgkmcnt(0)
	v_add_f32_e32 v4, v4, v5
	ds_write_b32 v11, v4
.LBB70_19:                              ;   in Loop: Header=BB70_11 Depth=1
	s_or_b64 exec, exec, s[22:23]
	s_waitcnt lgkmcnt(0)
	s_barrier
	s_and_saveexec_b64 s[22:23], s[8:9]
	s_cbranch_execz .LBB70_21
; %bb.20:                               ;   in Loop: Header=BB70_11 Depth=1
	ds_read2_b32 v[4:5], v11 offset1:32
	s_waitcnt lgkmcnt(0)
	v_add_f32_e32 v4, v4, v5
	ds_write_b32 v11, v4
.LBB70_21:                              ;   in Loop: Header=BB70_11 Depth=1
	s_or_b64 exec, exec, s[22:23]
	s_waitcnt lgkmcnt(0)
	s_barrier
	s_and_saveexec_b64 s[22:23], s[10:11]
	s_cbranch_execz .LBB70_23
; %bb.22:                               ;   in Loop: Header=BB70_11 Depth=1
	ds_read2_b32 v[4:5], v11 offset1:16
	s_waitcnt lgkmcnt(0)
	v_add_f32_e32 v4, v4, v5
	ds_write_b32 v11, v4
.LBB70_23:                              ;   in Loop: Header=BB70_11 Depth=1
	;; [unrolled: 11-line block ×5, first 2 shown]
	s_or_b64 exec, exec, s[22:23]
	s_waitcnt lgkmcnt(0)
	s_barrier
	s_and_saveexec_b64 s[22:23], s[18:19]
	s_cbranch_execz .LBB70_31
; %bb.30:                               ;   in Loop: Header=BB70_11 Depth=1
	ds_read_b64 v[4:5], v14
	s_waitcnt lgkmcnt(0)
	v_add_f32_e32 v4, v4, v5
	ds_write_b32 v14, v4
.LBB70_31:                              ;   in Loop: Header=BB70_11 Depth=1
	s_or_b64 exec, exec, s[22:23]
	s_waitcnt lgkmcnt(0)
	s_barrier
	s_and_saveexec_b64 s[22:23], s[18:19]
	s_cbranch_execz .LBB70_10
; %bb.32:                               ;   in Loop: Header=BB70_11 Depth=1
	ds_read_b32 v4, v14
	s_and_b64 vcc, exec, s[20:21]
	s_cbranch_vccnz .LBB70_9
; %bb.33:                               ;   in Loop: Header=BB70_11 Depth=1
	s_lshl_b64 s[56:57], s[52:53], 2
	s_add_u32 s56, s40, s56
	s_addc_u32 s57, s41, s57
	global_load_dword v5, v14, s[56:57]
	s_waitcnt vmcnt(0) lgkmcnt(0)
	v_fmac_f32_e32 v4, s34, v5
	s_branch .LBB70_9
.LBB70_34:
	s_mov_b64 s[0:1], 0
.LBB70_35:
	s_andn2_b64 vcc, exec, s[0:1]
	s_cbranch_vccnz .LBB70_71
; %bb.36:
	s_load_dwordx2 s[8:9], s[4:5], 0x18
	s_sub_u32 s10, s6, s42
	s_subb_u32 s11, s7, s43
	s_lshl_b64 s[0:1], s[6:7], 2
	s_mov_b32 s21, 0
	s_waitcnt lgkmcnt(0)
	s_add_u32 s6, s8, s0
	s_addc_u32 s7, s9, s1
	s_load_dword s20, s[6:7], 0x0
	s_cmp_eq_u64 s[42:43], 0
	s_cselect_b64 s[2:3], -1, 0
	s_cmp_lg_u64 s[42:43], 0
	v_cmp_eq_u32_e64 s[0:1], 0, v0
	s_cselect_b64 s[12:13], -1, 0
	s_and_b64 s[14:15], s[0:1], s[2:3]
	v_mov_b32_e32 v1, 0
	s_and_saveexec_b64 s[2:3], s[14:15]
	s_cbranch_execz .LBB70_40
; %bb.37:
	s_lshl_b64 s[16:17], s[36:37], 2
	s_add_u32 s16, s40, s16
	s_addc_u32 s17, s41, s17
	s_load_dword s18, s[16:17], 0x0
	s_mov_b64 s[14:15], exec
	v_mbcnt_lo_u32_b32 v2, s14, 0
	v_mbcnt_hi_u32_b32 v2, s15, v2
	v_add_f32_e64 v1, s34, -1.0
	v_cmp_eq_u32_e32 vcc, 0, v2
	s_waitcnt vmcnt(0) expcnt(0) lgkmcnt(0)
	s_and_saveexec_b64 s[16:17], vcc
	s_cbranch_execz .LBB70_39
; %bb.38:
	s_lshl_b64 s[22:23], s[10:11], 2
	s_add_u32 s22, s8, s22
	s_addc_u32 s23, s9, s23
	s_bcnt1_i32_b64 s14, s[14:15]
	s_and_b32 s14, s14, 1
	v_mov_b32_e32 v2, 0
	v_mov_b32_e32 v3, s14
	global_atomic_xor v2, v3, s[22:23]
.LBB70_39:
	s_or_b64 exec, exec, s[16:17]
	v_mul_f32_e32 v1, s18, v1
.LBB70_40:
	s_or_b64 exec, exec, s[2:3]
	s_mul_i32 s2, s43, 0xc00
	s_mul_hi_u32 s3, s42, 0xc00
	s_add_i32 s14, s3, s2
	s_load_dwordx2 s[2:3], s[46:47], 0x8
	s_sub_u32 s16, s44, s50
	s_mul_i32 s15, s42, 0xc00
	s_subb_u32 s17, s45, 0
	s_add_u32 s16, s16, s15
	s_addc_u32 s17, s17, s14
	s_waitcnt lgkmcnt(0)
	s_sub_u32 s2, s2, s50
	v_mov_b32_e32 v3, s17
	v_add_co_u32_e32 v2, vcc, s16, v0
	s_subb_u32 s3, s3, 0
	v_addc_co_u32_e32 v3, vcc, 0, v3, vcc
	v_cmp_gt_i64_e32 vcc, s[2:3], v[2:3]
	s_and_saveexec_b64 s[14:15], vcc
	s_cbranch_execz .LBB70_44
; %bb.41:
	s_add_u32 s16, s16, 0xc00
	s_addc_u32 s17, s17, 0
	v_pk_mov_b32 v[4:5], s[2:3], s[2:3] op_sel:[0,1]
	v_cmp_lt_i64_e32 vcc, s[16:17], v[4:5]
	v_lshlrev_b64 v[4:5], 1, v[2:3]
	s_and_b64 s[18:19], vcc, exec
	v_mov_b32_e32 v6, s29
	v_add_co_u32_e32 v4, vcc, s28, v4
	v_addc_co_u32_e32 v5, vcc, v6, v5, vcc
	v_lshlrev_b64 v[6:7], 3, v[2:3]
	v_mov_b32_e32 v8, s27
	v_add_co_u32_e32 v6, vcc, s26, v6
	s_cselect_b32 s17, s17, s3
	s_cselect_b32 s16, s16, s2
	v_addc_co_u32_e32 v7, vcc, v8, v7, vcc
	s_mov_b64 s[18:19], 0
	v_mov_b32_e32 v8, s21
	v_mov_b32_e32 v9, s31
	s_movk_i32 s21, 0x100
.LBB70_42:                              ; =>This Inner Loop Header: Depth=1
	global_load_dwordx2 v[10:11], v[6:7], off
	global_load_ushort v12, v[4:5], off
	s_waitcnt vmcnt(1)
	v_subrev_co_u32_e32 v10, vcc, s50, v10
	v_subb_co_u32_e32 v11, vcc, v11, v8, vcc
	v_lshlrev_b64 v[10:11], 1, v[10:11]
	v_add_co_u32_e32 v10, vcc, s30, v10
	v_addc_co_u32_e32 v11, vcc, v9, v11, vcc
	global_load_ushort v10, v[10:11], off
	v_add_co_u32_e32 v2, vcc, s21, v2
	s_waitcnt vmcnt(1)
	v_cvt_f32_f16_e32 v11, v12
	v_addc_co_u32_e32 v3, vcc, 0, v3, vcc
	v_add_co_u32_e32 v4, vcc, 0x200, v4
	v_addc_co_u32_e32 v5, vcc, 0, v5, vcc
	v_add_co_u32_e32 v6, vcc, 0x800, v6
	v_cmp_le_i64_e64 s[2:3], s[16:17], v[2:3]
	v_mul_f32_e32 v11, s48, v11
	v_addc_co_u32_e32 v7, vcc, 0, v7, vcc
	s_or_b64 s[18:19], s[2:3], s[18:19]
	s_waitcnt vmcnt(0)
	v_fma_mix_f32 v1, v11, v10, v1 op_sel_hi:[0,1,0]
	s_andn2_b64 exec, exec, s[18:19]
	s_cbranch_execnz .LBB70_42
; %bb.43:
	s_or_b64 exec, exec, s[18:19]
.LBB70_44:
	s_or_b64 exec, exec, s[14:15]
	s_movk_i32 s2, 0x80
	v_lshlrev_b32_e32 v2, 2, v0
	v_cmp_gt_u32_e32 vcc, s2, v0
	ds_write_b32 v2, v1
	s_waitcnt lgkmcnt(0)
	s_barrier
	s_and_saveexec_b64 s[2:3], vcc
	s_cbranch_execz .LBB70_46
; %bb.45:
	ds_read2st64_b32 v[4:5], v2 offset1:2
	s_waitcnt lgkmcnt(0)
	v_add_f32_e32 v1, v4, v5
	ds_write_b32 v2, v1
.LBB70_46:
	s_or_b64 exec, exec, s[2:3]
	v_cmp_gt_u32_e32 vcc, 64, v0
	s_waitcnt lgkmcnt(0)
	s_barrier
	s_and_saveexec_b64 s[2:3], vcc
	s_cbranch_execz .LBB70_48
; %bb.47:
	ds_read2st64_b32 v[4:5], v2 offset1:1
	s_waitcnt lgkmcnt(0)
	v_add_f32_e32 v1, v4, v5
	ds_write_b32 v2, v1
.LBB70_48:
	s_or_b64 exec, exec, s[2:3]
	v_cmp_gt_u32_e32 vcc, 32, v0
	s_waitcnt lgkmcnt(0)
	s_barrier
	s_and_saveexec_b64 s[2:3], vcc
	s_cbranch_execz .LBB70_50
; %bb.49:
	ds_read2_b32 v[4:5], v2 offset1:32
	s_waitcnt lgkmcnt(0)
	v_add_f32_e32 v1, v4, v5
	ds_write_b32 v2, v1
.LBB70_50:
	s_or_b64 exec, exec, s[2:3]
	v_cmp_gt_u32_e32 vcc, 16, v0
	s_waitcnt lgkmcnt(0)
	s_barrier
	s_and_saveexec_b64 s[2:3], vcc
	s_cbranch_execz .LBB70_52
; %bb.51:
	ds_read2_b32 v[4:5], v2 offset1:16
	s_waitcnt lgkmcnt(0)
	v_add_f32_e32 v1, v4, v5
	ds_write_b32 v2, v1
.LBB70_52:
	;; [unrolled: 12-line block ×5, first 2 shown]
	s_or_b64 exec, exec, s[2:3]
	s_waitcnt lgkmcnt(0)
	s_barrier
	s_and_saveexec_b64 s[2:3], s[0:1]
	s_cbranch_execz .LBB70_60
; %bb.59:
	v_mov_b32_e32 v1, 0
	ds_read_b64 v[2:3], v1
	s_waitcnt lgkmcnt(0)
	v_add_f32_e32 v2, v2, v3
	ds_write_b32 v1, v2
.LBB70_60:
	s_or_b64 exec, exec, s[2:3]
	s_waitcnt lgkmcnt(0)
	s_barrier
	s_and_saveexec_b64 s[2:3], s[0:1]
	s_cbranch_execz .LBB70_70
; %bb.61:
	s_andn2_b64 vcc, exec, s[12:13]
	s_cbranch_vccnz .LBB70_67
; %bb.62:
	s_lshl_b64 s[0:1], s[10:11], 2
	s_add_u32 s0, s8, s0
	s_addc_u32 s1, s9, s1
	v_mov_b32_e32 v1, 0
	s_branch .LBB70_64
.LBB70_63:                              ;   in Loop: Header=BB70_64 Depth=1
	s_or_b64 exec, exec, s[8:9]
	s_waitcnt vmcnt(0)
	v_readfirstlane_b32 s8, v2
	s_cmp_eq_u32 s8, s20
	s_cbranch_scc0 .LBB70_66
.LBB70_64:                              ; =>This Inner Loop Header: Depth=1
	v_mbcnt_lo_u32_b32 v2, exec_lo, 0
	v_mbcnt_hi_u32_b32 v2, exec_hi, v2
	v_cmp_eq_u32_e32 vcc, 0, v2
                                        ; implicit-def: $vgpr2
	s_and_saveexec_b64 s[8:9], vcc
	s_cbranch_execz .LBB70_63
; %bb.65:                               ;   in Loop: Header=BB70_64 Depth=1
	global_load_dword v2, v1, s[0:1] glc
	s_branch .LBB70_63
.LBB70_66:
	v_mov_b32_e32 v1, 0
	global_load_dword v2, v1, s[6:7]
	s_waitcnt vmcnt(0)
	v_xor_b32_e32 v2, 1, v2
	global_store_dword v1, v2, s[6:7]
.LBB70_67:
	s_mov_b64 s[6:7], exec
	v_mbcnt_lo_u32_b32 v1, s6, 0
	v_mbcnt_hi_u32_b32 v1, s7, v1
	v_cmp_eq_u32_e32 vcc, 0, v1
	s_and_b64 s[0:1], exec, vcc
	s_mov_b64 exec, s[0:1]
	s_cbranch_execz .LBB70_70
; %bb.68:
	s_lshl_b64 s[0:1], s[36:37], 2
	s_add_u32 s0, s40, s0
	s_addc_u32 s1, s41, s1
	v_mov_b32_e32 v1, 0
	global_load_dword v3, v1, s[0:1]
	ds_read_b32 v2, v1
	s_bcnt1_i32_b64 s6, s[6:7]
	v_cvt_f32_ubyte0_e32 v4, s6
	s_mov_b64 s[6:7], 0
	s_waitcnt lgkmcnt(0)
	v_mul_f32_e32 v4, v2, v4
.LBB70_69:                              ; =>This Inner Loop Header: Depth=1
	s_waitcnt vmcnt(0)
	v_add_f32_e32 v2, v3, v4
	global_atomic_cmpswap v2, v1, v[2:3], s[0:1] glc
	s_waitcnt vmcnt(0)
	v_cmp_eq_u32_e32 vcc, v2, v3
	s_or_b64 s[6:7], vcc, s[6:7]
	v_mov_b32_e32 v3, v2
	s_andn2_b64 exec, exec, s[6:7]
	s_cbranch_execnz .LBB70_69
.LBB70_70:
	s_or_b64 exec, exec, s[2:3]
.LBB70_71:
	s_mov_b64 s[2:3], 0
.LBB70_72:
	s_andn2_b64 vcc, exec, s[2:3]
	s_cbranch_vccnz .LBB70_116
; %bb.73:
	s_load_dwordx2 s[0:1], s[4:5], 0x8
	v_subrev_co_u32_e32 v1, vcc, s50, v0
	v_subb_co_u32_e64 v3, s[2:3], 0, 0, vcc
	s_waitcnt lgkmcnt(0)
	v_mov_b32_e32 v4, s45
	v_add_co_u32_e32 v2, vcc, s44, v1
	v_addc_co_u32_e32 v3, vcc, v4, v3, vcc
	v_add_co_u32_e32 v4, vcc, 0x300, v2
	v_addc_co_u32_e32 v5, vcc, 0, v3, vcc
	s_mov_b32 s10, 0
	v_cmp_le_i64_e32 vcc, s[0:1], v[4:5]
	s_and_saveexec_b64 s[0:1], vcc
	s_xor_b64 s[2:3], exec, s[0:1]
	s_cbranch_execz .LBB70_78
; %bb.74:
	s_lshl_b64 s[0:1], s[38:39], 3
	s_add_u32 s0, s24, s0
	s_addc_u32 s1, s25, s1
	s_load_dwordx2 s[0:1], s[0:1], 0x0
	s_waitcnt lgkmcnt(0)
	s_sub_u32 s4, s0, s50
	s_subb_u32 s5, s1, 0
	v_cmp_gt_i64_e32 vcc, s[4:5], v[2:3]
	s_and_saveexec_b64 s[6:7], vcc
	s_cbranch_execz .LBB70_77
; %bb.75:
	v_lshlrev_b64 v[4:5], 1, v[2:3]
	v_mov_b32_e32 v6, s29
	v_add_co_u32_e32 v4, vcc, s28, v4
	v_addc_co_u32_e32 v5, vcc, v6, v5, vcc
	v_lshlrev_b64 v[6:7], 3, v[2:3]
	v_mov_b32_e32 v8, s27
	v_add_co_u32_e32 v6, vcc, s26, v6
	v_lshlrev_b32_e32 v1, 2, v0
	v_addc_co_u32_e32 v7, vcc, v8, v7, vcc
	s_mov_b64 s[8:9], 0
	v_mov_b32_e32 v8, s10
	v_mov_b32_e32 v9, s31
	s_movk_i32 s11, 0x100
.LBB70_76:                              ; =>This Inner Loop Header: Depth=1
	global_load_dwordx2 v[10:11], v[6:7], off
	global_load_ushort v12, v[4:5], off
	s_waitcnt vmcnt(1)
	v_subrev_co_u32_e32 v10, vcc, s50, v10
	v_subb_co_u32_e32 v11, vcc, v11, v8, vcc
	v_lshlrev_b64 v[10:11], 1, v[10:11]
	v_add_co_u32_e32 v10, vcc, s30, v10
	v_addc_co_u32_e32 v11, vcc, v9, v11, vcc
	global_load_ushort v10, v[10:11], off
	s_waitcnt vmcnt(1)
	v_cvt_f32_f16_e32 v11, v12
	v_add_co_u32_e32 v2, vcc, s11, v2
	v_addc_co_u32_e32 v3, vcc, 0, v3, vcc
	v_add_co_u32_e32 v4, vcc, 0x200, v4
	v_addc_co_u32_e32 v5, vcc, 0, v5, vcc
	v_mul_f32_e32 v11, s48, v11
	v_add_co_u32_e32 v6, vcc, 0x800, v6
	v_cmp_le_i64_e64 s[0:1], s[4:5], v[2:3]
	v_addc_co_u32_e32 v7, vcc, 0, v7, vcc
	s_or_b64 s[8:9], s[0:1], s[8:9]
	s_waitcnt vmcnt(0)
	v_cvt_f32_f16_e32 v10, v10
	v_mul_f32_e32 v10, v11, v10
	ds_write_b32 v1, v10
	v_add_u32_e32 v1, 0x400, v1
	s_andn2_b64 exec, exec, s[8:9]
	s_cbranch_execnz .LBB70_76
.LBB70_77:
	s_or_b64 exec, exec, s[6:7]
                                        ; implicit-def: $vgpr2_vgpr3
.LBB70_78:
	s_or_saveexec_b64 s[0:1], s[2:3]
	v_lshlrev_b32_e32 v10, 2, v0
	s_xor_b64 exec, exec, s[0:1]
	s_cbranch_execz .LBB70_80
; %bb.79:
	v_lshlrev_b64 v[4:5], 3, v[2:3]
	v_mov_b32_e32 v1, s27
	v_add_co_u32_e32 v4, vcc, s26, v4
	v_addc_co_u32_e32 v5, vcc, v1, v5, vcc
	global_load_dwordx2 v[6:7], v[4:5], off
	global_load_dwordx2 v[8:9], v[4:5], off offset:2048
	s_movk_i32 s2, 0x1000
	v_add_co_u32_e32 v4, vcc, s2, v4
	v_addc_co_u32_e32 v5, vcc, 0, v5, vcc
	global_load_dwordx2 v[12:13], v[4:5], off
	global_load_dwordx2 v[14:15], v[4:5], off offset:2048
	v_lshlrev_b64 v[2:3], 1, v[2:3]
	v_mov_b32_e32 v1, s29
	v_add_co_u32_e32 v2, vcc, s28, v2
	v_addc_co_u32_e32 v3, vcc, v1, v3, vcc
	v_mov_b32_e32 v11, s10
	global_load_ushort v1, v[2:3], off
	global_load_ushort v17, v[2:3], off offset:512
	global_load_ushort v18, v[2:3], off offset:1024
	;; [unrolled: 1-line block ×3, first 2 shown]
	v_mov_b32_e32 v16, s31
	s_waitcnt vmcnt(7)
	v_subrev_co_u32_e32 v2, vcc, s50, v6
	v_subb_co_u32_e32 v3, vcc, v7, v11, vcc
	s_waitcnt vmcnt(6)
	v_subrev_co_u32_e32 v4, vcc, s50, v8
	v_subb_co_u32_e32 v5, vcc, v9, v11, vcc
	;; [unrolled: 3-line block ×3, first 2 shown]
	s_waitcnt vmcnt(4)
	v_subrev_co_u32_e32 v8, vcc, s50, v14
	v_lshlrev_b64 v[2:3], 1, v[2:3]
	v_subb_co_u32_e32 v9, vcc, v15, v11, vcc
	v_add_co_u32_e32 v2, vcc, s30, v2
	v_lshlrev_b64 v[4:5], 1, v[4:5]
	v_addc_co_u32_e32 v3, vcc, v16, v3, vcc
	v_add_co_u32_e32 v4, vcc, s30, v4
	v_addc_co_u32_e32 v5, vcc, v16, v5, vcc
	v_lshlrev_b64 v[6:7], 1, v[6:7]
	global_load_ushort v11, v[2:3], off
	global_load_ushort v12, v[4:5], off
	v_add_co_u32_e32 v2, vcc, s30, v6
	v_lshlrev_b64 v[8:9], 1, v[8:9]
	v_addc_co_u32_e32 v3, vcc, v16, v7, vcc
	v_add_co_u32_e32 v4, vcc, s30, v8
	v_addc_co_u32_e32 v5, vcc, v16, v9, vcc
	global_load_ushort v6, v[2:3], off
	global_load_ushort v7, v[4:5], off
	s_waitcnt vmcnt(7)
	v_cvt_f32_f16_e32 v1, v1
	s_waitcnt vmcnt(6)
	v_cvt_f32_f16_e32 v2, v17
	;; [unrolled: 2-line block ×4, first 2 shown]
	v_mul_f32_e32 v1, s48, v1
	v_mul_f32_e32 v2, s48, v2
	;; [unrolled: 1-line block ×4, first 2 shown]
	s_waitcnt vmcnt(3)
	v_cvt_f32_f16_e32 v5, v11
	s_waitcnt vmcnt(2)
	v_cvt_f32_f16_e32 v8, v12
	v_mul_f32_e32 v1, v1, v5
	v_mul_f32_e32 v2, v2, v8
	ds_write2st64_b32 v10, v1, v2 offset1:4
	s_waitcnt vmcnt(1)
	v_cvt_f32_f16_e32 v6, v6
	s_waitcnt vmcnt(0)
	v_cvt_f32_f16_e32 v7, v7
	v_mul_f32_e32 v1, v3, v6
	v_mul_f32_e32 v2, v4, v7
	ds_write2st64_b32 v10, v1, v2 offset0:8 offset1:12
.LBB70_80:
	s_or_b64 exec, exec, s[0:1]
	v_cmp_lt_i64_e64 s[2:3], s[42:43], 2
	s_mov_b64 s[0:1], -1
	s_and_b64 vcc, exec, s[2:3]
	s_waitcnt lgkmcnt(0)
	s_barrier
	s_cbranch_vccz .LBB70_91
; %bb.81:
	v_mov_b32_e32 v1, s37
	v_add_co_u32_e32 v6, vcc, s36, v0
	v_addc_co_u32_e32 v7, vcc, 0, v1, vcc
	v_cmp_gt_i64_e32 vcc, s[38:39], v[6:7]
	s_and_saveexec_b64 s[0:1], vcc
	s_cbranch_execz .LBB70_90
; %bb.82:
	s_lshl_b32 s4, s44, 2
	v_cmp_neq_f32_e64 s[2:3], s34, 0
	s_sub_i32 s10, 0, s4
	s_mov_b64 s[4:5], 0
	v_mov_b32_e32 v1, s25
	v_mov_b32_e32 v11, s41
	s_branch .LBB70_84
.LBB70_83:                              ;   in Loop: Header=BB70_84 Depth=1
	v_add_co_u32_e32 v2, vcc, s40, v2
	v_addc_co_u32_e32 v3, vcc, v11, v3, vcc
	v_add_co_u32_e32 v6, vcc, 0x100, v6
	v_addc_co_u32_e32 v7, vcc, 0, v7, vcc
	v_cmp_le_i64_e32 vcc, s[38:39], v[6:7]
	s_or_b64 s[4:5], vcc, s[4:5]
	global_store_dword v[2:3], v12, off
	s_andn2_b64 exec, exec, s[4:5]
	s_cbranch_execz .LBB70_90
.LBB70_84:                              ; =>This Loop Header: Depth=1
                                        ;     Child Loop BB70_86 Depth 2
	v_lshlrev_b64 v[2:3], 3, v[6:7]
	v_add_co_u32_e32 v2, vcc, s24, v2
	v_addc_co_u32_e32 v3, vcc, v1, v3, vcc
	global_load_dwordx4 v[2:5], v[2:3], off
	v_mov_b32_e32 v12, 0
	s_waitcnt vmcnt(0)
	v_cmp_lt_i64_e32 vcc, v[2:3], v[4:5]
	s_and_saveexec_b64 s[6:7], vcc
	s_cbranch_execz .LBB70_88
; %bb.85:                               ;   in Loop: Header=BB70_84 Depth=1
	v_mov_b32_e32 v9, s45
	v_subrev_co_u32_e32 v4, vcc, s44, v4
	v_subb_co_u32_e32 v5, vcc, v5, v9, vcc
	v_subrev_co_u32_e32 v8, vcc, s44, v2
	v_subb_co_u32_e32 v9, vcc, v3, v9, vcc
	v_lshl_add_u32 v2, v2, 2, s10
	s_mov_b64 s[8:9], 0
	v_mov_b32_e32 v12, 0
.LBB70_86:                              ;   Parent Loop BB70_84 Depth=1
                                        ; =>  This Inner Loop Header: Depth=2
	ds_read_b32 v3, v2
	v_add_co_u32_e32 v8, vcc, 1, v8
	v_addc_co_u32_e32 v9, vcc, 0, v9, vcc
	v_cmp_ge_i64_e32 vcc, v[8:9], v[4:5]
	v_add_u32_e32 v2, 4, v2
	s_or_b64 s[8:9], vcc, s[8:9]
	s_waitcnt lgkmcnt(0)
	v_add_f32_e32 v12, v12, v3
	s_andn2_b64 exec, exec, s[8:9]
	s_cbranch_execnz .LBB70_86
; %bb.87:                               ;   in Loop: Header=BB70_84 Depth=1
	s_or_b64 exec, exec, s[8:9]
.LBB70_88:                              ;   in Loop: Header=BB70_84 Depth=1
	s_or_b64 exec, exec, s[6:7]
	s_and_b64 vcc, exec, s[2:3]
	v_lshlrev_b64 v[2:3], 2, v[6:7]
	s_cbranch_vccz .LBB70_83
; %bb.89:                               ;   in Loop: Header=BB70_84 Depth=1
	v_mov_b32_e32 v5, s41
	v_add_co_u32_e32 v4, vcc, s40, v2
	v_addc_co_u32_e32 v5, vcc, v5, v3, vcc
	global_load_dword v4, v[4:5], off
	s_waitcnt vmcnt(0)
	v_fmac_f32_e32 v12, s34, v4
	s_branch .LBB70_83
.LBB70_90:
	s_or_b64 exec, exec, s[0:1]
	s_mov_b64 s[0:1], 0
.LBB70_91:
	s_andn2_b64 vcc, exec, s[0:1]
	s_cbranch_vccnz .LBB70_116
; %bb.92:
	s_flbit_i32_b32 s0, s42
	s_min_u32 s0, s0, 32
	s_sub_i32 s0, 31, s0
	v_lshrrev_b32_e32 v4, s0, v0
	v_mov_b32_e32 v1, s37
	v_add_co_u32_e32 v2, vcc, s36, v4
	v_addc_co_u32_e32 v3, vcc, 0, v1, vcc
	s_add_i32 s0, s42, -1
	v_mov_b32_e32 v8, 0
	v_and_b32_e64 v1, s0, 0
	v_and_b32_e32 v0, s0, v0
	v_cmp_le_i64_e64 s[0:1], s[38:39], v[2:3]
	v_cmp_gt_i64_e32 vcc, s[38:39], v[2:3]
	s_and_saveexec_b64 s[2:3], vcc
	s_cbranch_execz .LBB70_98
; %bb.93:
	v_lshlrev_b32_e32 v4, 3, v4
	global_load_dwordx4 v[6:9], v4, s[46:47]
	v_mov_b32_e32 v5, s45
	v_subrev_co_u32_e32 v11, vcc, s44, v0
	v_subb_co_u32_e32 v12, vcc, v1, v5, vcc
	s_waitcnt vmcnt(0)
	v_subrev_co_u32_e32 v4, vcc, s44, v8
	v_subb_co_u32_e32 v5, vcc, v9, v5, vcc
	v_add_co_u32_e32 v6, vcc, v6, v11
	v_addc_co_u32_e32 v7, vcc, v7, v12, vcc
	v_cmp_lt_i64_e32 vcc, v[6:7], v[4:5]
	v_mov_b32_e32 v8, 0
	s_and_saveexec_b64 s[4:5], vcc
	s_cbranch_execz .LBB70_97
; %bb.94:
	v_lshlrev_b32_e32 v9, 2, v6
	s_lshl_b32 s8, s42, 2
	s_mov_b64 s[6:7], 0
	v_mov_b32_e32 v8, 0
	v_mov_b32_e32 v11, s43
.LBB70_95:                              ; =>This Inner Loop Header: Depth=1
	ds_read_b32 v12, v9
	v_add_co_u32_e32 v6, vcc, s42, v6
	v_addc_co_u32_e32 v7, vcc, v7, v11, vcc
	v_cmp_ge_i64_e32 vcc, v[6:7], v[4:5]
	v_add_u32_e32 v9, s8, v9
	s_or_b64 s[6:7], vcc, s[6:7]
	s_waitcnt lgkmcnt(0)
	v_add_f32_e32 v8, v8, v12
	s_andn2_b64 exec, exec, s[6:7]
	s_cbranch_execnz .LBB70_95
; %bb.96:
	s_or_b64 exec, exec, s[6:7]
.LBB70_97:
	s_or_b64 exec, exec, s[4:5]
.LBB70_98:
	s_or_b64 exec, exec, s[2:3]
	v_mov_b32_e32 v4, 0x81
	v_mov_b32_e32 v5, 0
	v_cmp_lt_i64_e32 vcc, s[42:43], v[4:5]
	s_and_b64 vcc, exec, vcc
	s_barrier
	ds_write_b32 v10, v8
	s_waitcnt lgkmcnt(0)
	s_barrier
	s_cbranch_vccnz .LBB70_100
; %bb.99:
	ds_read_b32 v4, v10 offset:512
	s_waitcnt lgkmcnt(0)
	s_barrier
	v_add_f32_e32 v8, v8, v4
	ds_write_b32 v10, v8
.LBB70_100:
	v_mov_b32_e32 v4, 0x41
	v_mov_b32_e32 v5, 0
	v_cmp_lt_i64_e32 vcc, s[42:43], v[4:5]
	s_waitcnt lgkmcnt(0)
	s_barrier
	s_cbranch_vccnz .LBB70_102
; %bb.101:
	ds_read_b32 v4, v10 offset:256
	s_waitcnt lgkmcnt(0)
	s_barrier
	v_add_f32_e32 v8, v8, v4
	ds_write_b32 v10, v8
.LBB70_102:
	v_cmp_lt_i64_e64 s[2:3], s[42:43], 33
	s_and_b64 vcc, exec, s[2:3]
	s_waitcnt lgkmcnt(0)
	s_barrier
	s_cbranch_vccnz .LBB70_104
; %bb.103:
	ds_read_b32 v4, v10 offset:128
	s_waitcnt lgkmcnt(0)
	s_barrier
	v_add_f32_e32 v8, v8, v4
	ds_write_b32 v10, v8
.LBB70_104:
	v_cmp_lt_i64_e64 s[2:3], s[42:43], 17
	s_and_b64 vcc, exec, s[2:3]
	s_waitcnt lgkmcnt(0)
	s_barrier
	s_cbranch_vccnz .LBB70_106
; %bb.105:
	ds_read_b32 v4, v10 offset:64
	s_waitcnt lgkmcnt(0)
	s_barrier
	v_add_f32_e32 v8, v8, v4
	ds_write_b32 v10, v8
.LBB70_106:
	v_cmp_lt_i64_e64 s[2:3], s[42:43], 9
	s_and_b64 vcc, exec, s[2:3]
	s_waitcnt lgkmcnt(0)
	s_barrier
	s_cbranch_vccnz .LBB70_108
; %bb.107:
	ds_read_b32 v4, v10 offset:32
	s_waitcnt lgkmcnt(0)
	s_barrier
	v_add_f32_e32 v8, v8, v4
	ds_write_b32 v10, v8
.LBB70_108:
	v_cmp_lt_i64_e64 s[2:3], s[42:43], 5
	s_and_b64 vcc, exec, s[2:3]
	s_waitcnt lgkmcnt(0)
	s_barrier
	s_cbranch_vccnz .LBB70_110
; %bb.109:
	ds_read_b32 v4, v10 offset:16
	s_waitcnt lgkmcnt(0)
	s_barrier
	v_add_f32_e32 v8, v8, v4
	ds_write_b32 v10, v8
.LBB70_110:
	s_cmp_eq_u64 s[42:43], 2
	s_waitcnt lgkmcnt(0)
	s_barrier
	s_cbranch_scc1 .LBB70_112
; %bb.111:
	ds_read_b32 v4, v10 offset:8
	s_waitcnt lgkmcnt(0)
	s_barrier
	v_add_f32_e32 v8, v8, v4
	ds_write_b32 v10, v8
.LBB70_112:
	s_waitcnt lgkmcnt(0)
	s_barrier
	ds_read_b32 v4, v10 offset:4
	v_cmp_eq_u64_e32 vcc, 0, v[0:1]
	s_xor_b64 s[0:1], s[0:1], -1
	s_and_b64 s[0:1], vcc, s[0:1]
	s_waitcnt lgkmcnt(0)
	v_add_f32_e32 v4, v8, v4
	s_barrier
	ds_write_b32 v10, v4
	s_and_saveexec_b64 s[2:3], s[0:1]
	s_cbranch_execz .LBB70_116
; %bb.113:
	v_cmp_eq_f32_e64 s[0:1], s34, 0
	s_and_b64 vcc, exec, s[0:1]
	v_lshlrev_b64 v[0:1], 2, v[2:3]
	s_cbranch_vccnz .LBB70_115
; %bb.114:
	v_mov_b32_e32 v3, s41
	v_add_co_u32_e32 v2, vcc, s40, v0
	v_addc_co_u32_e32 v3, vcc, v3, v1, vcc
	global_load_dword v2, v[2:3], off
	s_waitcnt vmcnt(0)
	v_fmac_f32_e32 v4, s34, v2
.LBB70_115:
	v_mov_b32_e32 v2, s41
	v_add_co_u32_e32 v0, vcc, s40, v0
	v_addc_co_u32_e32 v1, vcc, v2, v1, vcc
	global_store_dword v[0:1], v4, off
.LBB70_116:
	s_endpgm
	.section	.rodata,"a",@progbits
	.p2align	6, 0x0
	.amdhsa_kernel _ZN9rocsparseL22csrmvn_adaptive_kernelIllDF16_DF16_ffEEvbT_PKS1_PjPKT0_NS_24const_host_device_scalarIT4_EES3_S7_PKT1_PKT2_SA_PT3_21rocsparse_index_base_b
		.amdhsa_group_segment_fixed_size 4096
		.amdhsa_private_segment_fixed_size 0
		.amdhsa_kernarg_size 104
		.amdhsa_user_sgpr_count 6
		.amdhsa_user_sgpr_private_segment_buffer 1
		.amdhsa_user_sgpr_dispatch_ptr 0
		.amdhsa_user_sgpr_queue_ptr 0
		.amdhsa_user_sgpr_kernarg_segment_ptr 1
		.amdhsa_user_sgpr_dispatch_id 0
		.amdhsa_user_sgpr_flat_scratch_init 0
		.amdhsa_user_sgpr_kernarg_preload_length 0
		.amdhsa_user_sgpr_kernarg_preload_offset 0
		.amdhsa_user_sgpr_private_segment_size 0
		.amdhsa_uses_dynamic_stack 0
		.amdhsa_system_sgpr_private_segment_wavefront_offset 0
		.amdhsa_system_sgpr_workgroup_id_x 1
		.amdhsa_system_sgpr_workgroup_id_y 0
		.amdhsa_system_sgpr_workgroup_id_z 0
		.amdhsa_system_sgpr_workgroup_info 0
		.amdhsa_system_vgpr_workitem_id 0
		.amdhsa_next_free_vgpr 20
		.amdhsa_next_free_sgpr 62
		.amdhsa_accum_offset 20
		.amdhsa_reserve_vcc 1
		.amdhsa_reserve_flat_scratch 0
		.amdhsa_float_round_mode_32 0
		.amdhsa_float_round_mode_16_64 0
		.amdhsa_float_denorm_mode_32 3
		.amdhsa_float_denorm_mode_16_64 3
		.amdhsa_dx10_clamp 1
		.amdhsa_ieee_mode 1
		.amdhsa_fp16_overflow 0
		.amdhsa_tg_split 0
		.amdhsa_exception_fp_ieee_invalid_op 0
		.amdhsa_exception_fp_denorm_src 0
		.amdhsa_exception_fp_ieee_div_zero 0
		.amdhsa_exception_fp_ieee_overflow 0
		.amdhsa_exception_fp_ieee_underflow 0
		.amdhsa_exception_fp_ieee_inexact 0
		.amdhsa_exception_int_div_zero 0
	.end_amdhsa_kernel
	.section	.text._ZN9rocsparseL22csrmvn_adaptive_kernelIllDF16_DF16_ffEEvbT_PKS1_PjPKT0_NS_24const_host_device_scalarIT4_EES3_S7_PKT1_PKT2_SA_PT3_21rocsparse_index_base_b,"axG",@progbits,_ZN9rocsparseL22csrmvn_adaptive_kernelIllDF16_DF16_ffEEvbT_PKS1_PjPKT0_NS_24const_host_device_scalarIT4_EES3_S7_PKT1_PKT2_SA_PT3_21rocsparse_index_base_b,comdat
.Lfunc_end70:
	.size	_ZN9rocsparseL22csrmvn_adaptive_kernelIllDF16_DF16_ffEEvbT_PKS1_PjPKT0_NS_24const_host_device_scalarIT4_EES3_S7_PKT1_PKT2_SA_PT3_21rocsparse_index_base_b, .Lfunc_end70-_ZN9rocsparseL22csrmvn_adaptive_kernelIllDF16_DF16_ffEEvbT_PKS1_PjPKT0_NS_24const_host_device_scalarIT4_EES3_S7_PKT1_PKT2_SA_PT3_21rocsparse_index_base_b
                                        ; -- End function
	.section	.AMDGPU.csdata,"",@progbits
; Kernel info:
; codeLenInByte = 4116
; NumSgprs: 66
; NumVgprs: 20
; NumAgprs: 0
; TotalNumVgprs: 20
; ScratchSize: 0
; MemoryBound: 0
; FloatMode: 240
; IeeeMode: 1
; LDSByteSize: 4096 bytes/workgroup (compile time only)
; SGPRBlocks: 8
; VGPRBlocks: 2
; NumSGPRsForWavesPerEU: 66
; NumVGPRsForWavesPerEU: 20
; AccumOffset: 20
; Occupancy: 8
; WaveLimiterHint : 1
; COMPUTE_PGM_RSRC2:SCRATCH_EN: 0
; COMPUTE_PGM_RSRC2:USER_SGPR: 6
; COMPUTE_PGM_RSRC2:TRAP_HANDLER: 0
; COMPUTE_PGM_RSRC2:TGID_X_EN: 1
; COMPUTE_PGM_RSRC2:TGID_Y_EN: 0
; COMPUTE_PGM_RSRC2:TGID_Z_EN: 0
; COMPUTE_PGM_RSRC2:TIDIG_COMP_CNT: 0
; COMPUTE_PGM_RSRC3_GFX90A:ACCUM_OFFSET: 4
; COMPUTE_PGM_RSRC3_GFX90A:TG_SPLIT: 0
	.section	.text._ZN9rocsparseL27csrmvn_symm_adaptive_kernelIllDF16_DF16_ffEEvbT_S1_PKS1_NS_24const_host_device_scalarIT4_EES3_PKT0_PKT1_PKT2_S6_PT3_21rocsparse_index_base_b,"axG",@progbits,_ZN9rocsparseL27csrmvn_symm_adaptive_kernelIllDF16_DF16_ffEEvbT_S1_PKS1_NS_24const_host_device_scalarIT4_EES3_PKT0_PKT1_PKT2_S6_PT3_21rocsparse_index_base_b,comdat
	.globl	_ZN9rocsparseL27csrmvn_symm_adaptive_kernelIllDF16_DF16_ffEEvbT_S1_PKS1_NS_24const_host_device_scalarIT4_EES3_PKT0_PKT1_PKT2_S6_PT3_21rocsparse_index_base_b ; -- Begin function _ZN9rocsparseL27csrmvn_symm_adaptive_kernelIllDF16_DF16_ffEEvbT_S1_PKS1_NS_24const_host_device_scalarIT4_EES3_PKT0_PKT1_PKT2_S6_PT3_21rocsparse_index_base_b
	.p2align	8
	.type	_ZN9rocsparseL27csrmvn_symm_adaptive_kernelIllDF16_DF16_ffEEvbT_S1_PKS1_NS_24const_host_device_scalarIT4_EES3_PKT0_PKT1_PKT2_S6_PT3_21rocsparse_index_base_b,@function
_ZN9rocsparseL27csrmvn_symm_adaptive_kernelIllDF16_DF16_ffEEvbT_S1_PKS1_NS_24const_host_device_scalarIT4_EES3_PKT0_PKT1_PKT2_S6_PT3_21rocsparse_index_base_b: ; @_ZN9rocsparseL27csrmvn_symm_adaptive_kernelIllDF16_DF16_ffEEvbT_S1_PKS1_NS_24const_host_device_scalarIT4_EES3_PKT0_PKT1_PKT2_S6_PT3_21rocsparse_index_base_b
; %bb.0:
	s_load_dwordx2 s[30:31], s[4:5], 0x58
	s_load_dwordx2 s[36:37], s[4:5], 0x20
	;; [unrolled: 1-line block ×3, first 2 shown]
	s_waitcnt lgkmcnt(0)
	s_bitcmp1_b32 s31, 0
	s_cselect_b64 s[8:9], -1, 0
	s_xor_b64 s[2:3], s[8:9], -1
	s_and_b64 vcc, exec, s[8:9]
	s_cbranch_vccnz .LBB71_2
; %bb.1:
	s_load_dword s36, s[36:37], 0x0
.LBB71_2:
	s_andn2_b64 vcc, exec, s[2:3]
	s_cbranch_vccnz .LBB71_4
; %bb.3:
	s_load_dword s0, s[0:1], 0x0
.LBB71_4:
	s_waitcnt lgkmcnt(0)
	v_cmp_neq_f32_e64 s[2:3], s36, 0
	v_cmp_neq_f32_e64 s[0:1], s0, 1.0
	s_or_b64 s[0:1], s[2:3], s[0:1]
	s_andn2_b64 vcc, exec, s[0:1]
	s_cbranch_vccnz .LBB71_179
; %bb.5:
	s_load_dwordx2 s[0:1], s[4:5], 0x18
	s_ashr_i32 s7, s6, 31
	s_lshl_b64 s[2:3], s[6:7], 3
	v_lshlrev_b32_e32 v18, 2, v0
	v_mov_b32_e32 v1, 0
	s_waitcnt lgkmcnt(0)
	s_add_u32 s0, s0, s2
	s_addc_u32 s1, s1, s3
	ds_write2st64_b32 v18, v1, v1 offset1:4
	ds_write2st64_b32 v18, v1, v1 offset0:8 offset1:12
	s_waitcnt lgkmcnt(0)
	s_barrier
	s_load_dwordx4 s[24:27], s[0:1], 0x0
	s_load_dwordx8 s[16:23], s[4:5], 0x28
	s_load_dwordx2 s[14:15], s[4:5], 0x50
	s_mov_b64 s[0:1], -1
	s_waitcnt lgkmcnt(0)
	s_sub_u32 s28, s26, s24
	s_subb_u32 s29, s27, s25
	v_cmp_gt_i64_e64 s[2:3], s[28:29], 2
	s_and_b64 vcc, exec, s[2:3]
	s_cbranch_vccnz .LBB71_40
; %bb.6:
	v_pk_mov_b32 v[2:3], s[24:25], s[24:25] op_sel:[0,1]
	v_cmp_gt_i64_e32 vcc, s[26:27], v[2:3]
	v_subrev_co_u32_e64 v1, s[0:1], s30, v0
	s_mov_b32 s31, 0
	v_subb_co_u32_e64 v10, s[0:1], 0, 0, s[0:1]
	s_cbranch_vccnz .LBB71_8
; %bb.7:
	s_lshl_b64 s[0:1], s[24:25], 3
	s_add_u32 s0, s16, s0
	s_addc_u32 s1, s17, s1
	s_load_dwordx2 s[34:35], s[0:1], 0x0
	s_cbranch_execz .LBB71_9
	s_branch .LBB71_29
.LBB71_8:
                                        ; implicit-def: $sgpr34_sgpr35
.LBB71_9:
	s_lshl_b64 s[12:13], s[24:25], 3
	s_add_u32 s12, s16, s12
	s_addc_u32 s13, s17, s13
	s_waitcnt lgkmcnt(0)
	s_load_dwordx2 s[34:35], s[12:13], 0x0
	s_movk_i32 s33, 0x100
	s_add_u32 s37, s16, 8
	v_cmp_gt_u32_e64 s[0:1], s33, v0
	v_cmp_gt_u32_e64 s[2:3], 64, v0
	;; [unrolled: 1-line block ×4, first 2 shown]
	v_cmp_eq_u32_e64 s[10:11], 0, v0
	s_addc_u32 s48, s17, 0
	v_mov_b32_e32 v11, s31
	v_mov_b32_e32 v12, s23
	;; [unrolled: 1-line block ×3, first 2 shown]
	v_pk_mov_b32 v[2:3], s[26:27], s[26:27] op_sel:[0,1]
	s_waitcnt lgkmcnt(0)
	s_mov_b64 s[40:41], s[34:35]
	s_mov_b64 s[38:39], s[24:25]
	s_branch .LBB71_11
.LBB71_10:                              ;   in Loop: Header=BB71_11 Depth=1
	s_or_b64 exec, exec, s[12:13]
	s_add_u32 s38, s38, 1
	s_addc_u32 s39, s39, 0
	v_cmp_ge_i64_e32 vcc, s[38:39], v[2:3]
	s_cbranch_vccnz .LBB71_29
.LBB71_11:                              ; =>This Loop Header: Depth=1
                                        ;     Child Loop BB71_13 Depth 2
                                        ;     Child Loop BB71_28 Depth 2
	s_mov_b64 s[12:13], s[40:41]
	s_lshl_b64 s[40:41], s[38:39], 3
	s_add_u32 s40, s37, s40
	s_addc_u32 s41, s48, s41
	s_load_dwordx2 s[40:41], s[40:41], 0x0
	v_mov_b32_e32 v5, s13
	v_add_co_u32_e32 v4, vcc, s12, v1
	v_addc_co_u32_e32 v5, vcc, v5, v10, vcc
	s_waitcnt lgkmcnt(0)
	s_sub_u32 s42, s40, s30
	s_subb_u32 s43, s41, 0
	v_cmp_gt_i64_e32 vcc, s[42:43], v[4:5]
	v_mov_b32_e32 v14, 0
	s_and_saveexec_b64 s[44:45], vcc
	s_cbranch_execz .LBB71_15
; %bb.12:                               ;   in Loop: Header=BB71_11 Depth=1
	v_lshlrev_b64 v[6:7], 3, v[4:5]
	v_mov_b32_e32 v8, s19
	v_add_co_u32_e32 v6, vcc, s18, v6
	v_addc_co_u32_e32 v7, vcc, v8, v7, vcc
	v_lshlrev_b64 v[8:9], 1, v[4:5]
	v_mov_b32_e32 v14, s21
	v_add_co_u32_e32 v8, vcc, s20, v8
	v_addc_co_u32_e32 v9, vcc, v14, v9, vcc
	s_mov_b64 s[46:47], 0
	v_mov_b32_e32 v14, 0
.LBB71_13:                              ;   Parent Loop BB71_11 Depth=1
                                        ; =>  This Inner Loop Header: Depth=2
	global_load_dwordx2 v[16:17], v[6:7], off
	global_load_ushort v15, v[8:9], off
	s_waitcnt vmcnt(1)
	v_subrev_co_u32_e32 v16, vcc, s30, v16
	v_subb_co_u32_e32 v17, vcc, v17, v11, vcc
	v_lshlrev_b64 v[16:17], 1, v[16:17]
	v_add_co_u32_e32 v16, vcc, s22, v16
	v_addc_co_u32_e32 v17, vcc, v12, v17, vcc
	global_load_ushort v16, v[16:17], off
	v_add_co_u32_e32 v4, vcc, s33, v4
	v_addc_co_u32_e32 v5, vcc, 0, v5, vcc
	v_add_co_u32_e32 v6, vcc, 0x800, v6
	v_addc_co_u32_e32 v7, vcc, 0, v7, vcc
	v_add_co_u32_e32 v8, vcc, 0x200, v8
	v_cmp_le_i64_e64 s[12:13], s[42:43], v[4:5]
	v_addc_co_u32_e32 v9, vcc, 0, v9, vcc
	s_or_b64 s[46:47], s[12:13], s[46:47]
	s_waitcnt vmcnt(0)
	v_fma_mix_f32 v14, v15, v16, v14 op_sel_hi:[1,1,0]
	s_andn2_b64 exec, exec, s[46:47]
	s_cbranch_execnz .LBB71_13
; %bb.14:                               ;   in Loop: Header=BB71_11 Depth=1
	s_or_b64 exec, exec, s[46:47]
.LBB71_15:                              ;   in Loop: Header=BB71_11 Depth=1
	s_or_b64 exec, exec, s[44:45]
	ds_write_b32 v18, v14
	s_waitcnt lgkmcnt(0)
	s_barrier
	s_and_saveexec_b64 s[12:13], s[0:1]
	s_cbranch_execz .LBB71_17
; %bb.16:                               ;   in Loop: Header=BB71_11 Depth=1
	ds_read2st64_b32 v[4:5], v18 offset1:4
	ds_read2st64_b32 v[6:7], v18 offset0:8 offset1:12
	s_waitcnt lgkmcnt(0)
	v_add_f32_e32 v5, v5, v6
	v_add_f32_e32 v5, v5, v7
	;; [unrolled: 1-line block ×3, first 2 shown]
	ds_write_b32 v18, v4
.LBB71_17:                              ;   in Loop: Header=BB71_11 Depth=1
	s_or_b64 exec, exec, s[12:13]
	s_waitcnt lgkmcnt(0)
	s_barrier
	s_and_saveexec_b64 s[12:13], s[2:3]
	s_cbranch_execz .LBB71_19
; %bb.18:                               ;   in Loop: Header=BB71_11 Depth=1
	ds_read2st64_b32 v[4:5], v18 offset1:1
	ds_read2st64_b32 v[6:7], v18 offset0:2 offset1:3
	s_waitcnt lgkmcnt(0)
	v_add_f32_e32 v5, v5, v6
	v_add_f32_e32 v5, v5, v7
	;; [unrolled: 1-line block ×3, first 2 shown]
	ds_write_b32 v18, v4
.LBB71_19:                              ;   in Loop: Header=BB71_11 Depth=1
	s_or_b64 exec, exec, s[12:13]
	s_waitcnt lgkmcnt(0)
	s_barrier
	s_and_saveexec_b64 s[12:13], s[6:7]
	s_cbranch_execz .LBB71_21
; %bb.20:                               ;   in Loop: Header=BB71_11 Depth=1
	ds_read2_b32 v[4:5], v18 offset1:16
	ds_read2_b32 v[6:7], v18 offset0:32 offset1:48
	s_waitcnt lgkmcnt(0)
	v_add_f32_e32 v5, v5, v6
	v_add_f32_e32 v5, v5, v7
	;; [unrolled: 1-line block ×3, first 2 shown]
	ds_write_b32 v18, v4
.LBB71_21:                              ;   in Loop: Header=BB71_11 Depth=1
	s_or_b64 exec, exec, s[12:13]
	s_waitcnt lgkmcnt(0)
	s_barrier
	s_and_saveexec_b64 s[12:13], s[8:9]
	s_cbranch_execz .LBB71_23
; %bb.22:                               ;   in Loop: Header=BB71_11 Depth=1
	ds_read2_b32 v[4:5], v18 offset1:4
	ds_read2_b32 v[6:7], v18 offset0:8 offset1:12
	s_waitcnt lgkmcnt(0)
	v_add_f32_e32 v5, v5, v6
	v_add_f32_e32 v5, v5, v7
	v_add_f32_e32 v4, v4, v5
	ds_write_b32 v18, v4
.LBB71_23:                              ;   in Loop: Header=BB71_11 Depth=1
	s_or_b64 exec, exec, s[12:13]
	s_waitcnt lgkmcnt(0)
	s_barrier
	s_and_saveexec_b64 s[12:13], s[10:11]
	s_cbranch_execz .LBB71_25
; %bb.24:                               ;   in Loop: Header=BB71_11 Depth=1
	ds_read2_b32 v[4:5], v13 offset0:1 offset1:2
	ds_read_b32 v6, v13 offset:12
	ds_read_b32 v7, v18
	s_waitcnt lgkmcnt(2)
	v_add_f32_e32 v4, v4, v5
	s_waitcnt lgkmcnt(1)
	v_add_f32_e32 v4, v4, v6
	;; [unrolled: 2-line block ×3, first 2 shown]
	ds_write_b32 v18, v4
.LBB71_25:                              ;   in Loop: Header=BB71_11 Depth=1
	s_or_b64 exec, exec, s[12:13]
	s_waitcnt lgkmcnt(0)
	s_barrier
	s_and_saveexec_b64 s[12:13], s[10:11]
	s_cbranch_execz .LBB71_10
; %bb.26:                               ;   in Loop: Header=BB71_11 Depth=1
	s_mov_b64 s[44:45], exec
	v_mbcnt_lo_u32_b32 v4, s44, 0
	v_mbcnt_hi_u32_b32 v4, s45, v4
	v_cmp_eq_u32_e32 vcc, 0, v4
	s_and_b64 s[42:43], exec, vcc
	s_mov_b64 exec, s[42:43]
	s_cbranch_execz .LBB71_10
; %bb.27:                               ;   in Loop: Header=BB71_11 Depth=1
	s_lshl_b64 s[42:43], s[38:39], 2
	s_add_u32 s42, s14, s42
	s_addc_u32 s43, s15, s43
	global_load_dword v5, v13, s[42:43]
	ds_read_b32 v4, v13
	s_bcnt1_i32_b64 s44, s[44:45]
	v_cvt_f32_ubyte0_e32 v6, s44
	s_mov_b64 s[44:45], 0
	s_waitcnt lgkmcnt(0)
	v_mul_f32_e32 v4, s36, v4
	v_mul_f32_e32 v6, v4, v6
.LBB71_28:                              ;   Parent Loop BB71_11 Depth=1
                                        ; =>  This Inner Loop Header: Depth=2
	s_waitcnt vmcnt(0)
	v_add_f32_e32 v4, v5, v6
	global_atomic_cmpswap v4, v13, v[4:5], s[42:43] glc
	s_waitcnt vmcnt(0)
	v_cmp_eq_u32_e32 vcc, v4, v5
	s_or_b64 s[44:45], vcc, s[44:45]
	v_mov_b32_e32 v5, v4
	s_andn2_b64 exec, exec, s[44:45]
	s_cbranch_execnz .LBB71_28
	s_branch .LBB71_10
.LBB71_29:
	s_lshl_b64 s[0:1], s[26:27], 3
	s_add_u32 s0, s16, s0
	s_addc_u32 s1, s17, s1
	s_load_dwordx2 s[0:1], s[0:1], 0x0
	s_waitcnt lgkmcnt(0)
	v_mov_b32_e32 v3, s35
	v_add_co_u32_e32 v2, vcc, s34, v1
	v_addc_co_u32_e32 v3, vcc, v3, v10, vcc
	s_sub_u32 s6, s0, s30
	s_subb_u32 s7, s1, 0
	v_cmp_gt_i64_e32 vcc, s[6:7], v[2:3]
	s_and_saveexec_b64 s[8:9], vcc
	s_cbranch_execz .LBB71_39
; %bb.30:
	s_add_u32 s10, s26, -1
	s_addc_u32 s11, s27, -1
	s_add_u32 s0, s26, -2
	s_addc_u32 s1, s27, -1
	v_pk_mov_b32 v[4:5], s[24:25], s[24:25] op_sel:[0,1]
	s_cmp_lg_u64 s[0:1], s[24:25]
	v_cmp_gt_i64_e32 vcc, s[10:11], v[4:5]
	s_cselect_b64 s[0:1], -1, 0
	s_and_b64 s[0:1], vcc, s[0:1]
	v_cndmask_b32_e64 v1, 0, 1, s[0:1]
	s_mov_b64 s[12:13], 0
	v_cmp_ne_u32_e64 s[0:1], 1, v1
	v_mov_b32_e32 v1, s17
	v_mov_b32_e32 v8, s31
	;; [unrolled: 1-line block ×3, first 2 shown]
	s_branch .LBB71_32
.LBB71_31:                              ;   in Loop: Header=BB71_32 Depth=1
	s_or_b64 exec, exec, s[2:3]
	v_add_co_u32_e32 v2, vcc, 0x100, v2
	v_addc_co_u32_e32 v3, vcc, 0, v3, vcc
	v_cmp_le_i64_e32 vcc, s[6:7], v[2:3]
	s_or_b64 s[12:13], vcc, s[12:13]
	s_andn2_b64 exec, exec, s[12:13]
	s_cbranch_execz .LBB71_39
.LBB71_32:                              ; =>This Loop Header: Depth=1
                                        ;     Child Loop BB71_34 Depth 2
                                        ;     Child Loop BB71_38 Depth 2
	s_and_b64 vcc, exec, s[0:1]
	v_pk_mov_b32 v[4:5], s[24:25], s[24:25] op_sel:[0,1]
	v_pk_mov_b32 v[6:7], s[10:11], s[10:11] op_sel:[0,1]
	s_cbranch_vccnz .LBB71_36
; %bb.33:                               ;   in Loop: Header=BB71_32 Depth=1
	s_mov_b64 s[34:35], 0
	v_pk_mov_b32 v[4:5], s[24:25], s[24:25] op_sel:[0,1]
	v_pk_mov_b32 v[6:7], s[10:11], s[10:11] op_sel:[0,1]
.LBB71_34:                              ;   Parent Loop BB71_32 Depth=1
                                        ; =>  This Inner Loop Header: Depth=2
	v_add_co_u32_e32 v10, vcc, v6, v4
	v_addc_co_u32_e32 v11, vcc, v7, v5, vcc
	v_lshrrev_b32_e32 v12, 31, v11
	v_add_co_u32_e32 v10, vcc, v10, v12
	v_addc_co_u32_e32 v11, vcc, 0, v11, vcc
	v_ashrrev_i64 v[10:11], 1, v[10:11]
	v_lshlrev_b64 v[12:13], 3, v[10:11]
	v_mov_b32_e32 v14, s17
	v_add_co_u32_e32 v12, vcc, s16, v12
	v_addc_co_u32_e32 v13, vcc, v14, v13, vcc
	global_load_dwordx2 v[12:13], v[12:13], off
	v_mov_b32_e32 v14, s31
	s_waitcnt vmcnt(0)
	v_subrev_co_u32_e32 v12, vcc, s30, v12
	v_subb_co_u32_e32 v13, vcc, v13, v14, vcc
	v_cmp_gt_i64_e32 vcc, v[12:13], v[2:3]
	v_cndmask_b32_e32 v6, v6, v10, vcc
	v_cndmask_b32_e32 v7, v7, v11, vcc
	;; [unrolled: 1-line block ×3, first 2 shown]
	v_add_co_u32_e64 v10, s[2:3], -1, v6
	v_cndmask_b32_e32 v5, v11, v5, vcc
	v_addc_co_u32_e64 v11, s[2:3], -1, v7, s[2:3]
	v_cmp_ge_i64_e32 vcc, v[4:5], v[6:7]
	v_cmp_eq_u64_e64 s[2:3], v[4:5], v[10:11]
	s_or_b64 s[2:3], vcc, s[2:3]
	s_and_b64 s[2:3], exec, s[2:3]
	s_or_b64 s[34:35], s[2:3], s[34:35]
	s_andn2_b64 exec, exec, s[34:35]
	s_cbranch_execnz .LBB71_34
; %bb.35:                               ;   in Loop: Header=BB71_32 Depth=1
	s_or_b64 exec, exec, s[34:35]
.LBB71_36:                              ;   in Loop: Header=BB71_32 Depth=1
	v_lshlrev_b64 v[10:11], 3, v[6:7]
	v_add_co_u32_e32 v10, vcc, s16, v10
	v_addc_co_u32_e32 v11, vcc, v1, v11, vcc
	global_load_dwordx2 v[10:11], v[10:11], off
	v_lshlrev_b64 v[12:13], 3, v[2:3]
	v_add_co_u32_e32 v12, vcc, s18, v12
	v_addc_co_u32_e32 v13, vcc, v9, v13, vcc
	global_load_dwordx2 v[12:13], v[12:13], off
	s_waitcnt vmcnt(1)
	v_subrev_co_u32_e32 v10, vcc, s30, v10
	v_subb_co_u32_e32 v11, vcc, v11, v8, vcc
	v_cmp_gt_i64_e32 vcc, v[10:11], v[2:3]
	v_cndmask_b32_e32 v5, v7, v5, vcc
	v_cndmask_b32_e32 v4, v6, v4, vcc
	s_waitcnt vmcnt(0)
	v_subrev_co_u32_e32 v6, vcc, s30, v12
	v_subb_co_u32_e32 v7, vcc, v13, v8, vcc
	v_cmp_ne_u64_e32 vcc, v[6:7], v[4:5]
	s_and_saveexec_b64 s[2:3], vcc
	s_cbranch_execz .LBB71_31
; %bb.37:                               ;   in Loop: Header=BB71_32 Depth=1
	v_lshlrev_b64 v[10:11], 1, v[2:3]
	v_mov_b32_e32 v12, s21
	v_add_co_u32_e32 v10, vcc, s20, v10
	v_addc_co_u32_e32 v11, vcc, v12, v11, vcc
	v_lshlrev_b64 v[4:5], 1, v[4:5]
	global_load_ushort v10, v[10:11], off
	v_mov_b32_e32 v11, s23
	v_add_co_u32_e32 v4, vcc, s22, v4
	v_addc_co_u32_e32 v5, vcc, v11, v5, vcc
	global_load_ushort v11, v[4:5], off
	v_lshlrev_b64 v[6:7], 2, v[6:7]
	v_mov_b32_e32 v5, s15
	v_add_co_u32_e32 v4, vcc, s14, v6
	v_addc_co_u32_e32 v5, vcc, v5, v7, vcc
	global_load_dword v7, v[4:5], off
	s_mov_b64 s[34:35], 0
	s_waitcnt vmcnt(2)
	v_cvt_f32_f16_e32 v6, v10
	v_mul_f32_e32 v6, s36, v6
	s_waitcnt vmcnt(1)
	v_cvt_f32_f16_e32 v10, v11
	v_mul_f32_e32 v10, v6, v10
.LBB71_38:                              ;   Parent Loop BB71_32 Depth=1
                                        ; =>  This Inner Loop Header: Depth=2
	s_waitcnt vmcnt(0)
	v_add_f32_e32 v6, v7, v10
	global_atomic_cmpswap v6, v[4:5], v[6:7], off glc
	s_waitcnt vmcnt(0)
	v_cmp_eq_u32_e32 vcc, v6, v7
	s_or_b64 s[34:35], vcc, s[34:35]
	v_mov_b32_e32 v7, v6
	s_andn2_b64 exec, exec, s[34:35]
	s_cbranch_execnz .LBB71_38
	s_branch .LBB71_31
.LBB71_39:
	s_or_b64 exec, exec, s[8:9]
	s_mov_b64 s[0:1], 0
.LBB71_40:
	s_and_b64 vcc, exec, s[0:1]
	s_cbranch_vccz .LBB71_179
; %bb.41:
	s_load_dword s0, s[4:5], 0x6c
	s_mov_b32 s31, 0
	v_pk_mov_b32 v[2:3], s[28:29], s[28:29] op_sel:[0,1]
	s_mov_b32 s13, s31
	s_mov_b64 s[34:35], 0
	s_waitcnt lgkmcnt(0)
	s_and_b32 s12, s0, 0xffff
	v_cmp_lt_u64_e32 vcc, s[12:13], v[2:3]
	s_cbranch_vccnz .LBB71_43
; %bb.42:
	v_cvt_f32_u32_e32 v1, s28
	s_sub_i32 s0, 0, s28
	v_rcp_iflag_f32_e32 v1, v1
	v_mul_f32_e32 v1, 0x4f7ffffe, v1
	v_cvt_u32_f32_e32 v1, v1
	v_readfirstlane_b32 s1, v1
	s_mul_i32 s0, s0, s1
	s_mul_hi_u32 s0, s1, s0
	s_add_i32 s1, s1, s0
	s_mul_hi_u32 s0, s12, s1
	s_mul_i32 s2, s0, s28
	s_sub_i32 s2, s12, s2
	s_add_i32 s1, s0, 1
	s_sub_i32 s3, s2, s28
	s_cmp_ge_u32 s2, s28
	s_cselect_b32 s0, s1, s0
	s_cselect_b32 s2, s3, s2
	s_add_i32 s1, s0, 1
	s_cmp_ge_u32 s2, s28
	s_cselect_b32 s34, s1, s0
.LBB71_43:
	s_lshl_b64 s[0:1], s[24:25], 3
	s_add_u32 s10, s16, s0
	s_addc_u32 s11, s17, s1
	s_load_dwordx2 s[8:9], s[10:11], 0x0
	v_subrev_co_u32_e32 v2, vcc, s30, v0
	s_load_dwordx4 s[4:7], s[4:5], 0x8
	v_subb_co_u32_e64 v3, s[0:1], 0, 0, vcc
	s_waitcnt lgkmcnt(0)
	v_mov_b32_e32 v4, s9
	v_add_co_u32_e32 v6, vcc, s8, v2
	v_addc_co_u32_e32 v7, vcc, v4, v3, vcc
	v_add_co_u32_e32 v8, vcc, 0x300, v6
	v_addc_co_u32_e32 v9, vcc, 0, v7, vcc
	v_mov_b32_e32 v1, 0
	v_cmp_le_i64_e64 s[0:1], s[4:5], v[8:9]
	s_and_saveexec_b64 s[2:3], s[0:1]
	s_xor_b64 s[4:5], exec, s[2:3]
	s_cbranch_execnz .LBB71_46
; %bb.44:
	s_andn2_saveexec_b64 s[2:3], s[4:5]
	s_cbranch_execnz .LBB71_57
.LBB71_45:
	s_or_b64 exec, exec, s[2:3]
	v_cmp_gt_i64_e32 vcc, s[6:7], v[0:1]
	s_and_saveexec_b64 s[4:5], vcc
	s_cbranch_execnz .LBB71_58
	s_branch .LBB71_65
.LBB71_46:
	s_lshl_b64 s[2:3], s[26:27], 3
	s_add_u32 s2, s16, s2
	s_addc_u32 s3, s17, s3
	s_load_dwordx2 s[2:3], s[2:3], 0x0
	s_waitcnt lgkmcnt(0)
	s_sub_u32 s38, s2, s8
	s_subb_u32 s39, s3, s9
	v_cmp_gt_i64_e32 vcc, s[38:39], v[0:1]
	s_and_saveexec_b64 s[40:41], vcc
	s_cbranch_execz .LBB71_56
; %bb.47:
	s_not_b64 s[42:43], s[8:9]
	s_add_u32 s2, s2, s42
	s_addc_u32 s3, s3, s43
	v_mov_b32_e32 v2, s3
	v_sub_co_u32_e32 v4, vcc, s2, v0
	v_subbrev_co_u32_e32 v5, vcc, 0, v2, vcc
	s_mov_b64 s[2:3], 0xff
	v_cmp_lt_u64_e32 vcc, s[2:3], v[4:5]
	s_mov_b64 s[2:3], 0
                                        ; implicit-def: $vgpr12_vgpr13
                                        ; implicit-def: $vgpr2_vgpr3
	s_and_saveexec_b64 s[42:43], vcc
	s_xor_b64 s[42:43], exec, s[42:43]
	s_cbranch_execnz .LBB71_50
; %bb.48:
	s_andn2_saveexec_b64 s[42:43], s[42:43]
	s_cbranch_execnz .LBB71_53
.LBB71_49:
	s_or_b64 exec, exec, s[42:43]
	s_and_b64 exec, exec, s[2:3]
	s_cbranch_execnz .LBB71_54
	s_branch .LBB71_56
.LBB71_50:
	v_lshrrev_b64 v[2:3], 8, v[4:5]
	v_add_co_u32_e32 v4, vcc, 1, v2
	v_addc_co_u32_e32 v5, vcc, 0, v3, vcc
	v_lshlrev_b64 v[2:3], 1, v[6:7]
	v_mov_b32_e32 v14, s21
	v_add_co_u32_e32 v15, vcc, s20, v2
	v_addc_co_u32_e32 v16, vcc, v3, v14, vcc
	s_movk_i32 s2, 0x200
	v_and_b32_e32 v10, -2, v4
	v_mov_b32_e32 v11, v5
	v_add_co_u32_e32 v14, vcc, s2, v15
	s_mov_b32 s37, s36
	v_mov_b32_e32 v12, v0
	v_mov_b32_e32 v13, v0
	v_addc_co_u32_e32 v15, vcc, 0, v16, vcc
	s_mov_b64 s[46:47], 0x100
	s_mov_b64 s[44:45], 0
	v_pk_mov_b32 v[16:17], v[10:11], v[10:11] op_sel:[0,1]
	s_mov_b64 s[48:49], 0
.LBB71_51:                              ; =>This Inner Loop Header: Depth=1
	global_load_ushort v19, v[14:15], off
	global_load_ushort v20, v[14:15], off offset:-512
	v_add_lshl_u32 v22, v12, s48, 2
	s_add_u32 s48, s48, 0x200
	v_add_co_u32_e32 v14, vcc, 0x400, v14
	v_add_co_u32_e64 v16, s[2:3], -2, v16
	s_addc_u32 s49, s49, 0
	v_add_lshl_u32 v23, v13, s46, 2
	v_addc_co_u32_e64 v17, s[2:3], -1, v17, s[2:3]
	v_addc_co_u32_e32 v15, vcc, 0, v15, vcc
	s_add_u32 s46, s46, 0x200
	v_cmp_eq_u64_e32 vcc, 0, v[16:17]
	s_addc_u32 s47, s47, 0
	s_or_b64 s[44:45], vcc, s[44:45]
	s_waitcnt vmcnt(1)
	v_cvt_f32_f16_e32 v21, v19
	s_waitcnt vmcnt(0)
	v_cvt_f32_f16_e32 v20, v20
	v_pk_mul_f32 v[20:21], s[36:37], v[20:21]
	ds_write_b32 v22, v20
	ds_write_b32 v23, v21
	s_andn2_b64 exec, exec, s[44:45]
	s_cbranch_execnz .LBB71_51
; %bb.52:
	s_or_b64 exec, exec, s[44:45]
	v_cmp_ne_u64_e32 vcc, v[4:5], v[10:11]
	v_lshlrev_b64 v[12:13], 8, v[10:11]
	s_and_b64 s[2:3], vcc, exec
	s_andn2_saveexec_b64 s[42:43], s[42:43]
	s_cbranch_execz .LBB71_49
.LBB71_53:
	v_lshlrev_b64 v[2:3], 1, v[6:7]
	v_pk_mov_b32 v[12:13], 0, 0
	s_or_b64 s[2:3], s[2:3], exec
	s_or_b64 exec, exec, s[42:43]
	s_and_b64 exec, exec, s[2:3]
	s_cbranch_execz .LBB71_56
.LBB71_54:
	v_lshlrev_b64 v[4:5], 1, v[12:13]
	v_add_co_u32_e32 v2, vcc, v4, v2
	v_addc_co_u32_e32 v3, vcc, v5, v3, vcc
	v_mov_b32_e32 v4, s21
	v_add_co_u32_e32 v2, vcc, s20, v2
	v_addc_co_u32_e32 v3, vcc, v4, v3, vcc
	v_add_co_u32_e32 v4, vcc, v12, v0
	v_lshlrev_b32_e32 v10, 2, v12
	v_addc_co_u32_e32 v5, vcc, 0, v13, vcc
	v_lshl_add_u32 v10, v0, 2, v10
	s_mov_b64 s[2:3], 0
.LBB71_55:                              ; =>This Inner Loop Header: Depth=1
	global_load_ushort v11, v[2:3], off
	v_add_co_u32_e32 v2, vcc, 0x200, v2
	v_addc_co_u32_e32 v3, vcc, 0, v3, vcc
	v_add_co_u32_e32 v4, vcc, 0x100, v4
	v_addc_co_u32_e32 v5, vcc, 0, v5, vcc
	v_cmp_le_i64_e32 vcc, s[38:39], v[4:5]
	s_or_b64 s[2:3], vcc, s[2:3]
	s_waitcnt vmcnt(0)
	v_cvt_f32_f16_e32 v11, v11
	v_mul_f32_e32 v11, s36, v11
	ds_write_b32 v10, v11
	v_add_u32_e32 v10, 0x400, v10
	s_andn2_b64 exec, exec, s[2:3]
	s_cbranch_execnz .LBB71_55
.LBB71_56:
	s_or_b64 exec, exec, s[40:41]
	s_andn2_saveexec_b64 s[2:3], s[4:5]
	s_cbranch_execz .LBB71_45
.LBB71_57:
	v_lshlrev_b64 v[2:3], 1, v[6:7]
	v_mov_b32_e32 v4, s21
	v_add_co_u32_e32 v2, vcc, s20, v2
	v_addc_co_u32_e32 v3, vcc, v4, v3, vcc
	global_load_ushort v4, v[2:3], off
	global_load_ushort v5, v[2:3], off offset:512
	global_load_ushort v10, v[2:3], off offset:1024
	;; [unrolled: 1-line block ×3, first 2 shown]
	s_waitcnt vmcnt(3)
	v_cvt_f32_f16_e32 v2, v4
	s_waitcnt vmcnt(2)
	v_cvt_f32_f16_e32 v3, v5
	s_waitcnt vmcnt(1)
	v_cvt_f32_f16_e32 v4, v10
	s_waitcnt vmcnt(0)
	v_cvt_f32_f16_e32 v5, v11
	v_mul_f32_e32 v2, s36, v2
	v_mul_f32_e32 v3, s36, v3
	;; [unrolled: 1-line block ×4, first 2 shown]
	ds_write2st64_b32 v18, v2, v3 offset1:4
	ds_write2st64_b32 v18, v4, v5 offset0:8 offset1:12
	s_or_b64 exec, exec, s[2:3]
	v_cmp_gt_i64_e32 vcc, s[6:7], v[0:1]
	s_and_saveexec_b64 s[4:5], vcc
	s_cbranch_execz .LBB71_65
.LBB71_58:
	v_not_b32_e32 v3, v0
	v_not_b32_e32 v2, 0
	v_mov_b32_e32 v5, s7
	v_add_co_u32_e32 v4, vcc, s6, v3
	v_addc_co_u32_e32 v5, vcc, v2, v5, vcc
	s_mov_b64 s[2:3], 0x2ff
	v_cmp_lt_u64_e32 vcc, s[2:3], v[4:5]
	s_mov_b64 s[2:3], -1
	v_pk_mov_b32 v[2:3], v[0:1], v[0:1] op_sel:[0,1]
	s_and_saveexec_b64 s[20:21], vcc
	s_cbranch_execz .LBB71_62
; %bb.59:
	v_lshrrev_b64 v[2:3], 8, v[4:5]
	v_add_co_u32_e32 v10, vcc, 1, v2
	v_addc_co_u32_e32 v11, vcc, 0, v3, vcc
	v_or_b32_e32 v2, 0x100, v0
	v_mov_b32_e32 v3, v1
	v_and_b32_e32 v12, -4, v10
	v_mov_b32_e32 v13, v11
	v_pk_mov_b32 v[4:5], v[2:3], v[2:3] op_sel:[0,1]
	s_mov_b64 s[36:37], 0
	v_mov_b32_e32 v16, 0x1000
	v_mov_b32_e32 v17, 0
	v_pk_mov_b32 v[14:15], v[12:13], v[12:13] op_sel:[0,1]
	v_pk_mov_b32 v[2:3], v[0:1], v[0:1] op_sel:[0,1]
.LBB71_60:                              ; =>This Inner Loop Header: Depth=1
	v_lshl_add_u32 v20, v4, 2, v16
	v_add_co_u32_e32 v4, vcc, 0x400, v4
	v_add_co_u32_e64 v14, s[2:3], -4, v14
	v_addc_co_u32_e32 v5, vcc, 0, v5, vcc
	v_addc_co_u32_e64 v15, s[2:3], -1, v15, s[2:3]
	v_lshl_add_u32 v19, v2, 2, v16
	v_add_co_u32_e32 v2, vcc, 0x400, v2
	v_cmp_eq_u64_e64 s[2:3], 0, v[14:15]
	s_or_b64 s[36:37], s[2:3], s[36:37]
	v_addc_co_u32_e32 v3, vcc, 0, v3, vcc
	ds_write_b32 v19, v17
	ds_write_b32 v20, v17
	ds_write_b32 v19, v17 offset:2048
	ds_write_b32 v20, v17 offset:2048
	s_andn2_b64 exec, exec, s[36:37]
	s_cbranch_execnz .LBB71_60
; %bb.61:
	s_or_b64 exec, exec, s[36:37]
	v_lshlrev_b64 v[2:3], 8, v[12:13]
	v_cmp_ne_u64_e32 vcc, v[10:11], v[12:13]
	v_or_b32_e32 v3, 0, v3
	v_or_b32_e32 v2, v2, v0
	s_orn2_b64 s[2:3], vcc, exec
.LBB71_62:
	s_or_b64 exec, exec, s[20:21]
	s_and_b64 exec, exec, s[2:3]
	s_cbranch_execz .LBB71_65
; %bb.63:
	v_mov_b32_e32 v4, 0x1000
	v_lshl_add_u32 v4, v2, 2, v4
	s_mov_b64 s[2:3], 0
	v_mov_b32_e32 v5, 0
.LBB71_64:                              ; =>This Inner Loop Header: Depth=1
	v_add_co_u32_e32 v2, vcc, 0x100, v2
	v_addc_co_u32_e32 v3, vcc, 0, v3, vcc
	v_cmp_le_i64_e32 vcc, s[6:7], v[2:3]
	ds_write_b32 v4, v5
	s_or_b64 s[2:3], vcc, s[2:3]
	v_add_u32_e32 v4, 0x400, v4
	s_andn2_b64 exec, exec, s[2:3]
	s_cbranch_execnz .LBB71_64
.LBB71_65:
	s_or_b64 exec, exec, s[4:5]
	s_sub_u32 s4, s26, s6
	v_pk_mov_b32 v[2:3], s[6:7], s[6:7] op_sel:[0,1]
	s_subb_u32 s5, s27, s7
	v_cmp_ge_i64_e32 vcc, s[26:27], v[2:3]
	s_and_b64 s[2:3], vcc, exec
	s_cselect_b32 s5, s5, 0
	s_cselect_b32 s4, s4, 0
	s_waitcnt lgkmcnt(0)
	s_barrier
	s_and_saveexec_b64 s[2:3], s[0:1]
	s_xor_b64 s[20:21], exec, s[2:3]
	s_cbranch_execz .LBB71_84
; %bb.66:
	s_lshl_b64 s[0:1], s[26:27], 3
	s_add_u32 s0, s16, s0
	s_addc_u32 s1, s17, s1
	s_load_dwordx2 s[0:1], s[0:1], 0x0
	s_waitcnt lgkmcnt(0)
	s_sub_u32 s36, s0, s8
	s_subb_u32 s37, s1, s9
	v_cmp_gt_i64_e32 vcc, s[36:37], v[0:1]
	s_and_saveexec_b64 s[38:39], vcc
	s_cbranch_execz .LBB71_83
; %bb.67:
	s_add_u32 s40, s26, -1
	s_addc_u32 s41, s27, -1
	s_add_u32 s2, s26, -2
	s_addc_u32 s3, s27, -1
	v_pk_mov_b32 v[2:3], s[24:25], s[24:25] op_sel:[0,1]
	s_cmp_lg_u64 s[2:3], s[24:25]
	v_cmp_gt_i64_e32 vcc, s[40:41], v[2:3]
	s_cselect_b64 s[2:3], -1, 0
	s_and_b64 s[2:3], vcc, s[2:3]
	s_sub_u32 s42, s0, s30
	v_cndmask_b32_e64 v2, 0, 1, s[2:3]
	s_subb_u32 s43, s1, 0
	s_mov_b64 s[44:45], 0
	v_cmp_ne_u32_e64 s[0:1], 1, v2
	v_mov_b32_e32 v12, s17
	v_mov_b32_e32 v13, s31
	v_mov_b32_e32 v14, s19
	v_mov_b32_e32 v15, 0x1000
	s_mov_b64 s[46:47], 0
	s_branch .LBB71_70
.LBB71_68:                              ;   in Loop: Header=BB71_70 Depth=1
	s_or_b64 exec, exec, s[2:3]
.LBB71_69:                              ;   in Loop: Header=BB71_70 Depth=1
	s_or_b64 exec, exec, s[48:49]
	v_lshlrev_b64 v[2:3], 1, v[2:3]
	v_mov_b32_e32 v4, s23
	v_add_co_u32_e32 v2, vcc, s22, v2
	v_addc_co_u32_e32 v3, vcc, v4, v3, vcc
	global_load_ushort v2, v[2:3], off
	s_add_u32 s46, s46, 0x100
	s_addc_u32 s47, s47, 0
	v_mov_b32_e32 v3, s47
	v_lshlrev_b32_e32 v4, 2, v16
	s_waitcnt vmcnt(0)
	v_cvt_f32_f16_e32 v5, v2
	v_add_co_u32_e32 v2, vcc, s46, v0
	v_addc_co_u32_e32 v3, vcc, 0, v3, vcc
	v_cmp_le_i64_e32 vcc, s[36:37], v[2:3]
	s_waitcnt lgkmcnt(0)
	v_mul_f32_e32 v2, v10, v5
	s_or_b64 s[44:45], vcc, s[44:45]
	ds_write_b32 v4, v2
	s_andn2_b64 exec, exec, s[44:45]
	s_cbranch_execz .LBB71_83
.LBB71_70:                              ; =>This Loop Header: Depth=1
                                        ;     Child Loop BB71_72 Depth 2
                                        ;     Child Loop BB71_79 Depth 2
	v_mov_b32_e32 v2, s47
	v_add_co_u32_e32 v4, vcc, s46, v6
	v_addc_co_u32_e32 v5, vcc, v2, v7, vcc
	s_and_b64 vcc, exec, s[0:1]
	v_pk_mov_b32 v[8:9], s[24:25], s[24:25] op_sel:[0,1]
	v_pk_mov_b32 v[10:11], s[40:41], s[40:41] op_sel:[0,1]
	s_cbranch_vccnz .LBB71_74
; %bb.71:                               ;   in Loop: Header=BB71_70 Depth=1
	s_mov_b64 s[48:49], 0
	v_pk_mov_b32 v[8:9], s[24:25], s[24:25] op_sel:[0,1]
	v_pk_mov_b32 v[10:11], s[40:41], s[40:41] op_sel:[0,1]
.LBB71_72:                              ;   Parent Loop BB71_70 Depth=1
                                        ; =>  This Inner Loop Header: Depth=2
	v_add_co_u32_e32 v2, vcc, v10, v8
	v_addc_co_u32_e32 v3, vcc, v11, v9, vcc
	v_lshrrev_b32_e32 v16, 31, v3
	v_add_co_u32_e32 v2, vcc, v2, v16
	v_addc_co_u32_e32 v3, vcc, 0, v3, vcc
	v_ashrrev_i64 v[2:3], 1, v[2:3]
	v_lshlrev_b64 v[16:17], 3, v[2:3]
	v_mov_b32_e32 v19, s17
	v_add_co_u32_e32 v16, vcc, s16, v16
	v_addc_co_u32_e32 v17, vcc, v19, v17, vcc
	global_load_dwordx2 v[16:17], v[16:17], off
	v_mov_b32_e32 v19, s31
	s_waitcnt vmcnt(0)
	v_subrev_co_u32_e32 v16, vcc, s30, v16
	v_subb_co_u32_e32 v17, vcc, v17, v19, vcc
	v_cmp_gt_i64_e32 vcc, v[16:17], v[4:5]
	v_cndmask_b32_e32 v10, v10, v2, vcc
	v_cndmask_b32_e32 v11, v11, v3, vcc
	;; [unrolled: 1-line block ×3, first 2 shown]
	v_add_co_u32_e64 v2, s[2:3], -1, v10
	v_cndmask_b32_e32 v9, v3, v9, vcc
	v_addc_co_u32_e64 v3, s[2:3], -1, v11, s[2:3]
	v_cmp_ge_i64_e32 vcc, v[8:9], v[10:11]
	v_cmp_eq_u64_e64 s[2:3], v[8:9], v[2:3]
	s_or_b64 s[2:3], vcc, s[2:3]
	s_and_b64 s[2:3], exec, s[2:3]
	s_or_b64 s[48:49], s[2:3], s[48:49]
	s_andn2_b64 exec, exec, s[48:49]
	s_cbranch_execnz .LBB71_72
; %bb.73:                               ;   in Loop: Header=BB71_70 Depth=1
	s_or_b64 exec, exec, s[48:49]
.LBB71_74:                              ;   in Loop: Header=BB71_70 Depth=1
	v_lshlrev_b64 v[2:3], 3, v[10:11]
	v_add_co_u32_e32 v2, vcc, s16, v2
	v_addc_co_u32_e32 v3, vcc, v12, v3, vcc
	v_lshlrev_b64 v[16:17], 3, v[4:5]
	global_load_dwordx2 v[2:3], v[2:3], off
	v_add_co_u32_e32 v16, vcc, s18, v16
	v_addc_co_u32_e32 v17, vcc, v14, v17, vcc
	global_load_dwordx2 v[20:21], v[16:17], off
	v_add_co_u32_e32 v16, vcc, s46, v0
	v_cmp_le_i64_e32 vcc, s[42:43], v[4:5]
	s_waitcnt vmcnt(1)
	v_subrev_co_u32_e64 v22, s[2:3], s30, v2
	v_subb_co_u32_e64 v23, s[2:3], v3, v13, s[2:3]
	s_waitcnt vmcnt(0)
	v_subrev_co_u32_e64 v2, s[2:3], s30, v20
	v_subb_co_u32_e64 v3, s[2:3], v21, v13, s[2:3]
	v_cmp_gt_i64_e64 s[2:3], v[22:23], v[4:5]
	v_cndmask_b32_e64 v5, v11, v9, s[2:3]
	v_cndmask_b32_e64 v4, v10, v8, s[2:3]
	v_cmp_eq_u64_e64 s[2:3], v[2:3], v[4:5]
	s_or_b64 s[2:3], s[2:3], vcc
	v_lshlrev_b32_e32 v8, 2, v16
                                        ; implicit-def: $vgpr10
	s_and_saveexec_b64 s[48:49], s[2:3]
	s_xor_b64 s[2:3], exec, s[48:49]
	s_cbranch_execz .LBB71_76
; %bb.75:                               ;   in Loop: Header=BB71_70 Depth=1
	ds_read_b32 v10, v8
                                        ; implicit-def: $vgpr8
                                        ; implicit-def: $vgpr4_vgpr5
.LBB71_76:                              ;   in Loop: Header=BB71_70 Depth=1
	s_andn2_saveexec_b64 s[48:49], s[2:3]
	s_cbranch_execz .LBB71_69
; %bb.77:                               ;   in Loop: Header=BB71_70 Depth=1
	v_cmp_gt_i64_e32 vcc, s[4:5], v[2:3]
	v_cmp_le_i64_e64 s[2:3], s[26:27], v[2:3]
	s_or_b64 s[2:3], vcc, s[2:3]
	v_lshlrev_b64 v[4:5], 1, v[4:5]
                                        ; implicit-def: $vgpr10
	s_and_saveexec_b64 s[50:51], s[2:3]
	s_xor_b64 s[2:3], exec, s[50:51]
	s_cbranch_execz .LBB71_81
; %bb.78:                               ;   in Loop: Header=BB71_70 Depth=1
	v_mov_b32_e32 v9, s23
	v_add_co_u32_e32 v4, vcc, s22, v4
	v_addc_co_u32_e32 v5, vcc, v9, v5, vcc
	global_load_ushort v17, v[4:5], off
	s_waitcnt lgkmcnt(0)
	v_lshlrev_b64 v[10:11], 2, v[2:3]
	v_mov_b32_e32 v5, s15
	v_add_co_u32_e32 v4, vcc, s14, v10
	v_addc_co_u32_e32 v5, vcc, v5, v11, vcc
	global_load_dword v9, v[4:5], off
	ds_read_b32 v10, v8
	s_mov_b64 s[50:51], 0
	s_waitcnt vmcnt(1)
	v_cvt_f32_f16_e32 v8, v17
	s_waitcnt lgkmcnt(0)
	v_mul_f32_e32 v11, v10, v8
.LBB71_79:                              ;   Parent Loop BB71_70 Depth=1
                                        ; =>  This Inner Loop Header: Depth=2
	s_waitcnt vmcnt(0)
	v_add_f32_e32 v8, v9, v11
	global_atomic_cmpswap v8, v[4:5], v[8:9], off glc
	s_waitcnt vmcnt(0)
	v_cmp_eq_u32_e32 vcc, v8, v9
	s_or_b64 s[50:51], vcc, s[50:51]
	v_mov_b32_e32 v9, v8
	s_andn2_b64 exec, exec, s[50:51]
	s_cbranch_execnz .LBB71_79
; %bb.80:                               ;   in Loop: Header=BB71_70 Depth=1
	s_or_b64 exec, exec, s[50:51]
                                        ; implicit-def: $vgpr8
                                        ; implicit-def: $vgpr4_vgpr5
.LBB71_81:                              ;   in Loop: Header=BB71_70 Depth=1
	s_andn2_saveexec_b64 s[2:3], s[2:3]
	s_cbranch_execz .LBB71_68
; %bb.82:                               ;   in Loop: Header=BB71_70 Depth=1
	v_mov_b32_e32 v9, s23
	v_add_co_u32_e32 v4, vcc, s22, v4
	v_addc_co_u32_e32 v5, vcc, v9, v5, vcc
	global_load_ushort v4, v[4:5], off
	s_waitcnt lgkmcnt(0)
	ds_read_b32 v10, v8
	v_subrev_u32_e32 v5, s4, v2
	v_lshl_add_u32 v5, v5, 2, v15
	s_waitcnt vmcnt(0)
	v_cvt_f32_f16_e32 v4, v4
	s_waitcnt lgkmcnt(0)
	v_mul_f32_e32 v4, v10, v4
	ds_add_f32 v5, v4
	s_branch .LBB71_68
.LBB71_83:
	s_or_b64 exec, exec, s[38:39]
                                        ; implicit-def: $vgpr8_vgpr9
                                        ; implicit-def: $vgpr6
.LBB71_84:
	s_andn2_saveexec_b64 s[20:21], s[20:21]
	s_cbranch_execz .LBB71_134
; %bb.85:
	s_add_u32 s36, s26, -1
	s_addc_u32 s37, s27, -1
	s_add_u32 s0, s26, -2
	s_addc_u32 s1, s27, -1
	v_pk_mov_b32 v[4:5], s[24:25], s[24:25] op_sel:[0,1]
	s_cmp_eq_u64 s[0:1], s[24:25]
	v_cmp_le_i64_e32 vcc, s[36:37], v[4:5]
	s_cselect_b64 s[0:1], -1, 0
	s_or_b64 s[2:3], vcc, s[0:1]
	s_and_b64 vcc, exec, s[2:3]
	v_pk_mov_b32 v[10:11], s[36:37], s[36:37] op_sel:[0,1]
	s_cbranch_vccnz .LBB71_89
; %bb.86:
	s_mov_b64 s[38:39], 0
	v_pk_mov_b32 v[4:5], s[24:25], s[24:25] op_sel:[0,1]
	v_pk_mov_b32 v[10:11], s[36:37], s[36:37] op_sel:[0,1]
	v_mov_b32_e32 v2, s17
	v_mov_b32_e32 v3, s31
.LBB71_87:                              ; =>This Inner Loop Header: Depth=1
	v_add_co_u32_e32 v12, vcc, v10, v4
	v_addc_co_u32_e32 v13, vcc, v11, v5, vcc
	v_lshrrev_b32_e32 v14, 31, v13
	v_add_co_u32_e32 v12, vcc, v12, v14
	v_addc_co_u32_e32 v13, vcc, 0, v13, vcc
	v_ashrrev_i64 v[12:13], 1, v[12:13]
	v_lshlrev_b64 v[14:15], 3, v[12:13]
	v_add_co_u32_e32 v14, vcc, s16, v14
	v_addc_co_u32_e32 v15, vcc, v2, v15, vcc
	global_load_dwordx2 v[14:15], v[14:15], off
	s_waitcnt vmcnt(0)
	v_subrev_co_u32_e32 v14, vcc, s30, v14
	v_subb_co_u32_e32 v15, vcc, v15, v3, vcc
	v_cmp_gt_i64_e32 vcc, v[14:15], v[6:7]
	v_cndmask_b32_e32 v10, v10, v12, vcc
	v_cndmask_b32_e32 v11, v11, v13, vcc
	;; [unrolled: 1-line block ×3, first 2 shown]
	v_add_co_u32_e64 v12, s[0:1], -1, v10
	v_cndmask_b32_e32 v5, v13, v5, vcc
	v_addc_co_u32_e64 v13, s[0:1], -1, v11, s[0:1]
	v_cmp_ge_i64_e32 vcc, v[4:5], v[10:11]
	v_cmp_eq_u64_e64 s[0:1], v[4:5], v[12:13]
	s_or_b64 s[0:1], vcc, s[0:1]
	s_and_b64 s[0:1], exec, s[0:1]
	s_or_b64 s[38:39], s[0:1], s[38:39]
	s_andn2_b64 exec, exec, s[38:39]
	s_cbranch_execnz .LBB71_87
; %bb.88:
	s_or_b64 exec, exec, s[38:39]
.LBB71_89:
	v_lshlrev_b64 v[2:3], 3, v[10:11]
	v_mov_b32_e32 v12, s17
	v_add_co_u32_e32 v2, vcc, s16, v2
	v_addc_co_u32_e32 v3, vcc, v12, v3, vcc
	global_load_dwordx2 v[12:13], v[2:3], off
	v_lshlrev_b64 v[2:3], 3, v[6:7]
	v_mov_b32_e32 v14, s19
	v_add_co_u32_e32 v2, vcc, s18, v2
	v_addc_co_u32_e32 v3, vcc, v14, v3, vcc
	global_load_dwordx2 v[14:15], v[2:3], off
	v_mov_b32_e32 v16, s31
	s_xor_b64 s[2:3], s[2:3], -1
	s_lshl_b64 s[0:1], s[26:27], 3
	s_add_u32 s18, s16, s0
	s_addc_u32 s19, s17, s1
	s_waitcnt vmcnt(1)
	v_subrev_co_u32_e32 v12, vcc, s30, v12
	v_subb_co_u32_e32 v13, vcc, v13, v16, vcc
	v_cmp_gt_i64_e32 vcc, v[12:13], v[6:7]
	v_cndmask_b32_e32 v11, v11, v5, vcc
	v_cndmask_b32_e32 v10, v10, v4, vcc
	s_waitcnt vmcnt(0)
	v_subrev_co_u32_e32 v4, vcc, s30, v14
	v_subb_co_u32_e32 v5, vcc, v15, v16, vcc
	v_cmp_ne_u64_e32 vcc, v[4:5], v[10:11]
	s_and_saveexec_b64 s[38:39], vcc
	s_cbranch_execz .LBB71_97
; %bb.90:
	s_load_dwordx2 s[0:1], s[18:19], 0x0
	s_waitcnt lgkmcnt(0)
	s_sub_u32 s0, s0, s30
	s_subb_u32 s1, s1, 0
	v_cmp_gt_i64_e32 vcc, s[0:1], v[6:7]
	s_and_b64 exec, exec, vcc
	s_cbranch_execz .LBB71_97
; %bb.91:
	v_cmp_gt_i64_e32 vcc, s[4:5], v[4:5]
	v_cmp_le_i64_e64 s[0:1], s[26:27], v[4:5]
	s_or_b64 s[0:1], vcc, s[0:1]
	v_lshlrev_b64 v[10:11], 1, v[10:11]
	s_and_saveexec_b64 s[40:41], s[0:1]
	s_xor_b64 s[0:1], exec, s[40:41]
	s_cbranch_execz .LBB71_95
; %bb.92:
	v_mov_b32_e32 v14, s23
	v_add_co_u32_e32 v10, vcc, s22, v10
	v_addc_co_u32_e32 v11, vcc, v14, v11, vcc
	global_load_ushort v14, v[10:11], off
	v_lshlrev_b64 v[12:13], 2, v[4:5]
	v_mov_b32_e32 v11, s15
	v_add_co_u32_e32 v10, vcc, s14, v12
	v_addc_co_u32_e32 v11, vcc, v11, v13, vcc
	global_load_dword v13, v[10:11], off
	ds_read_b32 v12, v18
	s_mov_b64 s[40:41], 0
	s_waitcnt vmcnt(1)
	v_cvt_f32_f16_e32 v14, v14
	s_waitcnt lgkmcnt(0)
	v_mul_f32_e32 v14, v12, v14
.LBB71_93:                              ; =>This Inner Loop Header: Depth=1
	s_waitcnt vmcnt(0)
	v_add_f32_e32 v12, v13, v14
	global_atomic_cmpswap v12, v[10:11], v[12:13], off glc
	s_waitcnt vmcnt(0)
	v_cmp_eq_u32_e32 vcc, v12, v13
	s_or_b64 s[40:41], vcc, s[40:41]
	v_mov_b32_e32 v13, v12
	s_andn2_b64 exec, exec, s[40:41]
	s_cbranch_execnz .LBB71_93
; %bb.94:
	s_or_b64 exec, exec, s[40:41]
                                        ; implicit-def: $vgpr10_vgpr11
.LBB71_95:
	s_andn2_saveexec_b64 s[0:1], s[0:1]
	s_cbranch_execz .LBB71_97
; %bb.96:
	v_mov_b32_e32 v12, s23
	v_add_co_u32_e32 v10, vcc, s22, v10
	v_addc_co_u32_e32 v11, vcc, v12, v11, vcc
	global_load_ushort v10, v[10:11], off
	ds_read_b32 v11, v18
	v_subrev_u32_e32 v12, s4, v4
	v_mov_b32_e32 v13, 0x1000
	v_lshl_add_u32 v12, v12, 2, v13
	s_waitcnt vmcnt(0)
	v_cvt_f32_f16_e32 v10, v10
	s_waitcnt lgkmcnt(0)
	v_mul_f32_e32 v10, v11, v10
	ds_add_f32 v12, v10
.LBB71_97:
	s_or_b64 exec, exec, s[38:39]
	v_lshlrev_b64 v[4:5], 1, v[4:5]
	v_mov_b32_e32 v10, s23
	v_add_co_u32_e32 v4, vcc, s22, v4
	v_addc_co_u32_e32 v5, vcc, v10, v5, vcc
	global_load_ushort v5, v[4:5], off
	ds_read_b32 v12, v18
	v_add_co_u32_e32 v4, vcc, 0x100, v6
	v_cndmask_b32_e64 v13, 0, 1, s[2:3]
	v_pk_mov_b32 v[10:11], s[24:25], s[24:25] op_sel:[0,1]
	v_cmp_ne_u32_e64 s[0:1], 1, v13
	s_waitcnt vmcnt(0)
	v_cvt_f32_f16_e32 v14, v5
	v_addc_co_u32_e32 v5, vcc, 0, v7, vcc
	s_andn2_b64 vcc, exec, s[2:3]
	s_waitcnt lgkmcnt(0)
	v_mul_f32_e32 v12, v12, v14
	ds_write_b32 v18, v12
	v_pk_mov_b32 v[12:13], s[36:37], s[36:37] op_sel:[0,1]
	s_cbranch_vccnz .LBB71_101
; %bb.98:
	s_mov_b64 s[38:39], 0
	v_pk_mov_b32 v[10:11], s[24:25], s[24:25] op_sel:[0,1]
	v_pk_mov_b32 v[12:13], s[36:37], s[36:37] op_sel:[0,1]
	v_mov_b32_e32 v14, s17
	v_mov_b32_e32 v15, s31
.LBB71_99:                              ; =>This Inner Loop Header: Depth=1
	v_add_co_u32_e32 v16, vcc, v12, v10
	v_addc_co_u32_e32 v17, vcc, v13, v11, vcc
	v_lshrrev_b32_e32 v19, 31, v17
	v_add_co_u32_e32 v16, vcc, v16, v19
	v_addc_co_u32_e32 v17, vcc, 0, v17, vcc
	v_ashrrev_i64 v[16:17], 1, v[16:17]
	v_lshlrev_b64 v[20:21], 3, v[16:17]
	v_add_co_u32_e32 v20, vcc, s16, v20
	v_addc_co_u32_e32 v21, vcc, v14, v21, vcc
	global_load_dwordx2 v[20:21], v[20:21], off
	s_waitcnt vmcnt(0)
	v_subrev_co_u32_e32 v20, vcc, s30, v20
	v_subb_co_u32_e32 v21, vcc, v21, v15, vcc
	v_cmp_gt_i64_e32 vcc, v[20:21], v[4:5]
	v_cndmask_b32_e32 v12, v12, v16, vcc
	v_cndmask_b32_e32 v13, v13, v17, vcc
	;; [unrolled: 1-line block ×3, first 2 shown]
	v_add_co_u32_e64 v16, s[2:3], -1, v12
	v_cndmask_b32_e32 v11, v17, v11, vcc
	v_addc_co_u32_e64 v17, s[2:3], -1, v13, s[2:3]
	v_cmp_ge_i64_e32 vcc, v[10:11], v[12:13]
	v_cmp_eq_u64_e64 s[2:3], v[10:11], v[16:17]
	s_or_b64 s[2:3], vcc, s[2:3]
	s_and_b64 s[2:3], exec, s[2:3]
	s_or_b64 s[38:39], s[2:3], s[38:39]
	s_andn2_b64 exec, exec, s[38:39]
	s_cbranch_execnz .LBB71_99
; %bb.100:
	s_or_b64 exec, exec, s[38:39]
.LBB71_101:
	v_lshlrev_b64 v[14:15], 3, v[12:13]
	v_mov_b32_e32 v16, s17
	v_add_co_u32_e32 v14, vcc, s16, v14
	v_addc_co_u32_e32 v15, vcc, v16, v15, vcc
	global_load_dwordx2 v[16:17], v[14:15], off
	global_load_dwordx2 v[20:21], v[2:3], off offset:2048
	v_mov_b32_e32 v19, s31
	s_waitcnt vmcnt(1)
	v_subrev_co_u32_e32 v14, vcc, s30, v16
	v_subb_co_u32_e32 v15, vcc, v17, v19, vcc
	v_cmp_gt_i64_e32 vcc, v[14:15], v[4:5]
	v_cndmask_b32_e32 v13, v13, v11, vcc
	v_cndmask_b32_e32 v12, v12, v10, vcc
	s_waitcnt vmcnt(0)
	v_subrev_co_u32_e32 v10, vcc, s30, v20
	v_subb_co_u32_e32 v11, vcc, v21, v19, vcc
	v_cmp_ne_u64_e32 vcc, v[10:11], v[12:13]
	s_and_saveexec_b64 s[38:39], vcc
	s_cbranch_execz .LBB71_109
; %bb.102:
	s_load_dwordx2 s[2:3], s[18:19], 0x0
	s_waitcnt lgkmcnt(0)
	s_sub_u32 s2, s2, s30
	s_subb_u32 s3, s3, 0
	v_cmp_gt_i64_e32 vcc, s[2:3], v[4:5]
	s_and_b64 exec, exec, vcc
	s_cbranch_execz .LBB71_109
; %bb.103:
	v_cmp_gt_i64_e32 vcc, s[4:5], v[10:11]
	v_cmp_le_i64_e64 s[2:3], s[26:27], v[10:11]
	s_or_b64 s[2:3], vcc, s[2:3]
	v_lshlrev_b64 v[4:5], 1, v[12:13]
	s_and_saveexec_b64 s[40:41], s[2:3]
	s_xor_b64 s[2:3], exec, s[40:41]
	s_cbranch_execz .LBB71_107
; %bb.104:
	v_mov_b32_e32 v14, s23
	v_add_co_u32_e32 v4, vcc, s22, v4
	v_addc_co_u32_e32 v5, vcc, v14, v5, vcc
	global_load_ushort v14, v[4:5], off
	v_lshlrev_b64 v[12:13], 2, v[10:11]
	v_mov_b32_e32 v5, s15
	v_add_co_u32_e32 v4, vcc, s14, v12
	v_addc_co_u32_e32 v5, vcc, v5, v13, vcc
	global_load_dword v13, v[4:5], off
	ds_read_b32 v12, v18 offset:1024
	s_mov_b64 s[40:41], 0
	s_waitcnt vmcnt(1)
	v_cvt_f32_f16_e32 v14, v14
	s_waitcnt lgkmcnt(0)
	v_mul_f32_e32 v14, v12, v14
.LBB71_105:                             ; =>This Inner Loop Header: Depth=1
	s_waitcnt vmcnt(0)
	v_add_f32_e32 v12, v13, v14
	global_atomic_cmpswap v12, v[4:5], v[12:13], off glc
	s_waitcnt vmcnt(0)
	v_cmp_eq_u32_e32 vcc, v12, v13
	s_or_b64 s[40:41], vcc, s[40:41]
	v_mov_b32_e32 v13, v12
	s_andn2_b64 exec, exec, s[40:41]
	s_cbranch_execnz .LBB71_105
; %bb.106:
	s_or_b64 exec, exec, s[40:41]
                                        ; implicit-def: $vgpr4_vgpr5
.LBB71_107:
	s_andn2_saveexec_b64 s[2:3], s[2:3]
	s_cbranch_execz .LBB71_109
; %bb.108:
	v_mov_b32_e32 v12, s23
	v_add_co_u32_e32 v4, vcc, s22, v4
	v_addc_co_u32_e32 v5, vcc, v12, v5, vcc
	global_load_ushort v4, v[4:5], off
	ds_read_b32 v5, v18 offset:1024
	v_subrev_u32_e32 v12, s4, v10
	v_mov_b32_e32 v13, 0x1000
	v_lshl_add_u32 v12, v12, 2, v13
	s_waitcnt vmcnt(0)
	v_cvt_f32_f16_e32 v4, v4
	s_waitcnt lgkmcnt(0)
	v_mul_f32_e32 v4, v5, v4
	ds_add_f32 v12, v4
.LBB71_109:
	s_or_b64 exec, exec, s[38:39]
	v_lshlrev_b64 v[4:5], 1, v[10:11]
	v_mov_b32_e32 v10, s23
	v_add_co_u32_e32 v4, vcc, s22, v4
	v_addc_co_u32_e32 v5, vcc, v10, v5, vcc
	global_load_ushort v5, v[4:5], off
	ds_read_b32 v12, v18 offset:1024
	v_add_co_u32_e32 v4, vcc, 0x200, v6
	v_pk_mov_b32 v[10:11], s[24:25], s[24:25] op_sel:[0,1]
	s_waitcnt vmcnt(0)
	v_cvt_f32_f16_e32 v6, v5
	v_addc_co_u32_e32 v5, vcc, 0, v7, vcc
	s_and_b64 vcc, exec, s[0:1]
	s_waitcnt lgkmcnt(0)
	v_mul_f32_e32 v6, v12, v6
	ds_write_b32 v18, v6 offset:1024
	v_pk_mov_b32 v[6:7], s[36:37], s[36:37] op_sel:[0,1]
	s_cbranch_vccnz .LBB71_113
; %bb.110:
	s_mov_b64 s[38:39], 0
	v_pk_mov_b32 v[10:11], s[24:25], s[24:25] op_sel:[0,1]
	v_pk_mov_b32 v[6:7], s[36:37], s[36:37] op_sel:[0,1]
	v_mov_b32_e32 v12, s17
	v_mov_b32_e32 v13, s31
.LBB71_111:                             ; =>This Inner Loop Header: Depth=1
	v_add_co_u32_e32 v14, vcc, v6, v10
	v_addc_co_u32_e32 v15, vcc, v7, v11, vcc
	v_lshrrev_b32_e32 v16, 31, v15
	v_add_co_u32_e32 v14, vcc, v14, v16
	v_addc_co_u32_e32 v15, vcc, 0, v15, vcc
	v_ashrrev_i64 v[14:15], 1, v[14:15]
	v_lshlrev_b64 v[16:17], 3, v[14:15]
	v_add_co_u32_e32 v16, vcc, s16, v16
	v_addc_co_u32_e32 v17, vcc, v12, v17, vcc
	global_load_dwordx2 v[16:17], v[16:17], off
	s_waitcnt vmcnt(0)
	v_subrev_co_u32_e32 v16, vcc, s30, v16
	v_subb_co_u32_e32 v17, vcc, v17, v13, vcc
	v_cmp_gt_i64_e32 vcc, v[16:17], v[4:5]
	v_cndmask_b32_e32 v6, v6, v14, vcc
	v_cndmask_b32_e32 v7, v7, v15, vcc
	;; [unrolled: 1-line block ×3, first 2 shown]
	v_add_co_u32_e64 v14, s[2:3], -1, v6
	v_cndmask_b32_e32 v11, v15, v11, vcc
	v_addc_co_u32_e64 v15, s[2:3], -1, v7, s[2:3]
	v_cmp_ge_i64_e32 vcc, v[10:11], v[6:7]
	v_cmp_eq_u64_e64 s[2:3], v[10:11], v[14:15]
	s_or_b64 s[2:3], vcc, s[2:3]
	s_and_b64 s[2:3], exec, s[2:3]
	s_or_b64 s[38:39], s[2:3], s[38:39]
	s_andn2_b64 exec, exec, s[38:39]
	s_cbranch_execnz .LBB71_111
; %bb.112:
	s_or_b64 exec, exec, s[38:39]
.LBB71_113:
	v_lshlrev_b64 v[12:13], 3, v[6:7]
	v_mov_b32_e32 v14, s17
	v_add_co_u32_e32 v12, vcc, s16, v12
	v_addc_co_u32_e32 v13, vcc, v14, v13, vcc
	global_load_dwordx2 v[12:13], v[12:13], off
	v_add_co_u32_e32 v14, vcc, 0x1000, v2
	v_addc_co_u32_e32 v15, vcc, 0, v3, vcc
	global_load_dwordx2 v[14:15], v[14:15], off
	v_mov_b32_e32 v16, s31
	s_waitcnt vmcnt(1)
	v_subrev_co_u32_e32 v12, vcc, s30, v12
	v_subb_co_u32_e32 v13, vcc, v13, v16, vcc
	v_cmp_gt_i64_e32 vcc, v[12:13], v[4:5]
	v_cndmask_b32_e32 v11, v7, v11, vcc
	v_cndmask_b32_e32 v10, v6, v10, vcc
	s_waitcnt vmcnt(0)
	v_subrev_co_u32_e32 v6, vcc, s30, v14
	v_subb_co_u32_e32 v7, vcc, v15, v16, vcc
	v_cmp_ne_u64_e32 vcc, v[6:7], v[10:11]
	s_and_saveexec_b64 s[38:39], vcc
	s_cbranch_execz .LBB71_121
; %bb.114:
	s_load_dwordx2 s[2:3], s[18:19], 0x0
	s_waitcnt lgkmcnt(0)
	s_sub_u32 s2, s2, s30
	s_subb_u32 s3, s3, 0
	v_cmp_gt_i64_e32 vcc, s[2:3], v[4:5]
	s_and_b64 exec, exec, vcc
	s_cbranch_execz .LBB71_121
; %bb.115:
	v_cmp_gt_i64_e32 vcc, s[4:5], v[6:7]
	v_cmp_le_i64_e64 s[2:3], s[26:27], v[6:7]
	s_or_b64 s[2:3], vcc, s[2:3]
	v_lshlrev_b64 v[4:5], 1, v[10:11]
	s_and_saveexec_b64 s[40:41], s[2:3]
	s_xor_b64 s[2:3], exec, s[40:41]
	s_cbranch_execz .LBB71_119
; %bb.116:
	v_mov_b32_e32 v12, s23
	v_add_co_u32_e32 v4, vcc, s22, v4
	v_addc_co_u32_e32 v5, vcc, v12, v5, vcc
	global_load_ushort v12, v[4:5], off
	v_lshlrev_b64 v[10:11], 2, v[6:7]
	v_mov_b32_e32 v5, s15
	v_add_co_u32_e32 v4, vcc, s14, v10
	v_addc_co_u32_e32 v5, vcc, v5, v11, vcc
	global_load_dword v11, v[4:5], off
	ds_read_b32 v10, v18 offset:2048
	s_mov_b64 s[40:41], 0
	s_waitcnt vmcnt(1)
	v_cvt_f32_f16_e32 v12, v12
	s_waitcnt lgkmcnt(0)
	v_mul_f32_e32 v12, v10, v12
.LBB71_117:                             ; =>This Inner Loop Header: Depth=1
	s_waitcnt vmcnt(0)
	v_add_f32_e32 v10, v11, v12
	global_atomic_cmpswap v10, v[4:5], v[10:11], off glc
	s_waitcnt vmcnt(0)
	v_cmp_eq_u32_e32 vcc, v10, v11
	s_or_b64 s[40:41], vcc, s[40:41]
	v_mov_b32_e32 v11, v10
	s_andn2_b64 exec, exec, s[40:41]
	s_cbranch_execnz .LBB71_117
; %bb.118:
	s_or_b64 exec, exec, s[40:41]
                                        ; implicit-def: $vgpr4_vgpr5
.LBB71_119:
	s_andn2_saveexec_b64 s[2:3], s[2:3]
	s_cbranch_execz .LBB71_121
; %bb.120:
	v_mov_b32_e32 v10, s23
	v_add_co_u32_e32 v4, vcc, s22, v4
	v_addc_co_u32_e32 v5, vcc, v10, v5, vcc
	global_load_ushort v4, v[4:5], off
	ds_read_b32 v5, v18 offset:2048
	v_subrev_u32_e32 v10, s4, v6
	v_mov_b32_e32 v11, 0x1000
	v_lshl_add_u32 v10, v10, 2, v11
	s_waitcnt vmcnt(0)
	v_cvt_f32_f16_e32 v4, v4
	s_waitcnt lgkmcnt(0)
	v_mul_f32_e32 v4, v5, v4
	ds_add_f32 v10, v4
.LBB71_121:
	s_or_b64 exec, exec, s[38:39]
	v_lshlrev_b64 v[4:5], 1, v[6:7]
	v_mov_b32_e32 v6, s23
	v_add_co_u32_e32 v4, vcc, s22, v4
	v_addc_co_u32_e32 v5, vcc, v6, v5, vcc
	global_load_ushort v4, v[4:5], off
	ds_read_b32 v6, v18 offset:2048
	s_and_b64 vcc, exec, s[0:1]
	s_waitcnt vmcnt(0)
	v_cvt_f32_f16_e32 v7, v4
	v_pk_mov_b32 v[4:5], s[24:25], s[24:25] op_sel:[0,1]
	s_waitcnt lgkmcnt(0)
	v_mul_f32_e32 v6, v6, v7
	ds_write_b32 v18, v6 offset:2048
	v_pk_mov_b32 v[6:7], s[36:37], s[36:37] op_sel:[0,1]
	s_cbranch_vccnz .LBB71_125
; %bb.122:
	s_mov_b64 s[2:3], 0
	v_pk_mov_b32 v[4:5], s[24:25], s[24:25] op_sel:[0,1]
	v_pk_mov_b32 v[6:7], s[36:37], s[36:37] op_sel:[0,1]
	v_mov_b32_e32 v10, s17
	v_mov_b32_e32 v11, s31
.LBB71_123:                             ; =>This Inner Loop Header: Depth=1
	v_add_co_u32_e32 v12, vcc, v6, v4
	v_addc_co_u32_e32 v13, vcc, v7, v5, vcc
	v_lshrrev_b32_e32 v14, 31, v13
	v_add_co_u32_e32 v12, vcc, v12, v14
	v_addc_co_u32_e32 v13, vcc, 0, v13, vcc
	v_ashrrev_i64 v[12:13], 1, v[12:13]
	v_lshlrev_b64 v[14:15], 3, v[12:13]
	v_add_co_u32_e32 v14, vcc, s16, v14
	v_addc_co_u32_e32 v15, vcc, v10, v15, vcc
	global_load_dwordx2 v[14:15], v[14:15], off
	s_waitcnt vmcnt(0)
	v_subrev_co_u32_e32 v14, vcc, s30, v14
	v_subb_co_u32_e32 v15, vcc, v15, v11, vcc
	v_cmp_gt_i64_e32 vcc, v[14:15], v[8:9]
	v_cndmask_b32_e32 v6, v6, v12, vcc
	v_cndmask_b32_e32 v7, v7, v13, vcc
	;; [unrolled: 1-line block ×3, first 2 shown]
	v_add_co_u32_e64 v12, s[0:1], -1, v6
	v_cndmask_b32_e32 v5, v13, v5, vcc
	v_addc_co_u32_e64 v13, s[0:1], -1, v7, s[0:1]
	v_cmp_ge_i64_e32 vcc, v[4:5], v[6:7]
	v_cmp_eq_u64_e64 s[0:1], v[4:5], v[12:13]
	s_or_b64 s[0:1], vcc, s[0:1]
	s_and_b64 s[0:1], exec, s[0:1]
	s_or_b64 s[2:3], s[0:1], s[2:3]
	s_andn2_b64 exec, exec, s[2:3]
	s_cbranch_execnz .LBB71_123
; %bb.124:
	s_or_b64 exec, exec, s[2:3]
.LBB71_125:
	v_lshlrev_b64 v[10:11], 3, v[6:7]
	v_mov_b32_e32 v12, s17
	v_add_co_u32_e32 v10, vcc, s16, v10
	v_addc_co_u32_e32 v11, vcc, v12, v11, vcc
	global_load_dwordx2 v[10:11], v[10:11], off
	v_add_co_u32_e32 v2, vcc, 0x1000, v2
	v_addc_co_u32_e32 v3, vcc, 0, v3, vcc
	global_load_dwordx2 v[2:3], v[2:3], off offset:2048
	v_mov_b32_e32 v12, s31
	s_waitcnt vmcnt(1)
	v_subrev_co_u32_e32 v10, vcc, s30, v10
	v_subb_co_u32_e32 v11, vcc, v11, v12, vcc
	v_cmp_gt_i64_e32 vcc, v[10:11], v[8:9]
	v_cndmask_b32_e32 v5, v7, v5, vcc
	v_cndmask_b32_e32 v4, v6, v4, vcc
	s_waitcnt vmcnt(0)
	v_subrev_co_u32_e32 v2, vcc, s30, v2
	v_subb_co_u32_e32 v3, vcc, v3, v12, vcc
	v_cmp_ne_u64_e32 vcc, v[2:3], v[4:5]
	s_and_saveexec_b64 s[2:3], vcc
	s_cbranch_execz .LBB71_133
; %bb.126:
	s_load_dwordx2 s[0:1], s[18:19], 0x0
	s_waitcnt lgkmcnt(0)
	s_sub_u32 s0, s0, s30
	s_subb_u32 s1, s1, 0
	v_cmp_gt_i64_e32 vcc, s[0:1], v[8:9]
	s_and_b64 exec, exec, vcc
	s_cbranch_execz .LBB71_133
; %bb.127:
	v_cmp_gt_i64_e32 vcc, s[4:5], v[2:3]
	v_cmp_le_i64_e64 s[0:1], s[26:27], v[2:3]
	s_or_b64 s[0:1], vcc, s[0:1]
	v_lshlrev_b64 v[4:5], 1, v[4:5]
	s_and_saveexec_b64 s[18:19], s[0:1]
	s_xor_b64 s[0:1], exec, s[18:19]
	s_cbranch_execz .LBB71_131
; %bb.128:
	v_mov_b32_e32 v8, s23
	v_add_co_u32_e32 v4, vcc, s22, v4
	v_addc_co_u32_e32 v5, vcc, v8, v5, vcc
	global_load_ushort v8, v[4:5], off
	v_lshlrev_b64 v[6:7], 2, v[2:3]
	v_mov_b32_e32 v5, s15
	v_add_co_u32_e32 v4, vcc, s14, v6
	v_addc_co_u32_e32 v5, vcc, v5, v7, vcc
	global_load_dword v7, v[4:5], off
	ds_read_b32 v6, v18 offset:3072
	s_mov_b64 s[18:19], 0
	s_waitcnt vmcnt(1)
	v_cvt_f32_f16_e32 v8, v8
	s_waitcnt lgkmcnt(0)
	v_mul_f32_e32 v8, v6, v8
.LBB71_129:                             ; =>This Inner Loop Header: Depth=1
	s_waitcnt vmcnt(0)
	v_add_f32_e32 v6, v7, v8
	global_atomic_cmpswap v6, v[4:5], v[6:7], off glc
	s_waitcnt vmcnt(0)
	v_cmp_eq_u32_e32 vcc, v6, v7
	s_or_b64 s[18:19], vcc, s[18:19]
	v_mov_b32_e32 v7, v6
	s_andn2_b64 exec, exec, s[18:19]
	s_cbranch_execnz .LBB71_129
; %bb.130:
	s_or_b64 exec, exec, s[18:19]
                                        ; implicit-def: $vgpr4_vgpr5
.LBB71_131:
	s_andn2_saveexec_b64 s[0:1], s[0:1]
	s_cbranch_execz .LBB71_133
; %bb.132:
	v_mov_b32_e32 v6, s23
	v_add_co_u32_e32 v4, vcc, s22, v4
	v_addc_co_u32_e32 v5, vcc, v6, v5, vcc
	global_load_ushort v4, v[4:5], off
	ds_read_b32 v5, v18 offset:3072
	v_subrev_u32_e32 v6, s4, v2
	v_mov_b32_e32 v7, 0x1000
	v_lshl_add_u32 v6, v6, 2, v7
	s_waitcnt vmcnt(0)
	v_cvt_f32_f16_e32 v4, v4
	s_waitcnt lgkmcnt(0)
	v_mul_f32_e32 v4, v5, v4
	ds_add_f32 v6, v4
.LBB71_133:
	s_or_b64 exec, exec, s[2:3]
	v_lshlrev_b64 v[2:3], 1, v[2:3]
	v_mov_b32_e32 v4, s23
	v_add_co_u32_e32 v2, vcc, s22, v2
	v_addc_co_u32_e32 v3, vcc, v4, v3, vcc
	global_load_ushort v2, v[2:3], off
	ds_read_b32 v3, v18 offset:3072
	s_waitcnt vmcnt(0)
	v_cvt_f32_f16_e32 v2, v2
	s_waitcnt lgkmcnt(0)
	v_mul_f32_e32 v2, v3, v2
	ds_write_b32 v18, v2 offset:3072
.LBB71_134:
	s_or_b64 exec, exec, s[20:21]
	v_pk_mov_b32 v[2:3], s[6:7], s[6:7] op_sel:[0,1]
	v_cmp_lt_i64_e32 vcc, s[26:27], v[2:3]
	s_and_b64 s[0:1], vcc, exec
	s_cselect_b32 s18, s26, s6
	s_cselect_b32 s0, s27, s7
	s_sub_u32 s2, s18, s28
	s_subb_u32 s3, s0, s29
	v_cmp_gt_i64_e32 vcc, s[2:3], v[0:1]
	s_waitcnt lgkmcnt(0)
	s_barrier
	s_and_saveexec_b64 s[0:1], vcc
	s_cbranch_execz .LBB71_139
; %bb.135:
	s_lshl_b64 s[4:5], s[4:5], 2
	s_add_u32 s19, s14, s4
	s_addc_u32 s6, s15, s5
	s_mov_b64 s[4:5], 0
	v_mov_b32_e32 v8, s6
	v_mov_b32_e32 v9, 0x1000
	v_pk_mov_b32 v[2:3], v[0:1], v[0:1] op_sel:[0,1]
.LBB71_136:                             ; =>This Loop Header: Depth=1
                                        ;     Child Loop BB71_137 Depth 2
	v_lshlrev_b64 v[4:5], 2, v[2:3]
	v_add_co_u32_e32 v4, vcc, s19, v4
	v_addc_co_u32_e32 v5, vcc, v8, v5, vcc
	global_load_dword v7, v[4:5], off
	v_lshl_add_u32 v6, v2, 2, v9
	ds_read_b32 v10, v6
	s_mov_b64 s[6:7], 0
.LBB71_137:                             ;   Parent Loop BB71_136 Depth=1
                                        ; =>  This Inner Loop Header: Depth=2
	s_waitcnt vmcnt(0) lgkmcnt(0)
	v_add_f32_e32 v6, v7, v10
	global_atomic_cmpswap v6, v[4:5], v[6:7], off glc
	s_waitcnt vmcnt(0)
	v_cmp_eq_u32_e32 vcc, v6, v7
	s_or_b64 s[6:7], vcc, s[6:7]
	v_mov_b32_e32 v7, v6
	s_andn2_b64 exec, exec, s[6:7]
	s_cbranch_execnz .LBB71_137
; %bb.138:                              ;   in Loop: Header=BB71_136 Depth=1
	s_or_b64 exec, exec, s[6:7]
	v_add_co_u32_e32 v2, vcc, 0x100, v2
	v_addc_co_u32_e32 v3, vcc, 0, v3, vcc
	v_cmp_le_i64_e32 vcc, s[2:3], v[2:3]
	s_or_b64 s[4:5], vcc, s[4:5]
	s_andn2_b64 exec, exec, s[4:5]
	s_cbranch_execnz .LBB71_136
.LBB71_139:
	s_or_b64 exec, exec, s[0:1]
	s_add_i32 s0, s34, -1
	s_ashr_i32 s1, s0, 1
	s_or_b32 s0, s1, s0
	s_ashr_i32 s1, s0, 2
	s_or_b32 s0, s1, s0
	;; [unrolled: 2-line block ×5, first 2 shown]
	s_add_i32 s3, s3, 1
	s_ashr_i32 s20, s3, 1
	v_mov_b32_e32 v2, s25
	v_add_co_u32_e32 v6, vcc, s24, v0
	v_addc_co_u32_e32 v7, vcc, 0, v2, vcc
	s_cmp_gt_i32 s20, 1
	s_mov_b64 s[0:1], -1
	s_barrier
	s_cbranch_scc1 .LBB71_150
; %bb.140:
	v_cmp_gt_i64_e32 vcc, s[26:27], v[6:7]
	s_and_saveexec_b64 s[0:1], vcc
	s_cbranch_execz .LBB71_149
; %bb.141:
	s_sub_i32 s4, s18, s26
	s_lshl_b32 s4, s4, 2
	s_add_i32 s21, s4, 0x1000
	s_lshl_b32 s4, s8, 2
	s_sub_i32 s22, 0, s4
	s_mov_b64 s[4:5], 0
	v_mov_b32_e32 v12, s17
	v_mov_b32_e32 v13, s15
	;; [unrolled: 1-line block ×3, first 2 shown]
	v_pk_mov_b32 v[8:9], v[6:7], v[6:7] op_sel:[0,1]
.LBB71_142:                             ; =>This Loop Header: Depth=1
                                        ;     Child Loop BB71_144 Depth 2
                                        ;     Child Loop BB71_147 Depth 2
	v_lshlrev_b64 v[2:3], 3, v[8:9]
	v_add_co_u32_e32 v2, vcc, s16, v2
	v_addc_co_u32_e32 v3, vcc, v12, v3, vcc
	global_load_dwordx4 v[2:5], v[2:3], off
	v_mov_b32_e32 v15, 0
	s_waitcnt vmcnt(0)
	v_cmp_lt_i64_e32 vcc, v[2:3], v[4:5]
	s_and_saveexec_b64 s[6:7], vcc
	s_cbranch_execz .LBB71_146
; %bb.143:                              ;   in Loop: Header=BB71_142 Depth=1
	v_mov_b32_e32 v11, s9
	v_subrev_co_u32_e32 v4, vcc, s8, v4
	v_subb_co_u32_e32 v5, vcc, v5, v11, vcc
	v_subrev_co_u32_e32 v10, vcc, s8, v2
	v_subb_co_u32_e32 v11, vcc, v3, v11, vcc
	v_lshl_add_u32 v2, v2, 2, s22
	s_mov_b64 s[18:19], 0
	v_mov_b32_e32 v15, 0
.LBB71_144:                             ;   Parent Loop BB71_142 Depth=1
                                        ; =>  This Inner Loop Header: Depth=2
	ds_read_b32 v3, v2
	v_add_co_u32_e32 v10, vcc, 1, v10
	v_addc_co_u32_e32 v11, vcc, 0, v11, vcc
	v_cmp_ge_i64_e32 vcc, v[10:11], v[4:5]
	v_add_u32_e32 v2, 4, v2
	s_or_b64 s[18:19], vcc, s[18:19]
	s_waitcnt lgkmcnt(0)
	v_add_f32_e32 v15, v15, v3
	s_andn2_b64 exec, exec, s[18:19]
	s_cbranch_execnz .LBB71_144
; %bb.145:                              ;   in Loop: Header=BB71_142 Depth=1
	s_or_b64 exec, exec, s[18:19]
.LBB71_146:                             ;   in Loop: Header=BB71_142 Depth=1
	s_or_b64 exec, exec, s[6:7]
	v_lshlrev_b64 v[2:3], 2, v[8:9]
	v_add_co_u32_e32 v2, vcc, s14, v2
	v_addc_co_u32_e32 v3, vcc, v13, v3, vcc
	global_load_dword v5, v[2:3], off
	v_lshl_add_u32 v4, v8, 2, s21
	ds_read_b32 v4, v4
	s_mov_b64 s[6:7], 0
	s_waitcnt lgkmcnt(0)
	v_add_f32_e32 v10, v15, v4
.LBB71_147:                             ;   Parent Loop BB71_142 Depth=1
                                        ; =>  This Inner Loop Header: Depth=2
	s_waitcnt vmcnt(0)
	v_add_f32_e32 v4, v5, v10
	global_atomic_cmpswap v4, v[2:3], v[4:5], off glc
	s_waitcnt vmcnt(0)
	v_cmp_eq_u32_e32 vcc, v4, v5
	s_or_b64 s[6:7], vcc, s[6:7]
	v_mov_b32_e32 v5, v4
	s_andn2_b64 exec, exec, s[6:7]
	s_cbranch_execnz .LBB71_147
; %bb.148:                              ;   in Loop: Header=BB71_142 Depth=1
	s_or_b64 exec, exec, s[6:7]
	v_add_co_u32_e32 v8, vcc, s12, v8
	v_addc_co_u32_e32 v9, vcc, v9, v14, vcc
	v_cmp_le_i64_e32 vcc, s[26:27], v[8:9]
	s_or_b64 s[4:5], vcc, s[4:5]
	s_andn2_b64 exec, exec, s[4:5]
	s_cbranch_execnz .LBB71_142
.LBB71_149:
	s_or_b64 exec, exec, s[0:1]
	s_mov_b64 s[0:1], 0
.LBB71_150:
	s_andn2_b64 vcc, exec, s[0:1]
	s_cbranch_vccnz .LBB71_179
; %bb.151:
	v_cvt_f32_u32_e32 v14, s20
	s_sub_i32 s6, 0, s20
	v_mov_b32_e32 v11, 0
	v_mov_b32_e32 v4, s11
	v_rcp_iflag_f32_e32 v2, v14
	v_mov_b32_e32 v12, s9
	v_mul_f32_e32 v2, 0x4f7ffffe, v2
	v_cvt_u32_f32_e32 v2, v2
	v_mul_lo_u32 v3, s6, v2
	v_mul_hi_u32 v3, v2, v3
	v_add_u32_e32 v2, v2, v3
	v_mul_hi_u32 v2, v0, v2
	v_mul_lo_u32 v3, v2, s20
	v_sub_u32_e32 v3, v0, v3
	v_add_u32_e32 v5, 1, v2
	v_cmp_le_u32_e32 vcc, s20, v3
	v_cndmask_b32_e32 v2, v2, v5, vcc
	v_subrev_u32_e32 v5, s20, v3
	v_cndmask_b32_e32 v3, v3, v5, vcc
	v_add_u32_e32 v5, 1, v2
	v_cmp_le_u32_e32 vcc, s20, v3
	v_cndmask_b32_e32 v10, v2, v5, vcc
	v_lshlrev_b64 v[2:3], 3, v[10:11]
	v_add_co_u32_e32 v2, vcc, s10, v2
	v_addc_co_u32_e32 v3, vcc, v4, v3, vcc
	global_load_dwordx4 v[2:5], v[2:3], off
	s_waitcnt vmcnt(0)
	v_subrev_co_u32_e32 v8, vcc, s8, v2
	v_subb_co_u32_e32 v9, vcc, v3, v12, vcc
	v_subrev_co_u32_e32 v16, vcc, s8, v4
	v_subb_co_u32_e32 v17, vcc, v5, v12, vcc
	v_sub_co_u32_e32 v3, vcc, v16, v8
	v_subb_co_u32_e32 v13, vcc, v17, v9, vcc
	v_mov_b32_e32 v12, v11
	v_cmp_ne_u64_e32 vcc, 0, v[12:13]
                                        ; implicit-def: $vgpr4_vgpr5
	s_and_saveexec_b64 s[0:1], vcc
	s_xor_b64 s[4:5], exec, s[0:1]
	s_cbranch_execz .LBB71_153
; %bb.152:
	v_cvt_f32_ubyte0_e32 v4, 0
	v_madmk_f32 v4, v4, 0x4f800000, v14
	v_rcp_f32_e32 v4, v4
	s_sub_u32 s0, 0, s20
	s_subb_u32 s1, 0, 0
	v_mul_f32_e32 v4, 0x5f7ffffc, v4
	v_mul_f32_e32 v5, 0x2f800000, v4
	v_trunc_f32_e32 v5, v5
	v_madmk_f32 v4, v5, 0xcf800000, v4
	v_cvt_u32_f32_e32 v5, v5
	v_cvt_u32_f32_e32 v4, v4
	v_mul_lo_u32 v12, s0, v5
	v_mul_hi_u32 v15, s0, v4
	v_mul_lo_u32 v14, s1, v4
	v_add_u32_e32 v12, v15, v12
	v_add_u32_e32 v12, v12, v14
	v_mul_lo_u32 v19, s0, v4
	v_mul_lo_u32 v15, v4, v12
	v_mul_hi_u32 v20, v4, v19
	v_mul_hi_u32 v14, v4, v12
	v_add_co_u32_e32 v15, vcc, v20, v15
	v_addc_co_u32_e32 v14, vcc, 0, v14, vcc
	v_mul_hi_u32 v21, v5, v19
	v_mul_lo_u32 v19, v5, v19
	v_add_co_u32_e32 v15, vcc, v15, v19
	v_mul_hi_u32 v20, v5, v12
	v_addc_co_u32_e32 v14, vcc, v14, v21, vcc
	v_addc_co_u32_e32 v15, vcc, 0, v20, vcc
	v_mul_lo_u32 v12, v5, v12
	v_add_co_u32_e32 v12, vcc, v14, v12
	v_addc_co_u32_e32 v14, vcc, 0, v15, vcc
	v_add_co_u32_e32 v4, vcc, v4, v12
	v_addc_co_u32_e32 v5, vcc, v5, v14, vcc
	v_mul_lo_u32 v12, s0, v5
	v_mul_hi_u32 v14, s0, v4
	v_add_u32_e32 v12, v14, v12
	v_mul_lo_u32 v14, s1, v4
	v_add_u32_e32 v12, v12, v14
	v_mul_lo_u32 v15, s0, v4
	v_mul_hi_u32 v19, v5, v15
	v_mul_lo_u32 v20, v5, v15
	v_mul_lo_u32 v22, v4, v12
	v_mul_hi_u32 v15, v4, v15
	v_mul_hi_u32 v21, v4, v12
	v_add_co_u32_e32 v15, vcc, v15, v22
	v_addc_co_u32_e32 v21, vcc, 0, v21, vcc
	v_add_co_u32_e32 v15, vcc, v15, v20
	v_mul_hi_u32 v14, v5, v12
	v_addc_co_u32_e32 v15, vcc, v21, v19, vcc
	v_addc_co_u32_e32 v14, vcc, 0, v14, vcc
	v_mul_lo_u32 v12, v5, v12
	v_add_co_u32_e32 v12, vcc, v15, v12
	v_addc_co_u32_e32 v14, vcc, 0, v14, vcc
	v_add_co_u32_e32 v12, vcc, v4, v12
	v_addc_co_u32_e32 v14, vcc, v5, v14, vcc
	v_ashrrev_i32_e32 v15, 31, v13
	v_add_co_u32_e32 v3, vcc, v3, v15
	v_addc_co_u32_e32 v4, vcc, v13, v15, vcc
	v_xor_b32_e32 v3, v3, v15
	v_xor_b32_e32 v19, v4, v15
	v_mad_u64_u32 v[4:5], s[0:1], v3, v14, 0
	v_mul_hi_u32 v13, v3, v12
	v_add_co_u32_e32 v20, vcc, v13, v4
	v_addc_co_u32_e32 v21, vcc, 0, v5, vcc
	v_mad_u64_u32 v[12:13], s[0:1], v19, v12, 0
	v_add_co_u32_e32 v12, vcc, v20, v12
	v_mad_u64_u32 v[4:5], s[0:1], v19, v14, 0
	v_addc_co_u32_e32 v12, vcc, v21, v13, vcc
	v_addc_co_u32_e32 v5, vcc, 0, v5, vcc
	v_add_co_u32_e32 v14, vcc, v12, v4
	v_addc_co_u32_e32 v20, vcc, 0, v5, vcc
	v_mad_u64_u32 v[4:5], s[0:1], s20, v14, 0
	v_mov_b32_e32 v12, v5
	v_mad_u64_u32 v[12:13], s[0:1], s20, v20, v[12:13]
	v_sub_co_u32_e32 v3, vcc, v3, v4
	v_subb_co_u32_e32 v4, vcc, v19, v12, vcc
	v_subrev_co_u32_e32 v5, vcc, s20, v3
	v_subbrev_co_u32_e32 v12, vcc, 0, v4, vcc
	v_cmp_le_u32_e32 vcc, s20, v5
	v_cndmask_b32_e64 v5, 0, -1, vcc
	v_cmp_eq_u32_e32 vcc, 0, v12
	v_cndmask_b32_e32 v5, -1, v5, vcc
	v_add_co_u32_e32 v12, vcc, 2, v14
	v_addc_co_u32_e32 v13, vcc, 0, v20, vcc
	v_add_co_u32_e32 v19, vcc, 1, v14
	v_cmp_le_u32_e64 s[0:1], s20, v3
	v_addc_co_u32_e32 v21, vcc, 0, v20, vcc
	v_cndmask_b32_e64 v3, 0, -1, s[0:1]
	v_cmp_eq_u32_e64 s[0:1], 0, v4
	v_cmp_ne_u32_e32 vcc, 0, v5
	v_cndmask_b32_e64 v3, -1, v3, s[0:1]
	v_cmp_ne_u32_e64 s[0:1], 0, v3
	v_cndmask_b32_e32 v4, v19, v12, vcc
	v_cndmask_b32_e32 v5, v21, v13, vcc
	v_cndmask_b32_e64 v4, v14, v4, s[0:1]
	v_cndmask_b32_e64 v3, v20, v5, s[0:1]
	v_xor_b32_e32 v4, v4, v15
	v_xor_b32_e32 v3, v3, v15
	v_sub_co_u32_e32 v4, vcc, v4, v15
	v_subb_co_u32_e32 v5, vcc, v3, v15, vcc
                                        ; implicit-def: $vgpr3
.LBB71_153:
	s_andn2_saveexec_b64 s[0:1], s[4:5]
	s_cbranch_execz .LBB71_155
; %bb.154:
	v_cvt_f32_u32_e32 v4, s20
	v_rcp_iflag_f32_e32 v4, v4
	v_mul_f32_e32 v4, 0x4f7ffffe, v4
	v_cvt_u32_f32_e32 v4, v4
	v_mul_lo_u32 v5, s6, v4
	v_mul_hi_u32 v5, v4, v5
	v_add_u32_e32 v4, v4, v5
	v_mul_hi_u32 v4, v3, v4
	v_mul_lo_u32 v5, v4, s20
	v_sub_u32_e32 v3, v3, v5
	v_add_u32_e32 v12, 1, v4
	v_subrev_u32_e32 v5, s20, v3
	v_cmp_le_u32_e32 vcc, s20, v3
	v_cndmask_b32_e32 v3, v3, v5, vcc
	v_cndmask_b32_e32 v4, v4, v12, vcc
	v_add_u32_e32 v5, 1, v4
	v_cmp_le_u32_e32 vcc, s20, v3
	v_cndmask_b32_e32 v4, v4, v5, vcc
	v_mov_b32_e32 v5, 0
.LBB71_155:
	s_or_b64 exec, exec, s[0:1]
	v_cmp_gt_i64_e32 vcc, s[28:29], v[10:11]
	v_mov_b32_e32 v19, 0
	s_and_saveexec_b64 s[0:1], vcc
	s_cbranch_execz .LBB71_169
; %bb.156:
	s_add_i32 s4, s20, -1
	v_and_b32_e32 v10, s4, v0
	v_cmp_lt_i64_e32 vcc, 0, v[4:5]
	v_mov_b32_e32 v19, 0
	s_and_saveexec_b64 s[4:5], vcc
	s_cbranch_execz .LBB71_166
; %bb.157:
	v_cmp_lt_u64_e32 vcc, 3, v[4:5]
	v_pk_mov_b32 v[12:13], 0, 0
	v_mov_b32_e32 v19, 0
	s_and_saveexec_b64 s[6:7], vcc
	s_cbranch_execz .LBB71_161
; %bb.158:
	s_lshl_b32 s10, s8, 2
	s_lshl_b32 s11, s20, 3
	;; [unrolled: 1-line block ×3, first 2 shown]
	v_lshlrev_b32_e32 v3, 2, v2
	s_sub_i32 s17, s11, s10
	s_mul_i32 s11, s20, 12
	v_and_b32_e32 v13, 0x7fffffff, v5
	v_and_b32_e32 v12, -4, v4
	s_sub_i32 s9, s9, s10
	v_lshl_add_u32 v3, v10, 2, v3
	s_lshl_b32 s16, s20, 4
	s_sub_i32 s18, s11, s10
	s_sub_i32 s19, 0, s10
	s_mov_b64 s[10:11], 0
	v_mov_b32_e32 v19, 0
	s_mov_b64 s[12:13], 0
.LBB71_159:                             ; =>This Inner Loop Header: Depth=1
	v_add_u32_e32 v11, s19, v3
	v_add_u32_e32 v14, s9, v3
	;; [unrolled: 1-line block ×4, first 2 shown]
	ds_read_b32 v11, v11
	ds_read_b32 v14, v14
	;; [unrolled: 1-line block ×4, first 2 shown]
	s_add_u32 s12, s12, 4
	s_waitcnt lgkmcnt(3)
	v_add_f32_e32 v11, v19, v11
	s_addc_u32 s13, s13, 0
	s_waitcnt lgkmcnt(2)
	v_add_f32_e32 v11, v11, v14
	v_cmp_eq_u64_e32 vcc, s[12:13], v[12:13]
	s_waitcnt lgkmcnt(1)
	v_add_f32_e32 v11, v11, v15
	v_add_u32_e32 v3, s16, v3
	s_or_b64 s[10:11], vcc, s[10:11]
	s_waitcnt lgkmcnt(0)
	v_add_f32_e32 v19, v11, v20
	s_andn2_b64 exec, exec, s[10:11]
	s_cbranch_execnz .LBB71_159
; %bb.160:
	s_or_b64 exec, exec, s[10:11]
.LBB71_161:
	s_or_b64 exec, exec, s[6:7]
	v_and_b32_e32 v14, 3, v4
	v_mov_b32_e32 v15, 0
	s_mov_b64 s[10:11], 0
	v_cmp_ne_u64_e32 vcc, 0, v[14:15]
	s_and_saveexec_b64 s[6:7], vcc
	s_cbranch_execz .LBB71_165
; %bb.162:
	v_mul_lo_u32 v3, s20, v12
	v_add3_u32 v2, v10, v3, v2
	v_subrev_u32_e32 v2, s8, v2
	v_lshlrev_b32_e32 v2, 2, v2
	s_lshl_b32 s8, s20, 2
.LBB71_163:                             ; =>This Inner Loop Header: Depth=1
	ds_read_b32 v3, v2
	v_add_co_u32_e32 v14, vcc, -1, v14
	v_addc_co_u32_e32 v15, vcc, -1, v15, vcc
	v_cmp_eq_u64_e32 vcc, 0, v[14:15]
	v_add_u32_e32 v2, s8, v2
	s_or_b64 s[10:11], vcc, s[10:11]
	s_waitcnt lgkmcnt(0)
	v_add_f32_e32 v19, v19, v3
	s_andn2_b64 exec, exec, s[10:11]
	s_cbranch_execnz .LBB71_163
; %bb.164:
	s_or_b64 exec, exec, s[10:11]
.LBB71_165:
	s_or_b64 exec, exec, s[6:7]
.LBB71_166:
	s_or_b64 exec, exec, s[4:5]
	v_mad_u64_u32 v[2:3], s[4:5], v4, s20, v[8:9]
	v_mov_b32_e32 v4, v3
	v_mad_u64_u32 v[4:5], s[4:5], v5, s20, v[4:5]
	v_mov_b32_e32 v3, v4
	v_sub_co_u32_e32 v4, vcc, v16, v2
	v_mov_b32_e32 v11, 0
	v_subb_co_u32_e32 v5, vcc, v17, v3, vcc
	v_cmp_gt_i64_e32 vcc, v[4:5], v[10:11]
	s_and_saveexec_b64 s[4:5], vcc
	s_cbranch_execz .LBB71_168
; %bb.167:
	v_add_lshl_u32 v2, v10, v2, 2
	ds_read_b32 v2, v2
	s_waitcnt lgkmcnt(0)
	v_add_f32_e32 v19, v19, v2
.LBB71_168:
	s_or_b64 exec, exec, s[4:5]
.LBB71_169:
	s_or_b64 exec, exec, s[0:1]
	v_cmp_gt_i64_e32 vcc, s[28:29], v[0:1]
	s_barrier
	ds_write_b32 v18, v19
	s_waitcnt lgkmcnt(0)
	s_barrier
	s_and_saveexec_b64 s[0:1], vcc
	s_cbranch_execz .LBB71_179
; %bb.170:
	s_cmp_lt_u32 s20, 8
	v_mul_lo_u32 v1, s20, v0
	s_cbranch_scc1 .LBB71_173
; %bb.171:
	s_and_b32 s0, s20, 0x7ffffff8
	v_lshlrev_b32_e32 v2, 2, v1
	s_mov_b32 s1, 0
	v_mov_b32_e32 v4, 0
.LBB71_172:                             ; =>This Inner Loop Header: Depth=1
	ds_read2_b32 v[8:9], v2 offset1:1
	ds_read2_b32 v[10:11], v2 offset0:2 offset1:3
	ds_read2_b32 v[12:13], v2 offset0:4 offset1:5
	;; [unrolled: 1-line block ×3, first 2 shown]
	s_add_i32 s1, s1, 8
	s_waitcnt lgkmcnt(3)
	v_add_f32_e32 v3, v4, v8
	v_add_f32_e32 v3, v3, v9
	s_waitcnt lgkmcnt(2)
	v_add_f32_e32 v3, v3, v10
	v_add_f32_e32 v3, v3, v11
	s_waitcnt lgkmcnt(1)
	v_add_f32_e32 v3, v3, v12
	v_add_f32_e32 v3, v3, v13
	s_waitcnt lgkmcnt(0)
	v_add_f32_e32 v3, v3, v14
	v_add_u32_e32 v2, 32, v2
	s_cmp_eq_u32 s0, s1
	v_add_f32_e32 v4, v3, v15
	s_cbranch_scc0 .LBB71_172
	s_branch .LBB71_174
.LBB71_173:
	s_mov_b32 s0, 0
	v_mov_b32_e32 v4, 0
.LBB71_174:
	s_bfe_u32 s1, s3, 0x30001
	s_cmp_eq_u32 s1, 0
	s_cbranch_scc1 .LBB71_177
; %bb.175:
	v_add_lshl_u32 v1, s0, v1, 2
.LBB71_176:                             ; =>This Inner Loop Header: Depth=1
	ds_read_b32 v2, v1
	s_add_i32 s1, s1, -1
	v_add_u32_e32 v1, 4, v1
	s_cmp_lg_u32 s1, 0
	s_waitcnt lgkmcnt(0)
	v_add_f32_e32 v4, v4, v2
	s_cbranch_scc1 .LBB71_176
.LBB71_177:
	v_lshlrev_b64 v[2:3], 2, v[6:7]
	v_mov_b32_e32 v1, s15
	v_add_co_u32_e32 v2, vcc, s14, v2
	v_addc_co_u32_e32 v3, vcc, v1, v3, vcc
	global_load_dword v1, v[2:3], off
	s_lshl_b32 s0, s2, 2
	s_addk_i32 s0, 0x1000
	v_lshl_add_u32 v0, v0, 2, s0
	ds_read_b32 v0, v0
	s_mov_b64 s[0:1], 0
	s_waitcnt lgkmcnt(0)
	v_add_f32_e32 v4, v4, v0
.LBB71_178:                             ; =>This Inner Loop Header: Depth=1
	s_waitcnt vmcnt(0)
	v_add_f32_e32 v0, v1, v4
	global_atomic_cmpswap v0, v[2:3], v[0:1], off glc
	s_waitcnt vmcnt(0)
	v_cmp_eq_u32_e32 vcc, v0, v1
	s_or_b64 s[0:1], vcc, s[0:1]
	v_mov_b32_e32 v1, v0
	s_andn2_b64 exec, exec, s[0:1]
	s_cbranch_execnz .LBB71_178
.LBB71_179:
	s_endpgm
	.section	.rodata,"a",@progbits
	.p2align	6, 0x0
	.amdhsa_kernel _ZN9rocsparseL27csrmvn_symm_adaptive_kernelIllDF16_DF16_ffEEvbT_S1_PKS1_NS_24const_host_device_scalarIT4_EES3_PKT0_PKT1_PKT2_S6_PT3_21rocsparse_index_base_b
		.amdhsa_group_segment_fixed_size 4096
		.amdhsa_private_segment_fixed_size 0
		.amdhsa_kernarg_size 352
		.amdhsa_user_sgpr_count 6
		.amdhsa_user_sgpr_private_segment_buffer 1
		.amdhsa_user_sgpr_dispatch_ptr 0
		.amdhsa_user_sgpr_queue_ptr 0
		.amdhsa_user_sgpr_kernarg_segment_ptr 1
		.amdhsa_user_sgpr_dispatch_id 0
		.amdhsa_user_sgpr_flat_scratch_init 0
		.amdhsa_user_sgpr_kernarg_preload_length 0
		.amdhsa_user_sgpr_kernarg_preload_offset 0
		.amdhsa_user_sgpr_private_segment_size 0
		.amdhsa_uses_dynamic_stack 0
		.amdhsa_system_sgpr_private_segment_wavefront_offset 0
		.amdhsa_system_sgpr_workgroup_id_x 1
		.amdhsa_system_sgpr_workgroup_id_y 0
		.amdhsa_system_sgpr_workgroup_id_z 0
		.amdhsa_system_sgpr_workgroup_info 0
		.amdhsa_system_vgpr_workitem_id 0
		.amdhsa_next_free_vgpr 24
		.amdhsa_next_free_sgpr 52
		.amdhsa_accum_offset 24
		.amdhsa_reserve_vcc 1
		.amdhsa_reserve_flat_scratch 0
		.amdhsa_float_round_mode_32 0
		.amdhsa_float_round_mode_16_64 0
		.amdhsa_float_denorm_mode_32 3
		.amdhsa_float_denorm_mode_16_64 3
		.amdhsa_dx10_clamp 1
		.amdhsa_ieee_mode 1
		.amdhsa_fp16_overflow 0
		.amdhsa_tg_split 0
		.amdhsa_exception_fp_ieee_invalid_op 0
		.amdhsa_exception_fp_denorm_src 0
		.amdhsa_exception_fp_ieee_div_zero 0
		.amdhsa_exception_fp_ieee_overflow 0
		.amdhsa_exception_fp_ieee_underflow 0
		.amdhsa_exception_fp_ieee_inexact 0
		.amdhsa_exception_int_div_zero 0
	.end_amdhsa_kernel
	.section	.text._ZN9rocsparseL27csrmvn_symm_adaptive_kernelIllDF16_DF16_ffEEvbT_S1_PKS1_NS_24const_host_device_scalarIT4_EES3_PKT0_PKT1_PKT2_S6_PT3_21rocsparse_index_base_b,"axG",@progbits,_ZN9rocsparseL27csrmvn_symm_adaptive_kernelIllDF16_DF16_ffEEvbT_S1_PKS1_NS_24const_host_device_scalarIT4_EES3_PKT0_PKT1_PKT2_S6_PT3_21rocsparse_index_base_b,comdat
.Lfunc_end71:
	.size	_ZN9rocsparseL27csrmvn_symm_adaptive_kernelIllDF16_DF16_ffEEvbT_S1_PKS1_NS_24const_host_device_scalarIT4_EES3_PKT0_PKT1_PKT2_S6_PT3_21rocsparse_index_base_b, .Lfunc_end71-_ZN9rocsparseL27csrmvn_symm_adaptive_kernelIllDF16_DF16_ffEEvbT_S1_PKS1_NS_24const_host_device_scalarIT4_EES3_PKT0_PKT1_PKT2_S6_PT3_21rocsparse_index_base_b
                                        ; -- End function
	.section	.AMDGPU.csdata,"",@progbits
; Kernel info:
; codeLenInByte = 8760
; NumSgprs: 56
; NumVgprs: 24
; NumAgprs: 0
; TotalNumVgprs: 24
; ScratchSize: 0
; MemoryBound: 0
; FloatMode: 240
; IeeeMode: 1
; LDSByteSize: 4096 bytes/workgroup (compile time only)
; SGPRBlocks: 6
; VGPRBlocks: 2
; NumSGPRsForWavesPerEU: 56
; NumVGPRsForWavesPerEU: 24
; AccumOffset: 24
; Occupancy: 8
; WaveLimiterHint : 1
; COMPUTE_PGM_RSRC2:SCRATCH_EN: 0
; COMPUTE_PGM_RSRC2:USER_SGPR: 6
; COMPUTE_PGM_RSRC2:TRAP_HANDLER: 0
; COMPUTE_PGM_RSRC2:TGID_X_EN: 1
; COMPUTE_PGM_RSRC2:TGID_Y_EN: 0
; COMPUTE_PGM_RSRC2:TGID_Z_EN: 0
; COMPUTE_PGM_RSRC2:TIDIG_COMP_CNT: 0
; COMPUTE_PGM_RSRC3_GFX90A:ACCUM_OFFSET: 5
; COMPUTE_PGM_RSRC3_GFX90A:TG_SPLIT: 0
	.section	.text._ZL33csrmvn_symm_large_adaptive_kernelIllDF16_DF16_ffEvbT_PKS0_N9rocsparse24const_host_device_scalarIT4_EES2_PKT0_PKT1_PKT2_S6_PT3_21rocsparse_index_base_b,"axG",@progbits,_ZL33csrmvn_symm_large_adaptive_kernelIllDF16_DF16_ffEvbT_PKS0_N9rocsparse24const_host_device_scalarIT4_EES2_PKT0_PKT1_PKT2_S6_PT3_21rocsparse_index_base_b,comdat
	.globl	_ZL33csrmvn_symm_large_adaptive_kernelIllDF16_DF16_ffEvbT_PKS0_N9rocsparse24const_host_device_scalarIT4_EES2_PKT0_PKT1_PKT2_S6_PT3_21rocsparse_index_base_b ; -- Begin function _ZL33csrmvn_symm_large_adaptive_kernelIllDF16_DF16_ffEvbT_PKS0_N9rocsparse24const_host_device_scalarIT4_EES2_PKT0_PKT1_PKT2_S6_PT3_21rocsparse_index_base_b
	.p2align	8
	.type	_ZL33csrmvn_symm_large_adaptive_kernelIllDF16_DF16_ffEvbT_PKS0_N9rocsparse24const_host_device_scalarIT4_EES2_PKT0_PKT1_PKT2_S6_PT3_21rocsparse_index_base_b,@function
_ZL33csrmvn_symm_large_adaptive_kernelIllDF16_DF16_ffEvbT_PKS0_N9rocsparse24const_host_device_scalarIT4_EES2_PKT0_PKT1_PKT2_S6_PT3_21rocsparse_index_base_b: ; @_ZL33csrmvn_symm_large_adaptive_kernelIllDF16_DF16_ffEvbT_PKS0_N9rocsparse24const_host_device_scalarIT4_EES2_PKT0_PKT1_PKT2_S6_PT3_21rocsparse_index_base_b
; %bb.0:
	s_load_dwordx2 s[24:25], s[4:5], 0x50
	s_load_dwordx2 s[26:27], s[4:5], 0x18
	;; [unrolled: 1-line block ×3, first 2 shown]
	s_waitcnt lgkmcnt(0)
	s_bitcmp1_b32 s25, 0
	s_cselect_b64 s[8:9], -1, 0
	s_xor_b64 s[2:3], s[8:9], -1
	s_and_b64 vcc, exec, s[8:9]
	s_cbranch_vccnz .LBB72_2
; %bb.1:
	s_load_dword s26, s[26:27], 0x0
.LBB72_2:
	s_andn2_b64 vcc, exec, s[2:3]
	s_cbranch_vccnz .LBB72_4
; %bb.3:
	s_load_dword s0, s[0:1], 0x0
.LBB72_4:
	s_waitcnt lgkmcnt(0)
	v_cmp_neq_f32_e64 s[2:3], s26, 0
	v_cmp_neq_f32_e64 s[0:1], s0, 1.0
	s_or_b64 s[0:1], s[2:3], s[0:1]
	s_andn2_b64 vcc, exec, s[0:1]
	s_mov_b32 s25, 0
	s_cbranch_vccnz .LBB72_38
; %bb.5:
	s_load_dwordx2 s[0:1], s[4:5], 0x10
	s_ashr_i32 s7, s6, 31
	s_lshl_b64 s[2:3], s[6:7], 3
	v_lshlrev_b32_e32 v8, 2, v0
	v_mov_b32_e32 v1, 0
	s_waitcnt lgkmcnt(0)
	s_add_u32 s0, s0, s2
	s_addc_u32 s1, s1, s3
	ds_write2st64_b32 v8, v1, v1 offset1:4
	ds_write2st64_b32 v8, v1, v1 offset0:8 offset1:12
	s_waitcnt lgkmcnt(0)
	s_barrier
	s_load_dwordx4 s[20:23], s[0:1], 0x0
	s_load_dwordx8 s[12:19], s[4:5], 0x20
	s_load_dwordx2 s[28:29], s[4:5], 0x48
	v_subrev_co_u32_e64 v9, s[0:1], s24, v0
	s_waitcnt lgkmcnt(0)
	v_pk_mov_b32 v[2:3], s[22:23], s[22:23] op_sel:[0,1]
	v_cmp_lt_i64_e32 vcc, s[20:21], v[2:3]
	v_subb_co_u32_e64 v10, s[0:1], 0, 0, s[0:1]
	s_cbranch_vccnz .LBB72_7
; %bb.6:
	s_lshl_b64 s[0:1], s[20:21], 3
	s_add_u32 s0, s12, s0
	s_addc_u32 s1, s13, s1
	s_load_dwordx2 s[30:31], s[0:1], 0x0
	s_cbranch_execz .LBB72_8
	s_branch .LBB72_28
.LBB72_7:
                                        ; implicit-def: $sgpr30_sgpr31
.LBB72_8:
	s_lshl_b64 s[10:11], s[20:21], 3
	s_add_u32 s10, s12, s10
	s_addc_u32 s11, s13, s11
	s_waitcnt lgkmcnt(0)
	s_load_dwordx2 s[30:31], s[10:11], 0x0
	s_movk_i32 s27, 0x100
	s_add_u32 s33, s12, 8
	v_cmp_gt_u32_e64 s[0:1], s27, v0
	v_cmp_gt_u32_e64 s[2:3], 64, v0
	;; [unrolled: 1-line block ×4, first 2 shown]
	v_cmp_eq_u32_e64 s[8:9], 0, v0
	s_addc_u32 s44, s13, 0
	v_mov_b32_e32 v11, s25
	v_mov_b32_e32 v12, s19
	;; [unrolled: 1-line block ×3, first 2 shown]
	v_pk_mov_b32 v[0:1], s[22:23], s[22:23] op_sel:[0,1]
	s_waitcnt lgkmcnt(0)
	s_mov_b64 s[36:37], s[30:31]
	s_mov_b64 s[34:35], s[20:21]
	s_branch .LBB72_10
.LBB72_9:                               ;   in Loop: Header=BB72_10 Depth=1
	s_or_b64 exec, exec, s[10:11]
	s_add_u32 s34, s34, 1
	s_addc_u32 s35, s35, 0
	v_cmp_ge_i64_e32 vcc, s[34:35], v[0:1]
	s_cbranch_vccnz .LBB72_28
.LBB72_10:                              ; =>This Loop Header: Depth=1
                                        ;     Child Loop BB72_12 Depth 2
                                        ;     Child Loop BB72_27 Depth 2
	s_mov_b64 s[10:11], s[36:37]
	s_lshl_b64 s[36:37], s[34:35], 3
	s_add_u32 s36, s33, s36
	s_addc_u32 s37, s44, s37
	s_load_dwordx2 s[36:37], s[36:37], 0x0
	v_mov_b32_e32 v3, s11
	v_add_co_u32_e32 v2, vcc, s10, v9
	v_addc_co_u32_e32 v3, vcc, v3, v10, vcc
	s_waitcnt lgkmcnt(0)
	s_sub_u32 s38, s36, s24
	s_subb_u32 s39, s37, 0
	v_cmp_gt_i64_e32 vcc, s[38:39], v[2:3]
	v_mov_b32_e32 v14, 0
	s_and_saveexec_b64 s[40:41], vcc
	s_cbranch_execz .LBB72_14
; %bb.11:                               ;   in Loop: Header=BB72_10 Depth=1
	v_lshlrev_b64 v[4:5], 3, v[2:3]
	v_mov_b32_e32 v6, s15
	v_add_co_u32_e32 v4, vcc, s14, v4
	v_addc_co_u32_e32 v5, vcc, v6, v5, vcc
	v_lshlrev_b64 v[6:7], 1, v[2:3]
	v_mov_b32_e32 v14, s17
	v_add_co_u32_e32 v6, vcc, s16, v6
	v_addc_co_u32_e32 v7, vcc, v14, v7, vcc
	s_mov_b64 s[42:43], 0
	v_mov_b32_e32 v14, 0
.LBB72_12:                              ;   Parent Loop BB72_10 Depth=1
                                        ; =>  This Inner Loop Header: Depth=2
	global_load_dwordx2 v[16:17], v[4:5], off
	global_load_ushort v15, v[6:7], off
	s_waitcnt vmcnt(1)
	v_subrev_co_u32_e32 v16, vcc, s24, v16
	v_subb_co_u32_e32 v17, vcc, v17, v11, vcc
	v_lshlrev_b64 v[16:17], 1, v[16:17]
	v_add_co_u32_e32 v16, vcc, s18, v16
	v_addc_co_u32_e32 v17, vcc, v12, v17, vcc
	global_load_ushort v16, v[16:17], off
	v_add_co_u32_e32 v2, vcc, s27, v2
	v_addc_co_u32_e32 v3, vcc, 0, v3, vcc
	v_add_co_u32_e32 v4, vcc, 0x800, v4
	v_addc_co_u32_e32 v5, vcc, 0, v5, vcc
	v_add_co_u32_e32 v6, vcc, 0x200, v6
	v_cmp_le_i64_e64 s[10:11], s[38:39], v[2:3]
	v_addc_co_u32_e32 v7, vcc, 0, v7, vcc
	s_or_b64 s[42:43], s[10:11], s[42:43]
	s_waitcnt vmcnt(0)
	v_fma_mix_f32 v14, v15, v16, v14 op_sel_hi:[1,1,0]
	s_andn2_b64 exec, exec, s[42:43]
	s_cbranch_execnz .LBB72_12
; %bb.13:                               ;   in Loop: Header=BB72_10 Depth=1
	s_or_b64 exec, exec, s[42:43]
.LBB72_14:                              ;   in Loop: Header=BB72_10 Depth=1
	s_or_b64 exec, exec, s[40:41]
	ds_write_b32 v8, v14
	s_waitcnt lgkmcnt(0)
	s_barrier
	s_and_saveexec_b64 s[10:11], s[0:1]
	s_cbranch_execz .LBB72_16
; %bb.15:                               ;   in Loop: Header=BB72_10 Depth=1
	ds_read2st64_b32 v[2:3], v8 offset1:4
	ds_read2st64_b32 v[4:5], v8 offset0:8 offset1:12
	s_waitcnt lgkmcnt(0)
	v_add_f32_e32 v3, v3, v4
	v_add_f32_e32 v3, v3, v5
	;; [unrolled: 1-line block ×3, first 2 shown]
	ds_write_b32 v8, v2
.LBB72_16:                              ;   in Loop: Header=BB72_10 Depth=1
	s_or_b64 exec, exec, s[10:11]
	s_waitcnt lgkmcnt(0)
	s_barrier
	s_and_saveexec_b64 s[10:11], s[2:3]
	s_cbranch_execz .LBB72_18
; %bb.17:                               ;   in Loop: Header=BB72_10 Depth=1
	ds_read2st64_b32 v[2:3], v8 offset1:1
	ds_read2st64_b32 v[4:5], v8 offset0:2 offset1:3
	s_waitcnt lgkmcnt(0)
	v_add_f32_e32 v3, v3, v4
	v_add_f32_e32 v3, v3, v5
	;; [unrolled: 1-line block ×3, first 2 shown]
	ds_write_b32 v8, v2
.LBB72_18:                              ;   in Loop: Header=BB72_10 Depth=1
	s_or_b64 exec, exec, s[10:11]
	s_waitcnt lgkmcnt(0)
	s_barrier
	s_and_saveexec_b64 s[10:11], s[4:5]
	s_cbranch_execz .LBB72_20
; %bb.19:                               ;   in Loop: Header=BB72_10 Depth=1
	ds_read2_b32 v[2:3], v8 offset1:16
	ds_read2_b32 v[4:5], v8 offset0:32 offset1:48
	s_waitcnt lgkmcnt(0)
	v_add_f32_e32 v3, v3, v4
	v_add_f32_e32 v3, v3, v5
	;; [unrolled: 1-line block ×3, first 2 shown]
	ds_write_b32 v8, v2
.LBB72_20:                              ;   in Loop: Header=BB72_10 Depth=1
	s_or_b64 exec, exec, s[10:11]
	s_waitcnt lgkmcnt(0)
	s_barrier
	s_and_saveexec_b64 s[10:11], s[6:7]
	s_cbranch_execz .LBB72_22
; %bb.21:                               ;   in Loop: Header=BB72_10 Depth=1
	ds_read2_b32 v[2:3], v8 offset1:4
	ds_read2_b32 v[4:5], v8 offset0:8 offset1:12
	s_waitcnt lgkmcnt(0)
	v_add_f32_e32 v3, v3, v4
	v_add_f32_e32 v3, v3, v5
	;; [unrolled: 1-line block ×3, first 2 shown]
	ds_write_b32 v8, v2
.LBB72_22:                              ;   in Loop: Header=BB72_10 Depth=1
	s_or_b64 exec, exec, s[10:11]
	s_waitcnt lgkmcnt(0)
	s_barrier
	s_and_saveexec_b64 s[10:11], s[8:9]
	s_cbranch_execz .LBB72_24
; %bb.23:                               ;   in Loop: Header=BB72_10 Depth=1
	ds_read2_b32 v[2:3], v13 offset0:1 offset1:2
	ds_read_b32 v4, v13 offset:12
	ds_read_b32 v5, v8
	s_waitcnt lgkmcnt(2)
	v_add_f32_e32 v2, v2, v3
	s_waitcnt lgkmcnt(1)
	v_add_f32_e32 v2, v2, v4
	;; [unrolled: 2-line block ×3, first 2 shown]
	ds_write_b32 v8, v2
.LBB72_24:                              ;   in Loop: Header=BB72_10 Depth=1
	s_or_b64 exec, exec, s[10:11]
	s_waitcnt lgkmcnt(0)
	s_barrier
	s_and_saveexec_b64 s[10:11], s[8:9]
	s_cbranch_execz .LBB72_9
; %bb.25:                               ;   in Loop: Header=BB72_10 Depth=1
	s_mov_b64 s[40:41], exec
	v_mbcnt_lo_u32_b32 v2, s40, 0
	v_mbcnt_hi_u32_b32 v2, s41, v2
	v_cmp_eq_u32_e32 vcc, 0, v2
	s_and_b64 s[38:39], exec, vcc
	s_mov_b64 exec, s[38:39]
	s_cbranch_execz .LBB72_9
; %bb.26:                               ;   in Loop: Header=BB72_10 Depth=1
	s_lshl_b64 s[38:39], s[34:35], 2
	s_add_u32 s38, s28, s38
	s_addc_u32 s39, s29, s39
	global_load_dword v3, v13, s[38:39]
	ds_read_b32 v2, v13
	s_bcnt1_i32_b64 s40, s[40:41]
	v_cvt_f32_ubyte0_e32 v4, s40
	s_mov_b64 s[40:41], 0
	s_waitcnt lgkmcnt(0)
	v_mul_f32_e32 v2, s26, v2
	v_mul_f32_e32 v4, v2, v4
.LBB72_27:                              ;   Parent Loop BB72_10 Depth=1
                                        ; =>  This Inner Loop Header: Depth=2
	s_waitcnt vmcnt(0)
	v_add_f32_e32 v2, v3, v4
	global_atomic_cmpswap v2, v13, v[2:3], s[38:39] glc
	s_waitcnt vmcnt(0)
	v_cmp_eq_u32_e32 vcc, v2, v3
	s_or_b64 s[40:41], vcc, s[40:41]
	v_mov_b32_e32 v3, v2
	s_andn2_b64 exec, exec, s[40:41]
	s_cbranch_execnz .LBB72_27
	s_branch .LBB72_9
.LBB72_28:
	s_lshl_b64 s[0:1], s[22:23], 3
	s_add_u32 s0, s12, s0
	s_addc_u32 s1, s13, s1
	s_load_dwordx2 s[0:1], s[0:1], 0x0
	s_waitcnt lgkmcnt(0)
	v_mov_b32_e32 v1, s31
	v_add_co_u32_e32 v0, vcc, s30, v9
	v_addc_co_u32_e32 v1, vcc, v1, v10, vcc
	s_sub_u32 s4, s0, s24
	s_subb_u32 s5, s1, 0
	v_cmp_gt_i64_e32 vcc, s[4:5], v[0:1]
	s_and_saveexec_b64 s[0:1], vcc
	s_cbranch_execz .LBB72_38
; %bb.29:
	s_add_u32 s6, s22, -1
	s_addc_u32 s7, s23, -1
	s_add_u32 s0, s22, -2
	s_addc_u32 s1, s23, -1
	v_pk_mov_b32 v[2:3], s[20:21], s[20:21] op_sel:[0,1]
	s_cmp_lg_u64 s[0:1], s[20:21]
	v_cmp_gt_i64_e32 vcc, s[6:7], v[2:3]
	s_cselect_b64 s[0:1], -1, 0
	s_and_b64 s[0:1], vcc, s[0:1]
	v_cndmask_b32_e64 v2, 0, 1, s[0:1]
	s_mov_b64 s[8:9], 0
	v_cmp_ne_u32_e64 s[0:1], 1, v2
	v_mov_b32_e32 v6, s13
	v_mov_b32_e32 v7, s25
	;; [unrolled: 1-line block ×3, first 2 shown]
	s_branch .LBB72_31
.LBB72_30:                              ;   in Loop: Header=BB72_31 Depth=1
	s_or_b64 exec, exec, s[2:3]
	v_add_co_u32_e32 v0, vcc, 0x100, v0
	v_addc_co_u32_e32 v1, vcc, 0, v1, vcc
	v_cmp_le_i64_e32 vcc, s[4:5], v[0:1]
	s_or_b64 s[8:9], vcc, s[8:9]
	s_andn2_b64 exec, exec, s[8:9]
	s_cbranch_execz .LBB72_38
.LBB72_31:                              ; =>This Loop Header: Depth=1
                                        ;     Child Loop BB72_33 Depth 2
                                        ;     Child Loop BB72_37 Depth 2
	s_and_b64 vcc, exec, s[0:1]
	v_pk_mov_b32 v[2:3], s[20:21], s[20:21] op_sel:[0,1]
	v_pk_mov_b32 v[4:5], s[6:7], s[6:7] op_sel:[0,1]
	s_cbranch_vccnz .LBB72_35
; %bb.32:                               ;   in Loop: Header=BB72_31 Depth=1
	s_mov_b64 s[10:11], 0
	v_pk_mov_b32 v[2:3], s[20:21], s[20:21] op_sel:[0,1]
	v_pk_mov_b32 v[4:5], s[6:7], s[6:7] op_sel:[0,1]
.LBB72_33:                              ;   Parent Loop BB72_31 Depth=1
                                        ; =>  This Inner Loop Header: Depth=2
	v_add_co_u32_e32 v9, vcc, v4, v2
	v_addc_co_u32_e32 v11, vcc, v5, v3, vcc
	v_lshrrev_b32_e32 v10, 31, v11
	v_add_co_u32_e32 v10, vcc, v9, v10
	v_addc_co_u32_e32 v11, vcc, 0, v11, vcc
	v_ashrrev_i64 v[10:11], 1, v[10:11]
	v_lshlrev_b64 v[12:13], 3, v[10:11]
	v_mov_b32_e32 v14, s13
	v_add_co_u32_e32 v12, vcc, s12, v12
	v_addc_co_u32_e32 v13, vcc, v14, v13, vcc
	global_load_dwordx2 v[12:13], v[12:13], off
	v_mov_b32_e32 v9, s25
	s_waitcnt vmcnt(0)
	v_subrev_co_u32_e32 v12, vcc, s24, v12
	v_subb_co_u32_e32 v13, vcc, v13, v9, vcc
	v_cmp_gt_i64_e32 vcc, v[12:13], v[0:1]
	v_cndmask_b32_e32 v4, v4, v10, vcc
	v_cndmask_b32_e32 v5, v5, v11, vcc
	;; [unrolled: 1-line block ×3, first 2 shown]
	v_add_co_u32_e64 v10, s[2:3], -1, v4
	v_cndmask_b32_e32 v3, v11, v3, vcc
	v_addc_co_u32_e64 v11, s[2:3], -1, v5, s[2:3]
	v_cmp_ge_i64_e32 vcc, v[2:3], v[4:5]
	v_cmp_eq_u64_e64 s[2:3], v[2:3], v[10:11]
	s_or_b64 s[2:3], vcc, s[2:3]
	s_and_b64 s[2:3], exec, s[2:3]
	s_or_b64 s[10:11], s[2:3], s[10:11]
	s_andn2_b64 exec, exec, s[10:11]
	s_cbranch_execnz .LBB72_33
; %bb.34:                               ;   in Loop: Header=BB72_31 Depth=1
	s_or_b64 exec, exec, s[10:11]
.LBB72_35:                              ;   in Loop: Header=BB72_31 Depth=1
	v_lshlrev_b64 v[10:11], 3, v[4:5]
	v_add_co_u32_e32 v10, vcc, s12, v10
	v_addc_co_u32_e32 v11, vcc, v6, v11, vcc
	global_load_dwordx2 v[10:11], v[10:11], off
	v_lshlrev_b64 v[12:13], 3, v[0:1]
	v_add_co_u32_e32 v12, vcc, s14, v12
	v_addc_co_u32_e32 v13, vcc, v8, v13, vcc
	global_load_dwordx2 v[12:13], v[12:13], off
	s_waitcnt vmcnt(1)
	v_subrev_co_u32_e32 v10, vcc, s24, v10
	v_subb_co_u32_e32 v11, vcc, v11, v7, vcc
	v_cmp_gt_i64_e32 vcc, v[10:11], v[0:1]
	v_cndmask_b32_e32 v3, v5, v3, vcc
	v_cndmask_b32_e32 v2, v4, v2, vcc
	s_waitcnt vmcnt(0)
	v_subrev_co_u32_e32 v4, vcc, s24, v12
	v_subb_co_u32_e32 v5, vcc, v13, v7, vcc
	v_cmp_ne_u64_e32 vcc, v[4:5], v[2:3]
	s_and_saveexec_b64 s[2:3], vcc
	s_cbranch_execz .LBB72_30
; %bb.36:                               ;   in Loop: Header=BB72_31 Depth=1
	v_lshlrev_b64 v[10:11], 1, v[0:1]
	v_mov_b32_e32 v9, s17
	v_add_co_u32_e32 v10, vcc, s16, v10
	v_addc_co_u32_e32 v11, vcc, v9, v11, vcc
	v_lshlrev_b64 v[2:3], 1, v[2:3]
	global_load_ushort v9, v[10:11], off
	v_mov_b32_e32 v10, s19
	v_add_co_u32_e32 v2, vcc, s18, v2
	v_addc_co_u32_e32 v3, vcc, v10, v3, vcc
	global_load_ushort v10, v[2:3], off
	v_lshlrev_b64 v[4:5], 2, v[4:5]
	v_mov_b32_e32 v3, s29
	v_add_co_u32_e32 v2, vcc, s28, v4
	v_addc_co_u32_e32 v3, vcc, v3, v5, vcc
	global_load_dword v5, v[2:3], off
	s_mov_b64 s[10:11], 0
	s_waitcnt vmcnt(2)
	v_cvt_f32_f16_e32 v4, v9
	v_mul_f32_e32 v4, s26, v4
	s_waitcnt vmcnt(1)
	v_cvt_f32_f16_e32 v9, v10
	v_mul_f32_e32 v9, v4, v9
.LBB72_37:                              ;   Parent Loop BB72_31 Depth=1
                                        ; =>  This Inner Loop Header: Depth=2
	s_waitcnt vmcnt(0)
	v_add_f32_e32 v4, v5, v9
	global_atomic_cmpswap v4, v[2:3], v[4:5], off glc
	s_waitcnt vmcnt(0)
	v_cmp_eq_u32_e32 vcc, v4, v5
	s_or_b64 s[10:11], vcc, s[10:11]
	v_mov_b32_e32 v5, v4
	s_andn2_b64 exec, exec, s[10:11]
	s_cbranch_execnz .LBB72_37
	s_branch .LBB72_30
.LBB72_38:
	s_endpgm
	.section	.rodata,"a",@progbits
	.p2align	6, 0x0
	.amdhsa_kernel _ZL33csrmvn_symm_large_adaptive_kernelIllDF16_DF16_ffEvbT_PKS0_N9rocsparse24const_host_device_scalarIT4_EES2_PKT0_PKT1_PKT2_S6_PT3_21rocsparse_index_base_b
		.amdhsa_group_segment_fixed_size 4096
		.amdhsa_private_segment_fixed_size 0
		.amdhsa_kernarg_size 88
		.amdhsa_user_sgpr_count 6
		.amdhsa_user_sgpr_private_segment_buffer 1
		.amdhsa_user_sgpr_dispatch_ptr 0
		.amdhsa_user_sgpr_queue_ptr 0
		.amdhsa_user_sgpr_kernarg_segment_ptr 1
		.amdhsa_user_sgpr_dispatch_id 0
		.amdhsa_user_sgpr_flat_scratch_init 0
		.amdhsa_user_sgpr_kernarg_preload_length 0
		.amdhsa_user_sgpr_kernarg_preload_offset 0
		.amdhsa_user_sgpr_private_segment_size 0
		.amdhsa_uses_dynamic_stack 0
		.amdhsa_system_sgpr_private_segment_wavefront_offset 0
		.amdhsa_system_sgpr_workgroup_id_x 1
		.amdhsa_system_sgpr_workgroup_id_y 0
		.amdhsa_system_sgpr_workgroup_id_z 0
		.amdhsa_system_sgpr_workgroup_info 0
		.amdhsa_system_vgpr_workitem_id 0
		.amdhsa_next_free_vgpr 18
		.amdhsa_next_free_sgpr 45
		.amdhsa_accum_offset 20
		.amdhsa_reserve_vcc 1
		.amdhsa_reserve_flat_scratch 0
		.amdhsa_float_round_mode_32 0
		.amdhsa_float_round_mode_16_64 0
		.amdhsa_float_denorm_mode_32 3
		.amdhsa_float_denorm_mode_16_64 3
		.amdhsa_dx10_clamp 1
		.amdhsa_ieee_mode 1
		.amdhsa_fp16_overflow 0
		.amdhsa_tg_split 0
		.amdhsa_exception_fp_ieee_invalid_op 0
		.amdhsa_exception_fp_denorm_src 0
		.amdhsa_exception_fp_ieee_div_zero 0
		.amdhsa_exception_fp_ieee_overflow 0
		.amdhsa_exception_fp_ieee_underflow 0
		.amdhsa_exception_fp_ieee_inexact 0
		.amdhsa_exception_int_div_zero 0
	.end_amdhsa_kernel
	.section	.text._ZL33csrmvn_symm_large_adaptive_kernelIllDF16_DF16_ffEvbT_PKS0_N9rocsparse24const_host_device_scalarIT4_EES2_PKT0_PKT1_PKT2_S6_PT3_21rocsparse_index_base_b,"axG",@progbits,_ZL33csrmvn_symm_large_adaptive_kernelIllDF16_DF16_ffEvbT_PKS0_N9rocsparse24const_host_device_scalarIT4_EES2_PKT0_PKT1_PKT2_S6_PT3_21rocsparse_index_base_b,comdat
.Lfunc_end72:
	.size	_ZL33csrmvn_symm_large_adaptive_kernelIllDF16_DF16_ffEvbT_PKS0_N9rocsparse24const_host_device_scalarIT4_EES2_PKT0_PKT1_PKT2_S6_PT3_21rocsparse_index_base_b, .Lfunc_end72-_ZL33csrmvn_symm_large_adaptive_kernelIllDF16_DF16_ffEvbT_PKS0_N9rocsparse24const_host_device_scalarIT4_EES2_PKT0_PKT1_PKT2_S6_PT3_21rocsparse_index_base_b
                                        ; -- End function
	.section	.AMDGPU.csdata,"",@progbits
; Kernel info:
; codeLenInByte = 1704
; NumSgprs: 49
; NumVgprs: 18
; NumAgprs: 0
; TotalNumVgprs: 18
; ScratchSize: 0
; MemoryBound: 0
; FloatMode: 240
; IeeeMode: 1
; LDSByteSize: 4096 bytes/workgroup (compile time only)
; SGPRBlocks: 6
; VGPRBlocks: 2
; NumSGPRsForWavesPerEU: 49
; NumVGPRsForWavesPerEU: 18
; AccumOffset: 20
; Occupancy: 8
; WaveLimiterHint : 1
; COMPUTE_PGM_RSRC2:SCRATCH_EN: 0
; COMPUTE_PGM_RSRC2:USER_SGPR: 6
; COMPUTE_PGM_RSRC2:TRAP_HANDLER: 0
; COMPUTE_PGM_RSRC2:TGID_X_EN: 1
; COMPUTE_PGM_RSRC2:TGID_Y_EN: 0
; COMPUTE_PGM_RSRC2:TGID_Z_EN: 0
; COMPUTE_PGM_RSRC2:TIDIG_COMP_CNT: 0
; COMPUTE_PGM_RSRC3_GFX90A:ACCUM_OFFSET: 4
; COMPUTE_PGM_RSRC3_GFX90A:TG_SPLIT: 0
	.section	.text._ZN9rocsparseL22csrmvn_adaptive_kernelIii18rocsparse_bfloat16S1_ffEEvbT_PKS2_PjPKT0_NS_24const_host_device_scalarIT4_EES4_S8_PKT1_PKT2_SB_PT3_21rocsparse_index_base_b,"axG",@progbits,_ZN9rocsparseL22csrmvn_adaptive_kernelIii18rocsparse_bfloat16S1_ffEEvbT_PKS2_PjPKT0_NS_24const_host_device_scalarIT4_EES4_S8_PKT1_PKT2_SB_PT3_21rocsparse_index_base_b,comdat
	.globl	_ZN9rocsparseL22csrmvn_adaptive_kernelIii18rocsparse_bfloat16S1_ffEEvbT_PKS2_PjPKT0_NS_24const_host_device_scalarIT4_EES4_S8_PKT1_PKT2_SB_PT3_21rocsparse_index_base_b ; -- Begin function _ZN9rocsparseL22csrmvn_adaptive_kernelIii18rocsparse_bfloat16S1_ffEEvbT_PKS2_PjPKT0_NS_24const_host_device_scalarIT4_EES4_S8_PKT1_PKT2_SB_PT3_21rocsparse_index_base_b
	.p2align	8
	.type	_ZN9rocsparseL22csrmvn_adaptive_kernelIii18rocsparse_bfloat16S1_ffEEvbT_PKS2_PjPKT0_NS_24const_host_device_scalarIT4_EES4_S8_PKT1_PKT2_SB_PT3_21rocsparse_index_base_b,@function
_ZN9rocsparseL22csrmvn_adaptive_kernelIii18rocsparse_bfloat16S1_ffEEvbT_PKS2_PjPKT0_NS_24const_host_device_scalarIT4_EES4_S8_PKT1_PKT2_SB_PT3_21rocsparse_index_base_b: ; @_ZN9rocsparseL22csrmvn_adaptive_kernelIii18rocsparse_bfloat16S1_ffEEvbT_PKS2_PjPKT0_NS_24const_host_device_scalarIT4_EES4_S8_PKT1_PKT2_SB_PT3_21rocsparse_index_base_b
; %bb.0:
	s_load_dwordx2 s[44:45], s[4:5], 0x58
	s_load_dwordx2 s[42:43], s[4:5], 0x20
	;; [unrolled: 1-line block ×3, first 2 shown]
	s_waitcnt lgkmcnt(0)
	s_bitcmp1_b32 s45, 0
	s_cselect_b64 s[2:3], -1, 0
	s_xor_b64 s[0:1], s[2:3], -1
	s_and_b64 vcc, exec, s[2:3]
	s_cbranch_vccnz .LBB73_2
; %bb.1:
	s_load_dword s42, s[42:43], 0x0
.LBB73_2:
	s_andn2_b64 vcc, exec, s[0:1]
	s_cbranch_vccnz .LBB73_4
; %bb.3:
	s_load_dword s34, s[34:35], 0x0
.LBB73_4:
	s_waitcnt lgkmcnt(0)
	v_cmp_neq_f32_e64 s[0:1], s42, 0
	v_cmp_neq_f32_e64 s[2:3], s34, 1.0
	s_or_b64 s[0:1], s[0:1], s[2:3]
	s_andn2_b64 vcc, exec, s[0:1]
	s_cbranch_vccnz .LBB73_127
; %bb.5:
	s_load_dwordx2 s[0:1], s[4:5], 0x8
	s_load_dwordx2 s[8:9], s[4:5], 0x18
	s_ashr_i32 s7, s6, 31
	s_lshl_b64 s[48:49], s[6:7], 2
	s_waitcnt lgkmcnt(0)
	s_add_u32 s0, s0, s48
	s_addc_u32 s1, s1, s49
	s_load_dwordx2 s[38:39], s[0:1], 0x0
	s_load_dwordx2 s[36:37], s[4:5], 0x50
	s_load_dwordx8 s[24:31], s[4:5], 0x28
	s_waitcnt lgkmcnt(0)
	s_sub_i32 s2, s39, s38
	s_add_u32 s8, s8, s48
	s_mov_b32 s0, s38
	s_addc_u32 s9, s9, s49
	s_ashr_i32 s1, s38, 31
	s_lshl_b64 s[46:47], s[0:1], 2
	s_add_u32 s40, s24, s46
	s_addc_u32 s41, s25, s47
	s_load_dword s33, s[8:9], 0x0
	s_load_dword s35, s[40:41], 0x0
	s_cmp_lt_i32 s2, 2
	s_mov_b64 s[0:1], -1
	s_cbranch_scc0 .LBB73_72
; %bb.6:
	s_cmp_lg_u32 s2, 1
	s_cselect_b64 s[0:1], -1, 0
	s_waitcnt lgkmcnt(0)
	s_cmp_lg_u32 s33, 0
	s_cselect_b64 s[2:3], -1, 0
	s_or_b64 s[2:3], s[0:1], s[2:3]
	s_mov_b64 s[0:1], -1
	s_and_b64 vcc, exec, s[2:3]
	s_cbranch_vccnz .LBB73_35
; %bb.7:
	s_cmp_le_i32 s39, s38
	s_cbranch_scc1 .LBB73_34
; %bb.8:
	v_cmp_neq_f32_e64 s[20:21], s34, 0
	s_movk_i32 s0, 0x80
	s_add_u32 s7, s24, 4
	v_cndmask_b32_e64 v2, 0, 1, s[20:21]
	v_subrev_u32_e32 v1, s44, v0
	v_lshlrev_b32_e32 v8, 2, v0
	v_cmp_gt_u32_e64 s[0:1], s0, v0
	v_cmp_gt_u32_e64 s[2:3], 64, v0
	;; [unrolled: 1-line block ×7, first 2 shown]
	v_cmp_eq_u32_e64 s[18:19], 0, v0
	s_addc_u32 s43, s25, 0
	v_mov_b32_e32 v9, s31
	v_mov_b32_e32 v10, 0
	v_cmp_ne_u32_e64 s[20:21], 1, v2
	s_mov_b32 s45, s35
	s_mov_b32 s50, s38
	s_branch .LBB73_11
.LBB73_9:                               ;   in Loop: Header=BB73_11 Depth=1
	s_add_u32 s52, s36, s52
	s_addc_u32 s53, s37, s53
	s_waitcnt lgkmcnt(0)
	global_store_dword v10, v2, s[52:53]
.LBB73_10:                              ;   in Loop: Header=BB73_11 Depth=1
	s_or_b64 exec, exec, s[22:23]
	s_add_i32 s50, s50, 1
	s_cmp_ge_i32 s50, s39
	s_cbranch_scc1 .LBB73_34
.LBB73_11:                              ; =>This Loop Header: Depth=1
                                        ;     Child Loop BB73_13 Depth 2
	s_ashr_i32 s51, s50, 31
	s_lshl_b64 s[52:53], s[50:51], 2
	s_add_u32 s22, s7, s52
	s_addc_u32 s23, s43, s53
	s_mov_b32 s54, s45
	s_load_dword s45, s[22:23], 0x0
	v_add_u32_e32 v2, s54, v1
	v_mov_b32_e32 v3, 0
	s_waitcnt lgkmcnt(0)
	s_sub_i32 s51, s45, s44
	v_cmp_gt_i32_e32 vcc, s51, v2
	s_and_saveexec_b64 s[54:55], vcc
	s_cbranch_execz .LBB73_15
; %bb.12:                               ;   in Loop: Header=BB73_11 Depth=1
	v_ashrrev_i32_e32 v3, 31, v2
	v_lshlrev_b64 v[4:5], 1, v[2:3]
	v_mov_b32_e32 v6, s29
	v_add_co_u32_e32 v4, vcc, s28, v4
	v_addc_co_u32_e32 v5, vcc, v6, v5, vcc
	v_lshlrev_b64 v[6:7], 2, v[2:3]
	v_mov_b32_e32 v3, s27
	v_add_co_u32_e32 v6, vcc, s26, v6
	v_addc_co_u32_e32 v7, vcc, v3, v7, vcc
	s_mov_b64 s[56:57], 0
	v_mov_b32_e32 v3, 0
.LBB73_13:                              ;   Parent Loop BB73_11 Depth=1
                                        ; =>  This Inner Loop Header: Depth=2
	global_load_dword v11, v[6:7], off
	global_load_ushort v14, v[4:5], off
	v_add_u32_e32 v2, 0x100, v2
	v_cmp_le_i32_e64 s[22:23], s51, v2
	s_or_b64 s[56:57], s[22:23], s[56:57]
	s_waitcnt vmcnt(1)
	v_subrev_u32_e32 v12, s44, v11
	v_ashrrev_i32_e32 v13, 31, v12
	v_lshlrev_b64 v[12:13], 1, v[12:13]
	v_add_co_u32_e32 v12, vcc, s30, v12
	v_addc_co_u32_e32 v13, vcc, v9, v13, vcc
	global_load_ushort v11, v[12:13], off
	v_add_co_u32_e32 v4, vcc, 0x200, v4
	v_addc_co_u32_e32 v5, vcc, 0, v5, vcc
	s_waitcnt vmcnt(1)
	v_lshlrev_b32_e32 v12, 16, v14
	v_add_co_u32_e32 v6, vcc, 0x400, v6
	v_mul_f32_e32 v12, s42, v12
	v_addc_co_u32_e32 v7, vcc, 0, v7, vcc
	s_waitcnt vmcnt(0)
	v_lshlrev_b32_e32 v11, 16, v11
	v_fmac_f32_e32 v3, v12, v11
	s_andn2_b64 exec, exec, s[56:57]
	s_cbranch_execnz .LBB73_13
; %bb.14:                               ;   in Loop: Header=BB73_11 Depth=1
	s_or_b64 exec, exec, s[56:57]
.LBB73_15:                              ;   in Loop: Header=BB73_11 Depth=1
	s_or_b64 exec, exec, s[54:55]
	ds_write_b32 v8, v3
	s_waitcnt lgkmcnt(0)
	s_barrier
	s_and_saveexec_b64 s[22:23], s[0:1]
	s_cbranch_execz .LBB73_17
; %bb.16:                               ;   in Loop: Header=BB73_11 Depth=1
	ds_read2st64_b32 v[2:3], v8 offset1:2
	s_waitcnt lgkmcnt(0)
	v_add_f32_e32 v2, v2, v3
	ds_write_b32 v8, v2
.LBB73_17:                              ;   in Loop: Header=BB73_11 Depth=1
	s_or_b64 exec, exec, s[22:23]
	s_waitcnt lgkmcnt(0)
	s_barrier
	s_and_saveexec_b64 s[22:23], s[2:3]
	s_cbranch_execz .LBB73_19
; %bb.18:                               ;   in Loop: Header=BB73_11 Depth=1
	ds_read2st64_b32 v[2:3], v8 offset1:1
	s_waitcnt lgkmcnt(0)
	v_add_f32_e32 v2, v2, v3
	ds_write_b32 v8, v2
.LBB73_19:                              ;   in Loop: Header=BB73_11 Depth=1
	s_or_b64 exec, exec, s[22:23]
	s_waitcnt lgkmcnt(0)
	s_barrier
	s_and_saveexec_b64 s[22:23], s[8:9]
	s_cbranch_execz .LBB73_21
; %bb.20:                               ;   in Loop: Header=BB73_11 Depth=1
	ds_read2_b32 v[2:3], v8 offset1:32
	s_waitcnt lgkmcnt(0)
	v_add_f32_e32 v2, v2, v3
	ds_write_b32 v8, v2
.LBB73_21:                              ;   in Loop: Header=BB73_11 Depth=1
	s_or_b64 exec, exec, s[22:23]
	s_waitcnt lgkmcnt(0)
	s_barrier
	s_and_saveexec_b64 s[22:23], s[10:11]
	s_cbranch_execz .LBB73_23
; %bb.22:                               ;   in Loop: Header=BB73_11 Depth=1
	ds_read2_b32 v[2:3], v8 offset1:16
	s_waitcnt lgkmcnt(0)
	v_add_f32_e32 v2, v2, v3
	ds_write_b32 v8, v2
.LBB73_23:                              ;   in Loop: Header=BB73_11 Depth=1
	;; [unrolled: 11-line block ×5, first 2 shown]
	s_or_b64 exec, exec, s[22:23]
	s_waitcnt lgkmcnt(0)
	s_barrier
	s_and_saveexec_b64 s[22:23], s[18:19]
	s_cbranch_execz .LBB73_31
; %bb.30:                               ;   in Loop: Header=BB73_11 Depth=1
	ds_read_b64 v[2:3], v10
	s_waitcnt lgkmcnt(0)
	v_add_f32_e32 v2, v2, v3
	ds_write_b32 v10, v2
.LBB73_31:                              ;   in Loop: Header=BB73_11 Depth=1
	s_or_b64 exec, exec, s[22:23]
	s_waitcnt lgkmcnt(0)
	s_barrier
	s_and_saveexec_b64 s[22:23], s[18:19]
	s_cbranch_execz .LBB73_10
; %bb.32:                               ;   in Loop: Header=BB73_11 Depth=1
	ds_read_b32 v2, v10
	s_and_b64 vcc, exec, s[20:21]
	s_cbranch_vccnz .LBB73_9
; %bb.33:                               ;   in Loop: Header=BB73_11 Depth=1
	s_add_u32 s54, s36, s52
	s_addc_u32 s55, s37, s53
	global_load_dword v3, v10, s[54:55]
	s_waitcnt vmcnt(0) lgkmcnt(0)
	v_fmac_f32_e32 v2, s34, v3
	s_branch .LBB73_9
.LBB73_34:
	s_mov_b64 s[0:1], 0
.LBB73_35:
	s_andn2_b64 vcc, exec, s[0:1]
	s_cbranch_vccnz .LBB73_71
; %bb.36:
	s_load_dwordx2 s[8:9], s[4:5], 0x10
	s_sub_i32 s6, s6, s33
	v_or_b32_e32 v1, s33, v0
	v_cmp_eq_u32_e32 vcc, 0, v1
	v_mov_b32_e32 v1, 0
	s_waitcnt lgkmcnt(0)
	s_add_u32 s2, s8, s48
	s_addc_u32 s3, s9, s49
	s_load_dword s14, s[2:3], 0x0
	s_and_saveexec_b64 s[0:1], vcc
	s_cbranch_execz .LBB73_40
; %bb.37:
	s_add_u32 s12, s36, s46
	s_addc_u32 s13, s37, s47
	s_load_dword s15, s[12:13], 0x0
	s_mov_b64 s[10:11], exec
	v_mbcnt_lo_u32_b32 v2, s10, 0
	v_mbcnt_hi_u32_b32 v2, s11, v2
	v_add_f32_e64 v1, s34, -1.0
	v_cmp_eq_u32_e32 vcc, 0, v2
	s_waitcnt vmcnt(0) expcnt(0) lgkmcnt(0)
	s_and_saveexec_b64 s[12:13], vcc
	s_cbranch_execz .LBB73_39
; %bb.38:
	s_ashr_i32 s7, s6, 31
	s_lshl_b64 s[16:17], s[6:7], 2
	s_add_u32 s16, s8, s16
	s_addc_u32 s17, s9, s17
	s_bcnt1_i32_b64 s7, s[10:11]
	s_and_b32 s7, s7, 1
	v_mov_b32_e32 v2, 0
	v_mov_b32_e32 v3, s7
	global_atomic_xor v2, v3, s[16:17]
.LBB73_39:
	s_or_b64 exec, exec, s[12:13]
	v_mul_f32_e32 v1, s15, v1
.LBB73_40:
	s_or_b64 exec, exec, s[0:1]
	s_load_dword s1, s[40:41], 0x4
	s_mul_i32 s0, s33, 0xc00
	s_sub_i32 s7, s35, s44
	s_add_i32 s0, s7, s0
	v_add_u32_e32 v2, s0, v0
	s_waitcnt lgkmcnt(0)
	s_sub_i32 s1, s1, s44
	v_cmp_gt_i32_e32 vcc, s1, v2
	s_and_saveexec_b64 s[10:11], vcc
	s_cbranch_execz .LBB73_44
; %bb.41:
	v_ashrrev_i32_e32 v3, 31, v2
	v_lshlrev_b64 v[4:5], 1, v[2:3]
	v_mov_b32_e32 v6, s29
	v_add_co_u32_e32 v4, vcc, s28, v4
	v_addc_co_u32_e32 v5, vcc, v6, v5, vcc
	v_lshlrev_b64 v[6:7], 2, v[2:3]
	s_addk_i32 s0, 0xc00
	v_mov_b32_e32 v3, s27
	v_add_co_u32_e32 v6, vcc, s26, v6
	s_min_i32 s7, s0, s1
	v_addc_co_u32_e32 v7, vcc, v3, v7, vcc
	s_mov_b64 s[12:13], 0
	v_mov_b32_e32 v3, s31
.LBB73_42:                              ; =>This Inner Loop Header: Depth=1
	global_load_dword v8, v[6:7], off
	global_load_ushort v10, v[4:5], off
	v_add_u32_e32 v2, 0x100, v2
	v_cmp_le_i32_e64 s[0:1], s7, v2
	s_or_b64 s[12:13], s[0:1], s[12:13]
	s_waitcnt vmcnt(1)
	v_subrev_u32_e32 v8, s44, v8
	v_ashrrev_i32_e32 v9, 31, v8
	v_lshlrev_b64 v[8:9], 1, v[8:9]
	v_add_co_u32_e32 v8, vcc, s30, v8
	v_addc_co_u32_e32 v9, vcc, v3, v9, vcc
	global_load_ushort v8, v[8:9], off
	v_add_co_u32_e32 v4, vcc, 0x200, v4
	v_addc_co_u32_e32 v5, vcc, 0, v5, vcc
	s_waitcnt vmcnt(1)
	v_lshlrev_b32_e32 v9, 16, v10
	v_add_co_u32_e32 v6, vcc, 0x400, v6
	v_mul_f32_e32 v9, s42, v9
	v_addc_co_u32_e32 v7, vcc, 0, v7, vcc
	s_waitcnt vmcnt(0)
	v_lshlrev_b32_e32 v8, 16, v8
	v_fmac_f32_e32 v1, v9, v8
	s_andn2_b64 exec, exec, s[12:13]
	s_cbranch_execnz .LBB73_42
; %bb.43:
	s_or_b64 exec, exec, s[12:13]
.LBB73_44:
	s_or_b64 exec, exec, s[10:11]
	s_movk_i32 s0, 0x80
	v_lshlrev_b32_e32 v2, 2, v0
	v_cmp_gt_u32_e32 vcc, s0, v0
	ds_write_b32 v2, v1
	s_waitcnt lgkmcnt(0)
	s_barrier
	s_and_saveexec_b64 s[0:1], vcc
	s_cbranch_execz .LBB73_46
; %bb.45:
	ds_read2st64_b32 v[4:5], v2 offset1:2
	s_waitcnt lgkmcnt(0)
	v_add_f32_e32 v1, v4, v5
	ds_write_b32 v2, v1
.LBB73_46:
	s_or_b64 exec, exec, s[0:1]
	v_cmp_gt_u32_e32 vcc, 64, v0
	s_waitcnt lgkmcnt(0)
	s_barrier
	s_and_saveexec_b64 s[0:1], vcc
	s_cbranch_execz .LBB73_48
; %bb.47:
	ds_read2st64_b32 v[4:5], v2 offset1:1
	s_waitcnt lgkmcnt(0)
	v_add_f32_e32 v1, v4, v5
	ds_write_b32 v2, v1
.LBB73_48:
	s_or_b64 exec, exec, s[0:1]
	v_cmp_gt_u32_e32 vcc, 32, v0
	s_waitcnt lgkmcnt(0)
	s_barrier
	s_and_saveexec_b64 s[0:1], vcc
	s_cbranch_execz .LBB73_50
; %bb.49:
	ds_read2_b32 v[4:5], v2 offset1:32
	s_waitcnt lgkmcnt(0)
	v_add_f32_e32 v1, v4, v5
	ds_write_b32 v2, v1
.LBB73_50:
	s_or_b64 exec, exec, s[0:1]
	v_cmp_gt_u32_e32 vcc, 16, v0
	s_waitcnt lgkmcnt(0)
	s_barrier
	s_and_saveexec_b64 s[0:1], vcc
	s_cbranch_execz .LBB73_52
; %bb.51:
	ds_read2_b32 v[4:5], v2 offset1:16
	s_waitcnt lgkmcnt(0)
	v_add_f32_e32 v1, v4, v5
	ds_write_b32 v2, v1
.LBB73_52:
	s_or_b64 exec, exec, s[0:1]
	v_cmp_gt_u32_e32 vcc, 8, v0
	s_waitcnt lgkmcnt(0)
	s_barrier
	s_and_saveexec_b64 s[0:1], vcc
	s_cbranch_execz .LBB73_54
; %bb.53:
	ds_read2_b32 v[4:5], v2 offset1:8
	s_waitcnt lgkmcnt(0)
	v_add_f32_e32 v1, v4, v5
	ds_write_b32 v2, v1
.LBB73_54:
	s_or_b64 exec, exec, s[0:1]
	v_cmp_gt_u32_e32 vcc, 4, v0
	s_waitcnt lgkmcnt(0)
	s_barrier
	s_and_saveexec_b64 s[0:1], vcc
	s_cbranch_execz .LBB73_56
; %bb.55:
	ds_read2_b32 v[4:5], v2 offset1:4
	s_waitcnt lgkmcnt(0)
	v_add_f32_e32 v1, v4, v5
	ds_write_b32 v2, v1
.LBB73_56:
	s_or_b64 exec, exec, s[0:1]
	v_cmp_gt_u32_e32 vcc, 2, v0
	s_waitcnt lgkmcnt(0)
	s_barrier
	s_and_saveexec_b64 s[0:1], vcc
	s_cbranch_execz .LBB73_58
; %bb.57:
	ds_read2_b32 v[4:5], v2 offset1:2
	s_waitcnt lgkmcnt(0)
	v_add_f32_e32 v1, v4, v5
	ds_write_b32 v2, v1
.LBB73_58:
	s_or_b64 exec, exec, s[0:1]
	v_cmp_eq_u32_e32 vcc, 0, v0
	s_waitcnt lgkmcnt(0)
	s_barrier
	s_and_saveexec_b64 s[0:1], vcc
	s_cbranch_execz .LBB73_60
; %bb.59:
	v_mov_b32_e32 v1, 0
	ds_read_b64 v[2:3], v1
	s_waitcnt lgkmcnt(0)
	v_add_f32_e32 v2, v2, v3
	ds_write_b32 v1, v2
.LBB73_60:
	s_or_b64 exec, exec, s[0:1]
	s_waitcnt lgkmcnt(0)
	s_barrier
	s_and_saveexec_b64 s[0:1], vcc
	s_cbranch_execz .LBB73_70
; %bb.61:
	s_cmp_eq_u32 s33, 0
	s_cbranch_scc1 .LBB73_67
; %bb.62:
	s_ashr_i32 s7, s6, 31
	s_lshl_b64 s[6:7], s[6:7], 2
	s_add_u32 s6, s8, s6
	s_addc_u32 s7, s9, s7
	v_mov_b32_e32 v1, 0
	s_branch .LBB73_64
.LBB73_63:                              ;   in Loop: Header=BB73_64 Depth=1
	s_or_b64 exec, exec, s[8:9]
	s_waitcnt vmcnt(0)
	v_readfirstlane_b32 s8, v2
	s_cmp_eq_u32 s8, s14
	s_cbranch_scc0 .LBB73_66
.LBB73_64:                              ; =>This Inner Loop Header: Depth=1
	v_mbcnt_lo_u32_b32 v2, exec_lo, 0
	v_mbcnt_hi_u32_b32 v2, exec_hi, v2
	v_cmp_eq_u32_e32 vcc, 0, v2
                                        ; implicit-def: $vgpr2
	s_and_saveexec_b64 s[8:9], vcc
	s_cbranch_execz .LBB73_63
; %bb.65:                               ;   in Loop: Header=BB73_64 Depth=1
	global_load_dword v2, v1, s[6:7] glc
	s_branch .LBB73_63
.LBB73_66:
	v_mov_b32_e32 v1, 0
	global_load_dword v2, v1, s[2:3]
	s_waitcnt vmcnt(0)
	v_xor_b32_e32 v2, 1, v2
	global_store_dword v1, v2, s[2:3]
.LBB73_67:
	s_mov_b64 s[6:7], exec
	v_mbcnt_lo_u32_b32 v1, s6, 0
	v_mbcnt_hi_u32_b32 v1, s7, v1
	v_cmp_eq_u32_e32 vcc, 0, v1
	s_and_b64 s[2:3], exec, vcc
	s_mov_b64 exec, s[2:3]
	s_cbranch_execz .LBB73_70
; %bb.68:
	s_add_u32 s2, s36, s46
	s_addc_u32 s3, s37, s47
	v_mov_b32_e32 v1, 0
	global_load_dword v3, v1, s[2:3]
	ds_read_b32 v2, v1
	s_bcnt1_i32_b64 s6, s[6:7]
	v_cvt_f32_ubyte0_e32 v4, s6
	s_mov_b64 s[6:7], 0
	s_waitcnt lgkmcnt(0)
	v_mul_f32_e32 v4, v2, v4
.LBB73_69:                              ; =>This Inner Loop Header: Depth=1
	s_waitcnt vmcnt(0)
	v_add_f32_e32 v2, v3, v4
	global_atomic_cmpswap v2, v1, v[2:3], s[2:3] glc
	s_waitcnt vmcnt(0)
	v_cmp_eq_u32_e32 vcc, v2, v3
	s_or_b64 s[6:7], vcc, s[6:7]
	v_mov_b32_e32 v3, v2
	s_andn2_b64 exec, exec, s[6:7]
	s_cbranch_execnz .LBB73_69
.LBB73_70:
	s_or_b64 exec, exec, s[0:1]
.LBB73_71:
	s_mov_b64 s[0:1], 0
.LBB73_72:
	s_andn2_b64 vcc, exec, s[0:1]
	s_cbranch_vccnz .LBB73_127
; %bb.73:
	s_load_dword s0, s[4:5], 0x4
	v_subrev_u32_e32 v1, s44, v0
	s_waitcnt lgkmcnt(0)
	v_add_u32_e32 v2, s35, v1
	v_add_u32_e32 v1, 0x300, v2
	v_cmp_le_i32_e32 vcc, s0, v1
	s_and_saveexec_b64 s[0:1], vcc
	s_xor_b64 s[0:1], exec, s[0:1]
	s_cbranch_execz .LBB73_89
; %bb.74:
	s_ashr_i32 s3, s39, 31
	s_mov_b32 s2, s39
	s_lshl_b64 s[2:3], s[2:3], 2
	s_add_u32 s2, s24, s2
	s_addc_u32 s3, s25, s3
	s_load_dword s2, s[2:3], 0x0
	s_waitcnt lgkmcnt(0)
	s_sub_i32 s14, s2, s44
	v_cmp_gt_i32_e32 vcc, s14, v2
	s_and_saveexec_b64 s[2:3], vcc
	s_cbranch_execz .LBB73_88
; %bb.75:
	v_add_u32_e32 v1, s35, v0
	v_subrev_u32_e32 v1, s44, v1
	v_add_u32_e32 v1, 0x100, v1
	v_max_i32_e32 v1, s14, v1
	v_not_b32_e32 v3, v0
	v_add3_u32 v1, v1, s44, v3
	v_subrev_u32_e32 v3, s35, v1
	s_movk_i32 s4, 0xd00
	s_movk_i32 s6, 0xcff
	v_cmp_gt_u32_e64 s[4:5], s4, v3
	v_cmp_lt_u32_e32 vcc, s6, v3
	v_mov_b32_e32 v1, 0
	s_and_saveexec_b64 s[6:7], vcc
	s_cbranch_execz .LBB73_85
; %bb.76:
	v_and_b32_e32 v1, 0xffffff00, v3
	v_add_u32_e32 v1, v2, v1
	v_cmp_ge_i32_e32 vcc, v1, v2
	s_mov_b64 s[10:11], -1
	v_mov_b32_e32 v1, 0
	s_and_saveexec_b64 s[8:9], vcc
	s_cbranch_execz .LBB73_84
; %bb.77:
	v_lshrrev_b32_e32 v1, 8, v3
	v_add_u32_e32 v3, -1, v1
	s_mov_b32 s43, s42
	s_mov_b32 s15, s44
	v_cmp_lt_u32_e32 vcc, 1, v3
	v_mov_b32_e32 v8, 0x100
	v_mov_b32_e32 v9, 0
	s_and_saveexec_b64 s[10:11], vcc
	s_cbranch_execz .LBB73_81
; %bb.78:
	v_lshrrev_b32_e32 v4, 1, v3
	v_add_u32_e32 v4, 1, v4
	v_and_b32_e32 v4, -2, v4
	s_movk_i32 s16, 0x100
	s_mov_b32 s17, 0
	s_mov_b64 s[12:13], 0
	v_mov_b32_e32 v5, s29
	v_mov_b32_e32 v6, s27
	;; [unrolled: 1-line block ×3, first 2 shown]
.LBB73_79:                              ; =>This Inner Loop Header: Depth=1
	v_add_u32_e32 v8, s17, v2
	v_ashrrev_i32_e32 v9, 31, v8
	v_add_u32_e32 v10, s16, v2
	v_lshlrev_b64 v[16:17], 2, v[8:9]
	s_add_i32 s19, s17, 0x200
	v_ashrrev_i32_e32 v11, 31, v10
	v_add_co_u32_e32 v16, vcc, s26, v16
	v_add_u32_e32 v12, s19, v2
	v_lshlrev_b64 v[18:19], 2, v[10:11]
	v_addc_co_u32_e32 v17, vcc, v6, v17, vcc
	s_add_i32 s18, s16, 0x200
	v_ashrrev_i32_e32 v13, 31, v12
	v_add_co_u32_e32 v18, vcc, s26, v18
	v_add_u32_e32 v14, s18, v2
	v_addc_co_u32_e32 v19, vcc, v6, v19, vcc
	v_lshlrev_b64 v[20:21], 2, v[12:13]
	global_load_dword v24, v[16:17], off
	global_load_dword v25, v[18:19], off
	v_ashrrev_i32_e32 v15, 31, v14
	v_add_co_u32_e32 v16, vcc, s26, v20
	v_lshlrev_b64 v[22:23], 2, v[14:15]
	v_addc_co_u32_e32 v17, vcc, v6, v21, vcc
	v_add_co_u32_e32 v18, vcc, s26, v22
	v_addc_co_u32_e32 v19, vcc, v6, v23, vcc
	global_load_dword v20, v[16:17], off
	global_load_dword v21, v[18:19], off
	v_lshlrev_b64 v[8:9], 1, v[8:9]
	v_add_co_u32_e32 v8, vcc, s28, v8
	v_lshlrev_b64 v[10:11], 1, v[10:11]
	v_addc_co_u32_e32 v9, vcc, v5, v9, vcc
	v_add_co_u32_e32 v10, vcc, s28, v10
	v_addc_co_u32_e32 v11, vcc, v5, v11, vcc
	v_lshlrev_b64 v[12:13], 1, v[12:13]
	global_load_ushort v16, v[8:9], off
	global_load_ushort v17, v[10:11], off
	v_add_co_u32_e32 v8, vcc, s28, v12
	v_lshlrev_b64 v[14:15], 1, v[14:15]
	v_addc_co_u32_e32 v9, vcc, v5, v13, vcc
	v_add_co_u32_e32 v10, vcc, s28, v14
	v_addc_co_u32_e32 v11, vcc, v5, v15, vcc
	global_load_ushort v18, v[8:9], off
	global_load_ushort v19, v[10:11], off
	v_add_u32_e32 v4, -2, v4
	v_add_lshl_u32 v26, s19, v0, 2
	v_add_lshl_u32 v27, s18, v0, 2
	s_waitcnt vmcnt(7)
	v_subrev_u32_e32 v8, s44, v24
	v_ashrrev_i32_e32 v9, 31, v8
	s_waitcnt vmcnt(6)
	v_subrev_u32_e32 v10, s15, v25
	v_lshlrev_b64 v[8:9], 1, v[8:9]
	v_ashrrev_i32_e32 v11, 31, v10
	v_add_co_u32_e32 v8, vcc, s30, v8
	v_lshlrev_b64 v[10:11], 1, v[10:11]
	v_addc_co_u32_e32 v9, vcc, v7, v9, vcc
	v_add_co_u32_e32 v10, vcc, s30, v10
	s_waitcnt vmcnt(5)
	v_subrev_u32_e32 v12, s44, v20
	v_ashrrev_i32_e32 v13, 31, v12
	s_waitcnt vmcnt(4)
	v_subrev_u32_e32 v14, s15, v21
	v_addc_co_u32_e32 v11, vcc, v7, v11, vcc
	v_lshlrev_b64 v[12:13], 1, v[12:13]
	v_ashrrev_i32_e32 v15, 31, v14
	global_load_ushort v20, v[8:9], off
	global_load_ushort v21, v[10:11], off
	v_add_co_u32_e32 v8, vcc, s30, v12
	v_lshlrev_b64 v[14:15], 1, v[14:15]
	v_addc_co_u32_e32 v9, vcc, v7, v13, vcc
	v_add_co_u32_e32 v10, vcc, s30, v14
	v_addc_co_u32_e32 v11, vcc, v7, v15, vcc
	global_load_ushort v22, v[10:11], off
	global_load_ushort v23, v[8:9], off
	s_waitcnt vmcnt(6)
	v_lshlrev_b32_e32 v11, 16, v17
	v_lshlrev_b32_e32 v10, 16, v16
	v_pk_mul_f32 v[10:11], s[42:43], v[10:11]
	s_waitcnt vmcnt(5)
	v_lshlrev_b32_e32 v12, 16, v18
	s_waitcnt vmcnt(4)
	v_lshlrev_b32_e32 v13, 16, v19
	v_add_lshl_u32 v24, s17, v0, 2
	v_add_lshl_u32 v25, s16, v0, 2
	s_addk_i32 s17, 0x400
	s_addk_i32 s16, 0x400
	v_cmp_eq_u32_e32 vcc, 0, v4
	v_pk_mul_f32 v[12:13], s[42:43], v[12:13]
	v_mov_b32_e32 v9, s17
	v_mov_b32_e32 v8, s16
	s_or_b64 s[12:13], vcc, s[12:13]
	s_waitcnt vmcnt(3)
	v_lshlrev_b32_e32 v14, 16, v20
	s_waitcnt vmcnt(2)
	v_lshlrev_b32_e32 v15, 16, v21
	v_pk_mul_f32 v[10:11], v[10:11], v[14:15]
	ds_write_b32 v24, v10
	ds_write_b32 v25, v11
	s_waitcnt vmcnt(1)
	v_lshlrev_b32_e32 v15, 16, v22
	s_waitcnt vmcnt(0)
	v_lshlrev_b32_e32 v14, 16, v23
	v_pk_mul_f32 v[10:11], v[12:13], v[14:15]
	ds_write_b32 v26, v10
	ds_write_b32 v27, v11
	s_andn2_b64 exec, exec, s[12:13]
	s_cbranch_execnz .LBB73_79
; %bb.80:
	s_or_b64 exec, exec, s[12:13]
.LBB73_81:
	s_or_b64 exec, exec, s[10:11]
	v_and_b32_e32 v3, 2, v3
	v_cmp_eq_u32_e32 vcc, 0, v3
	s_and_saveexec_b64 s[10:11], vcc
	s_cbranch_execz .LBB73_83
; %bb.82:
	v_add_u32_e32 v4, v9, v2
	v_ashrrev_i32_e32 v5, 31, v4
	v_add_u32_e32 v2, v8, v2
	v_lshlrev_b64 v[6:7], 2, v[4:5]
	v_ashrrev_i32_e32 v3, 31, v2
	v_mov_b32_e32 v12, s27
	v_add_co_u32_e32 v6, vcc, s26, v6
	v_addc_co_u32_e32 v7, vcc, v12, v7, vcc
	v_lshlrev_b64 v[10:11], 2, v[2:3]
	v_add_co_u32_e32 v10, vcc, s26, v10
	v_addc_co_u32_e32 v11, vcc, v12, v11, vcc
	global_load_dword v12, v[6:7], off
	global_load_dword v13, v[10:11], off
	v_lshlrev_b64 v[4:5], 1, v[4:5]
	v_mov_b32_e32 v6, s29
	v_add_co_u32_e32 v4, vcc, s28, v4
	v_lshlrev_b64 v[2:3], 1, v[2:3]
	v_addc_co_u32_e32 v5, vcc, v6, v5, vcc
	v_add_co_u32_e32 v2, vcc, s28, v2
	v_addc_co_u32_e32 v3, vcc, v6, v3, vcc
	global_load_ushort v6, v[4:5], off
	global_load_ushort v10, v[2:3], off
	v_mov_b32_e32 v7, s31
	v_add_lshl_u32 v9, v9, v0, 2
	v_add_lshl_u32 v8, v8, v0, 2
	s_waitcnt vmcnt(3)
	v_subrev_u32_e32 v2, s44, v12
	v_ashrrev_i32_e32 v3, 31, v2
	s_waitcnt vmcnt(2)
	v_subrev_u32_e32 v4, s15, v13
	v_lshlrev_b64 v[2:3], 1, v[2:3]
	v_ashrrev_i32_e32 v5, 31, v4
	v_add_co_u32_e32 v2, vcc, s30, v2
	v_lshlrev_b64 v[4:5], 1, v[4:5]
	v_addc_co_u32_e32 v3, vcc, v7, v3, vcc
	v_add_co_u32_e32 v4, vcc, s30, v4
	v_addc_co_u32_e32 v5, vcc, v7, v5, vcc
	global_load_ushort v7, v[4:5], off
	global_load_ushort v11, v[2:3], off
	s_waitcnt vmcnt(2)
	v_lshlrev_b32_e32 v3, 16, v10
	v_lshlrev_b32_e32 v2, 16, v6
	v_pk_mul_f32 v[2:3], s[42:43], v[2:3]
	s_waitcnt vmcnt(1)
	v_lshlrev_b32_e32 v5, 16, v7
	s_waitcnt vmcnt(0)
	v_lshlrev_b32_e32 v4, 16, v11
	v_pk_mul_f32 v[2:3], v[2:3], v[4:5]
	ds_write_b32 v9, v2
	ds_write_b32 v8, v3
.LBB73_83:
	s_or_b64 exec, exec, s[10:11]
	v_add_u32_e32 v2, 1, v1
	v_and_b32_e32 v3, 0x1fffffe, v2
	v_cmp_ne_u32_e32 vcc, v2, v3
	v_lshlrev_b32_e32 v1, 8, v3
	s_orn2_b64 s[10:11], vcc, exec
.LBB73_84:
	s_or_b64 exec, exec, s[8:9]
	s_andn2_b64 s[4:5], s[4:5], exec
	s_and_b64 s[8:9], s[10:11], exec
	s_or_b64 s[4:5], s[4:5], s[8:9]
.LBB73_85:
	s_or_b64 exec, exec, s[6:7]
	s_and_b64 exec, exec, s[4:5]
	s_cbranch_execz .LBB73_88
; %bb.86:
	v_add_u32_e32 v1, v0, v1
	v_add_u32_e32 v2, s35, v1
	v_subrev_u32_e32 v2, s44, v2
	v_lshlrev_b32_e32 v1, 2, v1
	s_mov_b64 s[4:5], 0
	v_mov_b32_e32 v4, s29
	v_mov_b32_e32 v5, s27
	v_mov_b32_e32 v6, s31
.LBB73_87:                              ; =>This Inner Loop Header: Depth=1
	v_ashrrev_i32_e32 v3, 31, v2
	v_lshlrev_b64 v[8:9], 2, v[2:3]
	v_add_co_u32_e32 v8, vcc, s26, v8
	v_addc_co_u32_e32 v9, vcc, v5, v9, vcc
	global_load_dword v7, v[8:9], off
	v_lshlrev_b64 v[8:9], 1, v[2:3]
	v_add_co_u32_e32 v8, vcc, s28, v8
	v_addc_co_u32_e32 v9, vcc, v4, v9, vcc
	global_load_ushort v3, v[8:9], off
	v_add_u32_e32 v2, 0x100, v2
	s_waitcnt vmcnt(1)
	v_subrev_u32_e32 v8, s44, v7
	v_ashrrev_i32_e32 v9, 31, v8
	v_lshlrev_b64 v[8:9], 1, v[8:9]
	v_add_co_u32_e32 v8, vcc, s30, v8
	v_addc_co_u32_e32 v9, vcc, v6, v9, vcc
	global_load_ushort v7, v[8:9], off
	s_waitcnt vmcnt(1)
	v_lshlrev_b32_e32 v3, 16, v3
	v_mul_f32_e32 v3, s42, v3
	v_cmp_le_i32_e32 vcc, s14, v2
	s_or_b64 s[4:5], vcc, s[4:5]
	s_waitcnt vmcnt(0)
	v_lshlrev_b32_e32 v7, 16, v7
	v_mul_f32_e32 v3, v3, v7
	ds_write_b32 v1, v3
	v_add_u32_e32 v1, 0x400, v1
	s_andn2_b64 exec, exec, s[4:5]
	s_cbranch_execnz .LBB73_87
.LBB73_88:
	s_or_b64 exec, exec, s[2:3]
                                        ; implicit-def: $vgpr2
.LBB73_89:
	s_or_saveexec_b64 s[0:1], s[0:1]
	v_lshlrev_b32_e32 v1, 2, v0
	s_xor_b64 exec, exec, s[0:1]
	s_cbranch_execz .LBB73_91
; %bb.90:
	v_ashrrev_i32_e32 v3, 31, v2
	v_lshlrev_b64 v[4:5], 2, v[2:3]
	v_mov_b32_e32 v6, s27
	v_add_co_u32_e32 v4, vcc, s26, v4
	v_addc_co_u32_e32 v5, vcc, v6, v5, vcc
	global_load_dword v6, v[4:5], off
	global_load_dword v7, v[4:5], off offset:1024
	global_load_dword v8, v[4:5], off offset:2048
	;; [unrolled: 1-line block ×3, first 2 shown]
	v_lshlrev_b64 v[2:3], 1, v[2:3]
	v_mov_b32_e32 v4, s29
	v_add_co_u32_e32 v2, vcc, s28, v2
	v_addc_co_u32_e32 v3, vcc, v4, v3, vcc
	global_load_ushort v11, v[2:3], off
	global_load_ushort v12, v[2:3], off offset:512
	global_load_ushort v13, v[2:3], off offset:1024
	global_load_ushort v14, v[2:3], off offset:1536
	v_mov_b32_e32 v10, s31
	s_waitcnt vmcnt(7)
	v_subrev_u32_e32 v2, s44, v6
	v_ashrrev_i32_e32 v3, 31, v2
	s_waitcnt vmcnt(6)
	v_subrev_u32_e32 v4, s44, v7
	v_lshlrev_b64 v[2:3], 1, v[2:3]
	v_ashrrev_i32_e32 v5, 31, v4
	v_add_co_u32_e32 v2, vcc, s30, v2
	s_waitcnt vmcnt(5)
	v_subrev_u32_e32 v6, s44, v8
	v_lshlrev_b64 v[4:5], 1, v[4:5]
	v_addc_co_u32_e32 v3, vcc, v10, v3, vcc
	v_ashrrev_i32_e32 v7, 31, v6
	v_add_co_u32_e32 v4, vcc, s30, v4
	s_waitcnt vmcnt(4)
	v_subrev_u32_e32 v8, s44, v9
	v_lshlrev_b64 v[6:7], 1, v[6:7]
	v_addc_co_u32_e32 v5, vcc, v10, v5, vcc
	v_ashrrev_i32_e32 v9, 31, v8
	v_add_co_u32_e32 v6, vcc, s30, v6
	v_lshlrev_b64 v[8:9], 1, v[8:9]
	v_addc_co_u32_e32 v7, vcc, v10, v7, vcc
	v_add_co_u32_e32 v8, vcc, s30, v8
	v_addc_co_u32_e32 v9, vcc, v10, v9, vcc
	global_load_ushort v10, v[2:3], off
	global_load_ushort v15, v[4:5], off
	;; [unrolled: 1-line block ×4, first 2 shown]
	s_waitcnt vmcnt(7)
	v_lshlrev_b32_e32 v2, 16, v11
	s_waitcnt vmcnt(6)
	v_lshlrev_b32_e32 v3, 16, v12
	;; [unrolled: 2-line block ×4, first 2 shown]
	v_mul_f32_e32 v2, s42, v2
	v_mul_f32_e32 v3, s42, v3
	;; [unrolled: 1-line block ×4, first 2 shown]
	s_waitcnt vmcnt(3)
	v_lshlrev_b32_e32 v6, 16, v10
	s_waitcnt vmcnt(2)
	v_lshlrev_b32_e32 v7, 16, v15
	;; [unrolled: 2-line block ×4, first 2 shown]
	v_mul_f32_e32 v2, v2, v6
	v_mul_f32_e32 v3, v3, v7
	;; [unrolled: 1-line block ×4, first 2 shown]
	ds_write2st64_b32 v1, v2, v3 offset1:4
	ds_write2st64_b32 v1, v4, v5 offset0:8 offset1:12
.LBB73_91:
	s_or_b64 exec, exec, s[0:1]
	s_cmp_lt_i32 s33, 2
	s_mov_b64 s[0:1], -1
	s_waitcnt lgkmcnt(0)
	s_barrier
	s_cbranch_scc0 .LBB73_102
; %bb.92:
	v_add_u32_e32 v2, s38, v0
	v_cmp_gt_i32_e32 vcc, s39, v2
	s_and_saveexec_b64 s[0:1], vcc
	s_cbranch_execz .LBB73_101
; %bb.93:
	s_lshl_b32 s4, s35, 2
	v_cmp_neq_f32_e64 s[2:3], s34, 0
	s_sub_i32 s10, 0, s4
	s_mov_b64 s[4:5], 0
	v_mov_b32_e32 v8, s25
	v_mov_b32_e32 v9, s37
	s_branch .LBB73_95
.LBB73_94:                              ;   in Loop: Header=BB73_95 Depth=1
	v_add_co_u32_e32 v4, vcc, s36, v4
	v_addc_co_u32_e32 v5, vcc, v9, v5, vcc
	v_add_u32_e32 v2, 0x100, v2
	v_cmp_le_i32_e32 vcc, s39, v2
	s_or_b64 s[4:5], vcc, s[4:5]
	global_store_dword v[4:5], v3, off
	s_andn2_b64 exec, exec, s[4:5]
	s_cbranch_execz .LBB73_101
.LBB73_95:                              ; =>This Loop Header: Depth=1
                                        ;     Child Loop BB73_97 Depth 2
	v_ashrrev_i32_e32 v3, 31, v2
	v_lshlrev_b64 v[4:5], 2, v[2:3]
	v_add_co_u32_e32 v6, vcc, s24, v4
	v_addc_co_u32_e32 v7, vcc, v8, v5, vcc
	global_load_dwordx2 v[6:7], v[6:7], off
	v_mov_b32_e32 v3, 0
	s_waitcnt vmcnt(0)
	v_cmp_lt_i32_e32 vcc, v6, v7
	s_and_saveexec_b64 s[6:7], vcc
	s_cbranch_execz .LBB73_99
; %bb.96:                               ;   in Loop: Header=BB73_95 Depth=1
	v_subrev_u32_e32 v7, s35, v7
	v_subrev_u32_e32 v10, s35, v6
	v_lshl_add_u32 v6, v6, 2, s10
	s_mov_b64 s[8:9], 0
	v_mov_b32_e32 v3, 0
.LBB73_97:                              ;   Parent Loop BB73_95 Depth=1
                                        ; =>  This Inner Loop Header: Depth=2
	ds_read_b32 v11, v6
	v_add_u32_e32 v10, 1, v10
	v_cmp_ge_i32_e32 vcc, v10, v7
	v_add_u32_e32 v6, 4, v6
	s_or_b64 s[8:9], vcc, s[8:9]
	s_waitcnt lgkmcnt(0)
	v_add_f32_e32 v3, v3, v11
	s_andn2_b64 exec, exec, s[8:9]
	s_cbranch_execnz .LBB73_97
; %bb.98:                               ;   in Loop: Header=BB73_95 Depth=1
	s_or_b64 exec, exec, s[8:9]
.LBB73_99:                              ;   in Loop: Header=BB73_95 Depth=1
	s_or_b64 exec, exec, s[6:7]
	s_and_b64 vcc, exec, s[2:3]
	s_cbranch_vccz .LBB73_94
; %bb.100:                              ;   in Loop: Header=BB73_95 Depth=1
	v_mov_b32_e32 v7, s37
	v_add_co_u32_e32 v6, vcc, s36, v4
	v_addc_co_u32_e32 v7, vcc, v7, v5, vcc
	global_load_dword v6, v[6:7], off
	s_waitcnt vmcnt(0)
	v_fmac_f32_e32 v3, s34, v6
	s_branch .LBB73_94
.LBB73_101:
	s_or_b64 exec, exec, s[0:1]
	s_mov_b64 s[0:1], 0
.LBB73_102:
	s_andn2_b64 vcc, exec, s[0:1]
	s_cbranch_vccnz .LBB73_127
; %bb.103:
	s_flbit_i32_b32 s0, s33
	s_xor_b32 s0, s0, 31
	v_lshrrev_b32_e32 v4, s0, v0
	v_add_u32_e32 v2, s38, v4
	s_add_i32 s0, s33, -1
	v_and_b32_e32 v0, s0, v0
	v_cmp_le_i32_e32 vcc, s39, v2
	v_cmp_gt_i32_e64 s[0:1], s39, v2
	v_mov_b32_e32 v3, 0
	s_and_saveexec_b64 s[2:3], s[0:1]
	s_cbranch_execz .LBB73_109
; %bb.104:
	v_lshlrev_b32_e32 v3, 2, v4
	global_load_dwordx2 v[6:7], v3, s[40:41]
	v_subrev_u32_e32 v3, s35, v0
	s_waitcnt vmcnt(0)
	v_subrev_u32_e32 v4, s35, v7
	v_add_u32_e32 v5, v6, v3
	v_cmp_lt_i32_e64 s[0:1], v5, v4
	v_mov_b32_e32 v3, 0
	s_and_saveexec_b64 s[4:5], s[0:1]
	s_cbranch_execz .LBB73_108
; %bb.105:
	v_lshlrev_b32_e32 v6, 2, v5
	s_lshl_b32 s8, s33, 2
	s_mov_b64 s[6:7], 0
	v_mov_b32_e32 v3, 0
.LBB73_106:                             ; =>This Inner Loop Header: Depth=1
	ds_read_b32 v7, v6
	v_add_u32_e32 v5, s33, v5
	v_cmp_ge_i32_e64 s[0:1], v5, v4
	v_add_u32_e32 v6, s8, v6
	s_or_b64 s[6:7], s[0:1], s[6:7]
	s_waitcnt lgkmcnt(0)
	v_add_f32_e32 v3, v3, v7
	s_andn2_b64 exec, exec, s[6:7]
	s_cbranch_execnz .LBB73_106
; %bb.107:
	s_or_b64 exec, exec, s[6:7]
.LBB73_108:
	s_or_b64 exec, exec, s[4:5]
.LBB73_109:
	s_or_b64 exec, exec, s[2:3]
	s_cmpk_lt_i32 s33, 0x81
	s_barrier
	ds_write_b32 v1, v3
	s_waitcnt lgkmcnt(0)
	s_barrier
	s_cbranch_scc1 .LBB73_111
; %bb.110:
	ds_read_b32 v4, v1 offset:512
	s_waitcnt lgkmcnt(0)
	s_barrier
	v_add_f32_e32 v3, v3, v4
	ds_write_b32 v1, v3
.LBB73_111:
	s_cmpk_lt_i32 s33, 0x41
	s_waitcnt lgkmcnt(0)
	s_barrier
	s_cbranch_scc1 .LBB73_113
; %bb.112:
	ds_read_b32 v4, v1 offset:256
	s_waitcnt lgkmcnt(0)
	s_barrier
	v_add_f32_e32 v3, v3, v4
	ds_write_b32 v1, v3
.LBB73_113:
	s_cmp_lt_i32 s33, 33
	s_waitcnt lgkmcnt(0)
	s_barrier
	s_cbranch_scc1 .LBB73_115
; %bb.114:
	ds_read_b32 v4, v1 offset:128
	s_waitcnt lgkmcnt(0)
	s_barrier
	v_add_f32_e32 v3, v3, v4
	ds_write_b32 v1, v3
.LBB73_115:
	s_cmp_lt_i32 s33, 17
	;; [unrolled: 11-line block ×4, first 2 shown]
	s_waitcnt lgkmcnt(0)
	s_barrier
	s_cbranch_scc1 .LBB73_121
; %bb.120:
	ds_read_b32 v4, v1 offset:16
	s_waitcnt lgkmcnt(0)
	s_barrier
	v_add_f32_e32 v3, v3, v4
	ds_write_b32 v1, v3
.LBB73_121:
	s_cmp_eq_u32 s33, 2
	s_waitcnt lgkmcnt(0)
	s_barrier
	s_cbranch_scc1 .LBB73_123
; %bb.122:
	ds_read_b32 v4, v1 offset:8
	s_waitcnt lgkmcnt(0)
	s_barrier
	v_add_f32_e32 v3, v3, v4
	ds_write_b32 v1, v3
.LBB73_123:
	s_waitcnt lgkmcnt(0)
	s_barrier
	ds_read_b32 v4, v1 offset:4
	v_cmp_eq_u32_e64 s[0:1], 0, v0
	s_xor_b64 s[2:3], vcc, -1
	s_and_b64 s[0:1], s[0:1], s[2:3]
	s_waitcnt lgkmcnt(0)
	v_add_f32_e32 v4, v3, v4
	s_barrier
	ds_write_b32 v1, v4
	s_and_saveexec_b64 s[2:3], s[0:1]
	s_cbranch_execz .LBB73_127
; %bb.124:
	v_ashrrev_i32_e32 v3, 31, v2
	v_cmp_eq_f32_e64 s[0:1], s34, 0
	s_and_b64 vcc, exec, s[0:1]
	v_lshlrev_b64 v[0:1], 2, v[2:3]
	s_cbranch_vccnz .LBB73_126
; %bb.125:
	v_mov_b32_e32 v3, s37
	v_add_co_u32_e32 v2, vcc, s36, v0
	v_addc_co_u32_e32 v3, vcc, v3, v1, vcc
	global_load_dword v2, v[2:3], off
	s_waitcnt vmcnt(0)
	v_fmac_f32_e32 v4, s34, v2
.LBB73_126:
	v_mov_b32_e32 v2, s37
	v_add_co_u32_e32 v0, vcc, s36, v0
	v_addc_co_u32_e32 v1, vcc, v2, v1, vcc
	global_store_dword v[0:1], v4, off
.LBB73_127:
	s_endpgm
	.section	.rodata,"a",@progbits
	.p2align	6, 0x0
	.amdhsa_kernel _ZN9rocsparseL22csrmvn_adaptive_kernelIii18rocsparse_bfloat16S1_ffEEvbT_PKS2_PjPKT0_NS_24const_host_device_scalarIT4_EES4_S8_PKT1_PKT2_SB_PT3_21rocsparse_index_base_b
		.amdhsa_group_segment_fixed_size 4096
		.amdhsa_private_segment_fixed_size 0
		.amdhsa_kernarg_size 96
		.amdhsa_user_sgpr_count 6
		.amdhsa_user_sgpr_private_segment_buffer 1
		.amdhsa_user_sgpr_dispatch_ptr 0
		.amdhsa_user_sgpr_queue_ptr 0
		.amdhsa_user_sgpr_kernarg_segment_ptr 1
		.amdhsa_user_sgpr_dispatch_id 0
		.amdhsa_user_sgpr_flat_scratch_init 0
		.amdhsa_user_sgpr_kernarg_preload_length 0
		.amdhsa_user_sgpr_kernarg_preload_offset 0
		.amdhsa_user_sgpr_private_segment_size 0
		.amdhsa_uses_dynamic_stack 0
		.amdhsa_system_sgpr_private_segment_wavefront_offset 0
		.amdhsa_system_sgpr_workgroup_id_x 1
		.amdhsa_system_sgpr_workgroup_id_y 0
		.amdhsa_system_sgpr_workgroup_id_z 0
		.amdhsa_system_sgpr_workgroup_info 0
		.amdhsa_system_vgpr_workitem_id 0
		.amdhsa_next_free_vgpr 28
		.amdhsa_next_free_sgpr 58
		.amdhsa_accum_offset 28
		.amdhsa_reserve_vcc 1
		.amdhsa_reserve_flat_scratch 0
		.amdhsa_float_round_mode_32 0
		.amdhsa_float_round_mode_16_64 0
		.amdhsa_float_denorm_mode_32 3
		.amdhsa_float_denorm_mode_16_64 3
		.amdhsa_dx10_clamp 1
		.amdhsa_ieee_mode 1
		.amdhsa_fp16_overflow 0
		.amdhsa_tg_split 0
		.amdhsa_exception_fp_ieee_invalid_op 0
		.amdhsa_exception_fp_denorm_src 0
		.amdhsa_exception_fp_ieee_div_zero 0
		.amdhsa_exception_fp_ieee_overflow 0
		.amdhsa_exception_fp_ieee_underflow 0
		.amdhsa_exception_fp_ieee_inexact 0
		.amdhsa_exception_int_div_zero 0
	.end_amdhsa_kernel
	.section	.text._ZN9rocsparseL22csrmvn_adaptive_kernelIii18rocsparse_bfloat16S1_ffEEvbT_PKS2_PjPKT0_NS_24const_host_device_scalarIT4_EES4_S8_PKT1_PKT2_SB_PT3_21rocsparse_index_base_b,"axG",@progbits,_ZN9rocsparseL22csrmvn_adaptive_kernelIii18rocsparse_bfloat16S1_ffEEvbT_PKS2_PjPKT0_NS_24const_host_device_scalarIT4_EES4_S8_PKT1_PKT2_SB_PT3_21rocsparse_index_base_b,comdat
.Lfunc_end73:
	.size	_ZN9rocsparseL22csrmvn_adaptive_kernelIii18rocsparse_bfloat16S1_ffEEvbT_PKS2_PjPKT0_NS_24const_host_device_scalarIT4_EES4_S8_PKT1_PKT2_SB_PT3_21rocsparse_index_base_b, .Lfunc_end73-_ZN9rocsparseL22csrmvn_adaptive_kernelIii18rocsparse_bfloat16S1_ffEEvbT_PKS2_PjPKT0_NS_24const_host_device_scalarIT4_EES4_S8_PKT1_PKT2_SB_PT3_21rocsparse_index_base_b
                                        ; -- End function
	.section	.AMDGPU.csdata,"",@progbits
; Kernel info:
; codeLenInByte = 4884
; NumSgprs: 62
; NumVgprs: 28
; NumAgprs: 0
; TotalNumVgprs: 28
; ScratchSize: 0
; MemoryBound: 0
; FloatMode: 240
; IeeeMode: 1
; LDSByteSize: 4096 bytes/workgroup (compile time only)
; SGPRBlocks: 7
; VGPRBlocks: 3
; NumSGPRsForWavesPerEU: 62
; NumVGPRsForWavesPerEU: 28
; AccumOffset: 28
; Occupancy: 8
; WaveLimiterHint : 1
; COMPUTE_PGM_RSRC2:SCRATCH_EN: 0
; COMPUTE_PGM_RSRC2:USER_SGPR: 6
; COMPUTE_PGM_RSRC2:TRAP_HANDLER: 0
; COMPUTE_PGM_RSRC2:TGID_X_EN: 1
; COMPUTE_PGM_RSRC2:TGID_Y_EN: 0
; COMPUTE_PGM_RSRC2:TGID_Z_EN: 0
; COMPUTE_PGM_RSRC2:TIDIG_COMP_CNT: 0
; COMPUTE_PGM_RSRC3_GFX90A:ACCUM_OFFSET: 6
; COMPUTE_PGM_RSRC3_GFX90A:TG_SPLIT: 0
	.section	.text._ZN9rocsparseL27csrmvn_symm_adaptive_kernelIii18rocsparse_bfloat16S1_ffEEvbT_S2_PKS2_NS_24const_host_device_scalarIT4_EES4_PKT0_PKT1_PKT2_S7_PT3_21rocsparse_index_base_b,"axG",@progbits,_ZN9rocsparseL27csrmvn_symm_adaptive_kernelIii18rocsparse_bfloat16S1_ffEEvbT_S2_PKS2_NS_24const_host_device_scalarIT4_EES4_PKT0_PKT1_PKT2_S7_PT3_21rocsparse_index_base_b,comdat
	.globl	_ZN9rocsparseL27csrmvn_symm_adaptive_kernelIii18rocsparse_bfloat16S1_ffEEvbT_S2_PKS2_NS_24const_host_device_scalarIT4_EES4_PKT0_PKT1_PKT2_S7_PT3_21rocsparse_index_base_b ; -- Begin function _ZN9rocsparseL27csrmvn_symm_adaptive_kernelIii18rocsparse_bfloat16S1_ffEEvbT_S2_PKS2_NS_24const_host_device_scalarIT4_EES4_PKT0_PKT1_PKT2_S7_PT3_21rocsparse_index_base_b
	.p2align	8
	.type	_ZN9rocsparseL27csrmvn_symm_adaptive_kernelIii18rocsparse_bfloat16S1_ffEEvbT_S2_PKS2_NS_24const_host_device_scalarIT4_EES4_PKT0_PKT1_PKT2_S7_PT3_21rocsparse_index_base_b,@function
_ZN9rocsparseL27csrmvn_symm_adaptive_kernelIii18rocsparse_bfloat16S1_ffEEvbT_S2_PKS2_NS_24const_host_device_scalarIT4_EES4_PKT0_PKT1_PKT2_S7_PT3_21rocsparse_index_base_b: ; @_ZN9rocsparseL27csrmvn_symm_adaptive_kernelIii18rocsparse_bfloat16S1_ffEEvbT_S2_PKS2_NS_24const_host_device_scalarIT4_EES4_PKT0_PKT1_PKT2_S7_PT3_21rocsparse_index_base_b
; %bb.0:
	s_load_dwordx2 s[26:27], s[4:5], 0x50
	s_load_dwordx2 s[28:29], s[4:5], 0x18
	;; [unrolled: 1-line block ×3, first 2 shown]
	s_waitcnt lgkmcnt(0)
	s_bitcmp1_b32 s27, 0
	s_cselect_b64 s[8:9], -1, 0
	s_xor_b64 s[2:3], s[8:9], -1
	s_and_b64 vcc, exec, s[8:9]
	s_cbranch_vccnz .LBB74_2
; %bb.1:
	s_load_dword s28, s[28:29], 0x0
.LBB74_2:
	s_andn2_b64 vcc, exec, s[2:3]
	s_cbranch_vccnz .LBB74_4
; %bb.3:
	s_load_dword s0, s[0:1], 0x0
.LBB74_4:
	s_waitcnt lgkmcnt(0)
	v_cmp_neq_f32_e64 s[2:3], s28, 0
	v_cmp_neq_f32_e64 s[0:1], s0, 1.0
	s_or_b64 s[0:1], s[2:3], s[0:1]
	s_andn2_b64 vcc, exec, s[0:1]
	s_cbranch_vccnz .LBB74_170
; %bb.5:
	s_load_dwordx2 s[0:1], s[4:5], 0x10
	s_ashr_i32 s7, s6, 31
	s_lshl_b64 s[2:3], s[6:7], 2
	v_lshlrev_b32_e32 v1, 2, v0
	v_mov_b32_e32 v2, 0
	s_waitcnt lgkmcnt(0)
	s_add_u32 s0, s0, s2
	s_addc_u32 s1, s1, s3
	ds_write2st64_b32 v1, v2, v2 offset1:4
	ds_write2st64_b32 v1, v2, v2 offset0:8 offset1:12
	s_waitcnt lgkmcnt(0)
	s_barrier
	s_load_dwordx2 s[24:25], s[0:1], 0x0
	s_load_dwordx8 s[16:23], s[4:5], 0x20
	s_load_dwordx2 s[14:15], s[4:5], 0x48
	s_mov_b64 s[0:1], -1
	v_subrev_u32_e32 v8, s26, v0
	s_waitcnt lgkmcnt(0)
	s_sub_i32 s27, s25, s24
	s_cmp_gt_i32 s27, 2
	s_cbranch_scc1 .LBB74_40
; %bb.6:
	s_cmp_gt_i32 s25, s24
	s_cbranch_scc1 .LBB74_8
; %bb.7:
	s_ashr_i32 s1, s24, 31
	s_mov_b32 s0, s24
	s_lshl_b64 s[0:1], s[0:1], 2
	s_add_u32 s0, s16, s0
	s_addc_u32 s1, s17, s1
	s_load_dword s29, s[0:1], 0x0
	s_cbranch_execz .LBB74_9
	s_branch .LBB74_29
.LBB74_8:
                                        ; implicit-def: $sgpr29
	s_andn2_b64 vcc, exec, s[0:1]
	s_cbranch_vccnz .LBB74_29
.LBB74_9:
	s_ashr_i32 s13, s24, 31
	s_mov_b32 s12, s24
	s_lshl_b64 s[12:13], s[12:13], 2
	s_add_u32 s12, s16, s12
	s_addc_u32 s13, s17, s13
	s_waitcnt lgkmcnt(0)
	s_load_dword s29, s[12:13], 0x0
	s_movk_i32 s0, 0x100
	s_add_u32 s33, s16, 4
	v_cmp_gt_u32_e64 s[0:1], s0, v0
	v_cmp_gt_u32_e64 s[2:3], 64, v0
	;; [unrolled: 1-line block ×4, first 2 shown]
	v_cmp_eq_u32_e64 s[10:11], 0, v0
	s_addc_u32 s40, s17, 0
	v_mov_b32_e32 v9, s23
	v_mov_b32_e32 v10, 0
	s_waitcnt lgkmcnt(0)
	s_mov_b32 s31, s29
	s_mov_b32 s30, s24
	s_branch .LBB74_11
.LBB74_10:                              ;   in Loop: Header=BB74_11 Depth=1
	s_or_b64 exec, exec, s[12:13]
	s_add_i32 s30, s30, 1
	s_cmp_ge_i32 s30, s25
	s_cbranch_scc1 .LBB74_29
.LBB74_11:                              ; =>This Loop Header: Depth=1
                                        ;     Child Loop BB74_13 Depth 2
                                        ;     Child Loop BB74_28 Depth 2
	s_mov_b32 s36, s31
	s_ashr_i32 s31, s30, 31
	s_lshl_b64 s[34:35], s[30:31], 2
	s_add_u32 s12, s33, s34
	s_addc_u32 s13, s40, s35
	s_load_dword s31, s[12:13], 0x0
	v_add_u32_e32 v2, s36, v8
	v_mov_b32_e32 v3, 0
	s_waitcnt lgkmcnt(0)
	s_sub_i32 s41, s31, s26
	v_cmp_gt_i32_e32 vcc, s41, v2
	s_and_saveexec_b64 s[36:37], vcc
	s_cbranch_execz .LBB74_15
; %bb.12:                               ;   in Loop: Header=BB74_11 Depth=1
	v_ashrrev_i32_e32 v3, 31, v2
	v_lshlrev_b64 v[4:5], 2, v[2:3]
	v_mov_b32_e32 v6, s19
	v_add_co_u32_e32 v4, vcc, s18, v4
	v_addc_co_u32_e32 v5, vcc, v6, v5, vcc
	v_lshlrev_b64 v[6:7], 1, v[2:3]
	v_mov_b32_e32 v3, s21
	v_add_co_u32_e32 v6, vcc, s20, v6
	v_addc_co_u32_e32 v7, vcc, v3, v7, vcc
	s_mov_b64 s[38:39], 0
	v_mov_b32_e32 v3, 0
.LBB74_13:                              ;   Parent Loop BB74_11 Depth=1
                                        ; =>  This Inner Loop Header: Depth=2
	global_load_dword v11, v[4:5], off
	global_load_ushort v14, v[6:7], off
	v_add_u32_e32 v2, 0x100, v2
	v_cmp_le_i32_e64 s[12:13], s41, v2
	s_or_b64 s[38:39], s[12:13], s[38:39]
	s_waitcnt vmcnt(1)
	v_subrev_u32_e32 v12, s26, v11
	v_ashrrev_i32_e32 v13, 31, v12
	v_lshlrev_b64 v[12:13], 1, v[12:13]
	v_add_co_u32_e32 v12, vcc, s22, v12
	v_addc_co_u32_e32 v13, vcc, v9, v13, vcc
	global_load_ushort v11, v[12:13], off
	v_add_co_u32_e32 v4, vcc, 0x400, v4
	v_addc_co_u32_e32 v5, vcc, 0, v5, vcc
	v_add_co_u32_e32 v6, vcc, 0x200, v6
	s_waitcnt vmcnt(1)
	v_lshlrev_b32_e32 v12, 16, v14
	v_addc_co_u32_e32 v7, vcc, 0, v7, vcc
	s_waitcnt vmcnt(0)
	v_lshlrev_b32_e32 v11, 16, v11
	v_fmac_f32_e32 v3, v12, v11
	s_andn2_b64 exec, exec, s[38:39]
	s_cbranch_execnz .LBB74_13
; %bb.14:                               ;   in Loop: Header=BB74_11 Depth=1
	s_or_b64 exec, exec, s[38:39]
.LBB74_15:                              ;   in Loop: Header=BB74_11 Depth=1
	s_or_b64 exec, exec, s[36:37]
	ds_write_b32 v1, v3
	s_waitcnt lgkmcnt(0)
	s_barrier
	s_and_saveexec_b64 s[12:13], s[0:1]
	s_cbranch_execz .LBB74_17
; %bb.16:                               ;   in Loop: Header=BB74_11 Depth=1
	ds_read2st64_b32 v[2:3], v1 offset1:4
	ds_read2st64_b32 v[4:5], v1 offset0:8 offset1:12
	s_waitcnt lgkmcnt(0)
	v_add_f32_e32 v3, v3, v4
	v_add_f32_e32 v3, v3, v5
	;; [unrolled: 1-line block ×3, first 2 shown]
	ds_write_b32 v1, v2
.LBB74_17:                              ;   in Loop: Header=BB74_11 Depth=1
	s_or_b64 exec, exec, s[12:13]
	s_waitcnt lgkmcnt(0)
	s_barrier
	s_and_saveexec_b64 s[12:13], s[2:3]
	s_cbranch_execz .LBB74_19
; %bb.18:                               ;   in Loop: Header=BB74_11 Depth=1
	ds_read2st64_b32 v[2:3], v1 offset1:1
	ds_read2st64_b32 v[4:5], v1 offset0:2 offset1:3
	s_waitcnt lgkmcnt(0)
	v_add_f32_e32 v3, v3, v4
	v_add_f32_e32 v3, v3, v5
	;; [unrolled: 1-line block ×3, first 2 shown]
	ds_write_b32 v1, v2
.LBB74_19:                              ;   in Loop: Header=BB74_11 Depth=1
	s_or_b64 exec, exec, s[12:13]
	s_waitcnt lgkmcnt(0)
	s_barrier
	s_and_saveexec_b64 s[12:13], s[6:7]
	s_cbranch_execz .LBB74_21
; %bb.20:                               ;   in Loop: Header=BB74_11 Depth=1
	ds_read2_b32 v[2:3], v1 offset1:16
	ds_read2_b32 v[4:5], v1 offset0:32 offset1:48
	s_waitcnt lgkmcnt(0)
	v_add_f32_e32 v3, v3, v4
	v_add_f32_e32 v3, v3, v5
	;; [unrolled: 1-line block ×3, first 2 shown]
	ds_write_b32 v1, v2
.LBB74_21:                              ;   in Loop: Header=BB74_11 Depth=1
	s_or_b64 exec, exec, s[12:13]
	s_waitcnt lgkmcnt(0)
	s_barrier
	s_and_saveexec_b64 s[12:13], s[8:9]
	s_cbranch_execz .LBB74_23
; %bb.22:                               ;   in Loop: Header=BB74_11 Depth=1
	ds_read2_b32 v[2:3], v1 offset1:4
	ds_read2_b32 v[4:5], v1 offset0:8 offset1:12
	s_waitcnt lgkmcnt(0)
	v_add_f32_e32 v3, v3, v4
	v_add_f32_e32 v3, v3, v5
	;; [unrolled: 1-line block ×3, first 2 shown]
	ds_write_b32 v1, v2
.LBB74_23:                              ;   in Loop: Header=BB74_11 Depth=1
	s_or_b64 exec, exec, s[12:13]
	s_waitcnt lgkmcnt(0)
	s_barrier
	s_and_saveexec_b64 s[12:13], s[10:11]
	s_cbranch_execz .LBB74_25
; %bb.24:                               ;   in Loop: Header=BB74_11 Depth=1
	ds_read2_b32 v[2:3], v10 offset0:1 offset1:2
	ds_read_b32 v4, v10 offset:12
	ds_read_b32 v5, v1
	s_waitcnt lgkmcnt(2)
	v_add_f32_e32 v2, v2, v3
	s_waitcnt lgkmcnt(1)
	v_add_f32_e32 v2, v2, v4
	s_waitcnt lgkmcnt(0)
	v_add_f32_e32 v2, v5, v2
	ds_write_b32 v1, v2
.LBB74_25:                              ;   in Loop: Header=BB74_11 Depth=1
	s_or_b64 exec, exec, s[12:13]
	s_waitcnt lgkmcnt(0)
	s_barrier
	s_and_saveexec_b64 s[12:13], s[10:11]
	s_cbranch_execz .LBB74_10
; %bb.26:                               ;   in Loop: Header=BB74_11 Depth=1
	s_mov_b64 s[36:37], exec
	v_mbcnt_lo_u32_b32 v2, s36, 0
	v_mbcnt_hi_u32_b32 v2, s37, v2
	v_cmp_eq_u32_e32 vcc, 0, v2
	s_and_b64 s[38:39], exec, vcc
	s_mov_b64 exec, s[38:39]
	s_cbranch_execz .LBB74_10
; %bb.27:                               ;   in Loop: Header=BB74_11 Depth=1
	s_add_u32 s34, s14, s34
	s_addc_u32 s35, s15, s35
	global_load_dword v3, v10, s[34:35]
	ds_read_b32 v2, v10
	s_bcnt1_i32_b64 s36, s[36:37]
	v_cvt_f32_ubyte0_e32 v4, s36
	s_mov_b64 s[36:37], 0
	s_waitcnt lgkmcnt(0)
	v_mul_f32_e32 v2, s28, v2
	v_mul_f32_e32 v4, v2, v4
.LBB74_28:                              ;   Parent Loop BB74_11 Depth=1
                                        ; =>  This Inner Loop Header: Depth=2
	s_waitcnt vmcnt(0)
	v_add_f32_e32 v2, v3, v4
	global_atomic_cmpswap v2, v10, v[2:3], s[34:35] glc
	s_waitcnt vmcnt(0)
	v_cmp_eq_u32_e32 vcc, v2, v3
	s_or_b64 s[36:37], vcc, s[36:37]
	v_mov_b32_e32 v3, v2
	s_andn2_b64 exec, exec, s[36:37]
	s_cbranch_execnz .LBB74_28
	s_branch .LBB74_10
.LBB74_29:
	s_ashr_i32 s1, s25, 31
	s_mov_b32 s0, s25
	s_lshl_b64 s[0:1], s[0:1], 2
	s_add_u32 s0, s16, s0
	s_addc_u32 s1, s17, s1
	s_load_dword s0, s[0:1], 0x0
	s_waitcnt lgkmcnt(0)
	v_add_u32_e32 v2, s29, v8
	s_sub_i32 s12, s0, s26
	v_cmp_gt_i32_e32 vcc, s12, v2
	s_and_saveexec_b64 s[6:7], vcc
	s_cbranch_execz .LBB74_39
; %bb.30:
	s_add_i32 s13, s25, -1
	s_cmp_gt_i32 s13, s24
	s_cselect_b64 s[0:1], -1, 0
	s_add_i32 s2, s25, -2
	s_cmp_lg_u32 s2, s24
	s_cselect_b64 s[2:3], -1, 0
	s_and_b64 s[0:1], s[0:1], s[2:3]
	v_cndmask_b32_e64 v3, 0, 1, s[0:1]
	s_mov_b64 s[8:9], 0
	v_cmp_ne_u32_e64 s[0:1], 1, v3
	v_mov_b32_e32 v9, s17
	v_mov_b32_e32 v10, s19
	s_branch .LBB74_32
.LBB74_31:                              ;   in Loop: Header=BB74_32 Depth=1
	s_or_b64 exec, exec, s[2:3]
	v_add_u32_e32 v2, 0x100, v2
	v_cmp_le_i32_e32 vcc, s12, v2
	s_or_b64 s[8:9], vcc, s[8:9]
	s_andn2_b64 exec, exec, s[8:9]
	s_cbranch_execz .LBB74_39
.LBB74_32:                              ; =>This Loop Header: Depth=1
                                        ;     Child Loop BB74_34 Depth 2
                                        ;     Child Loop BB74_38 Depth 2
	s_and_b64 vcc, exec, s[0:1]
	v_mov_b32_e32 v6, s24
	v_mov_b32_e32 v4, s13
	s_cbranch_vccnz .LBB74_36
; %bb.33:                               ;   in Loop: Header=BB74_32 Depth=1
	s_mov_b64 s[10:11], 0
	v_mov_b32_e32 v6, s24
	v_mov_b32_e32 v4, s13
.LBB74_34:                              ;   Parent Loop BB74_32 Depth=1
                                        ; =>  This Inner Loop Header: Depth=2
	v_add_u32_e32 v3, v4, v6
	v_lshrrev_b32_e32 v7, 31, v3
	v_add_u32_e32 v3, v3, v7
	v_ashrrev_i32_e32 v12, 1, v3
	v_ashrrev_i32_e32 v13, 31, v12
	v_lshlrev_b64 v[14:15], 2, v[12:13]
	v_mov_b32_e32 v5, s17
	v_add_co_u32_e32 v14, vcc, s16, v14
	v_addc_co_u32_e32 v15, vcc, v5, v15, vcc
	global_load_dword v3, v[14:15], off
	s_waitcnt vmcnt(0)
	v_subrev_u32_e32 v3, s26, v3
	v_cmp_gt_i32_e32 vcc, v3, v2
	v_cndmask_b32_e32 v4, v4, v12, vcc
	v_cndmask_b32_e32 v6, v12, v6, vcc
	v_add_u32_e32 v3, -1, v4
	v_cmp_ge_i32_e32 vcc, v6, v4
	v_cmp_eq_u32_e64 s[2:3], v6, v3
	s_or_b64 s[2:3], vcc, s[2:3]
	s_and_b64 s[2:3], exec, s[2:3]
	s_or_b64 s[10:11], s[2:3], s[10:11]
	s_andn2_b64 exec, exec, s[10:11]
	s_cbranch_execnz .LBB74_34
; %bb.35:                               ;   in Loop: Header=BB74_32 Depth=1
	s_or_b64 exec, exec, s[10:11]
.LBB74_36:                              ;   in Loop: Header=BB74_32 Depth=1
	v_ashrrev_i32_e32 v5, 31, v4
	v_lshlrev_b64 v[12:13], 2, v[4:5]
	v_add_co_u32_e32 v12, vcc, s16, v12
	v_addc_co_u32_e32 v13, vcc, v9, v13, vcc
	v_ashrrev_i32_e32 v3, 31, v2
	global_load_dword v5, v[12:13], off
	v_lshlrev_b64 v[12:13], 2, v[2:3]
	v_add_co_u32_e32 v12, vcc, s18, v12
	v_addc_co_u32_e32 v13, vcc, v10, v13, vcc
	global_load_dword v7, v[12:13], off
	s_waitcnt vmcnt(1)
	v_subrev_u32_e32 v5, s26, v5
	v_cmp_gt_i32_e32 vcc, v5, v2
	v_cndmask_b32_e32 v4, v4, v6, vcc
	s_waitcnt vmcnt(0)
	v_subrev_u32_e32 v6, s26, v7
	v_cmp_ne_u32_e32 vcc, v6, v4
	s_and_saveexec_b64 s[2:3], vcc
	s_cbranch_execz .LBB74_31
; %bb.37:                               ;   in Loop: Header=BB74_32 Depth=1
	v_lshlrev_b64 v[12:13], 1, v[2:3]
	v_mov_b32_e32 v3, s21
	v_add_co_u32_e32 v12, vcc, s20, v12
	v_ashrrev_i32_e32 v5, 31, v4
	v_addc_co_u32_e32 v13, vcc, v3, v13, vcc
	v_lshlrev_b64 v[4:5], 1, v[4:5]
	v_ashrrev_i32_e32 v7, 31, v6
	global_load_ushort v3, v[12:13], off
	v_mov_b32_e32 v12, s23
	v_add_co_u32_e32 v4, vcc, s22, v4
	v_lshlrev_b64 v[6:7], 2, v[6:7]
	v_addc_co_u32_e32 v5, vcc, v12, v5, vcc
	v_mov_b32_e32 v11, s15
	global_load_ushort v12, v[4:5], off
	v_add_co_u32_e32 v4, vcc, s14, v6
	v_addc_co_u32_e32 v5, vcc, v11, v7, vcc
	global_load_dword v7, v[4:5], off
	s_mov_b64 s[10:11], 0
	s_waitcnt vmcnt(2)
	v_lshlrev_b32_e32 v3, 16, v3
	v_mul_f32_e32 v3, s28, v3
	s_waitcnt vmcnt(1)
	v_lshlrev_b32_e32 v6, 16, v12
	v_mul_f32_e32 v3, v3, v6
.LBB74_38:                              ;   Parent Loop BB74_32 Depth=1
                                        ; =>  This Inner Loop Header: Depth=2
	s_waitcnt vmcnt(0)
	v_add_f32_e32 v6, v7, v3
	global_atomic_cmpswap v6, v[4:5], v[6:7], off glc
	s_waitcnt vmcnt(0)
	v_cmp_eq_u32_e32 vcc, v6, v7
	s_or_b64 s[10:11], vcc, s[10:11]
	v_mov_b32_e32 v7, v6
	s_andn2_b64 exec, exec, s[10:11]
	s_cbranch_execnz .LBB74_38
	s_branch .LBB74_31
.LBB74_39:
	s_or_b64 exec, exec, s[6:7]
	s_mov_b64 s[0:1], 0
.LBB74_40:
	s_and_b64 vcc, exec, s[0:1]
	s_cbranch_vccz .LBB74_170
; %bb.41:
	v_cvt_f32_u32_e32 v2, s27
	s_ashr_i32 s1, s24, 31
	s_mov_b32 s0, s24
	s_sub_i32 s2, 0, s27
	v_rcp_iflag_f32_e32 v2, v2
	s_lshl_b64 s[0:1], s[0:1], 2
	s_add_u32 s6, s16, s0
	s_addc_u32 s7, s17, s1
	v_mul_f32_e32 v2, 0x4f7ffffe, v2
	v_cvt_u32_f32_e32 v2, v2
	s_load_dword s33, s[6:7], 0x0
	s_load_dwordx2 s[8:9], s[4:5], 0x4
	s_load_dword s40, s[4:5], 0x64
	v_readfirstlane_b32 s41, v2
	s_waitcnt lgkmcnt(0)
	v_add_u32_e32 v2, s33, v8
	s_mul_i32 s2, s2, s41
	v_add_u32_e32 v10, 0x300, v2
	s_mul_hi_u32 s42, s41, s2
	v_cmp_le_i32_e32 vcc, s8, v10
	s_and_saveexec_b64 s[0:1], vcc
	s_xor_b64 s[2:3], exec, s[0:1]
	s_cbranch_execz .LBB74_58
; %bb.42:
	s_ashr_i32 s1, s25, 31
	s_mov_b32 s0, s25
	s_lshl_b64 s[0:1], s[0:1], 2
	s_add_u32 s0, s16, s0
	s_addc_u32 s1, s17, s1
	s_load_dword s10, s[0:1], 0x0
	s_waitcnt lgkmcnt(0)
	s_sub_i32 s8, s10, s33
	v_cmp_gt_i32_e64 s[0:1], s8, v0
	s_and_saveexec_b64 s[4:5], s[0:1]
	s_cbranch_execz .LBB74_57
; %bb.43:
	v_xad_u32 v3, v0, -1, s10
	v_subrev_u32_e32 v4, s33, v3
	s_movk_i32 s0, 0xf00
	v_cmp_gt_u32_e64 s[10:11], s0, v4
	s_movk_i32 s0, 0xeff
	v_cmp_lt_u32_e64 s[0:1], s0, v4
	v_mov_b32_e32 v3, 0
	s_and_saveexec_b64 s[12:13], s[0:1]
	s_cbranch_execz .LBB74_54
; %bb.44:
	v_and_b32_e32 v3, 0xffffff00, v4
	v_add_u32_e32 v3, v2, v3
	v_cmp_ge_i32_e64 s[0:1], v3, v2
	s_mov_b64 s[34:35], -1
	v_mov_b32_e32 v3, 0
	s_and_saveexec_b64 s[30:31], s[0:1]
	s_cbranch_execz .LBB74_53
; %bb.45:
	v_lshrrev_b32_e32 v3, 8, v4
	v_add_u32_e32 v4, -1, v3
	v_lshrrev_b32_e32 v5, 1, v4
	s_movk_i32 s35, 0x100
	s_mov_b32 s34, 0
	s_mov_b32 s29, s28
	v_add_u32_e32 v6, 1, v5
	v_cmp_lt_u32_e64 s[0:1], 5, v4
	v_pk_mov_b32 v[4:5], s[34:35], s[34:35] op_sel:[0,1]
	s_and_saveexec_b64 s[36:37], s[0:1]
	s_cbranch_execz .LBB74_49
; %bb.46:
	v_and_b32_e32 v7, -4, v6
	s_mov_b64 s[38:39], 0
	v_mov_b32_e32 v8, s21
.LBB74_47:                              ; =>This Inner Loop Header: Depth=1
	v_add_u32_e32 v4, s34, v2
	v_ashrrev_i32_e32 v5, 31, v4
	v_add_u32_e32 v12, s35, v2
	v_lshlrev_b64 v[4:5], 1, v[4:5]
	s_add_i32 s44, s34, 0x200
	v_ashrrev_i32_e32 v13, 31, v12
	v_add_co_u32_e64 v4, s[0:1], s20, v4
	v_add_u32_e32 v14, s44, v2
	v_lshlrev_b64 v[12:13], 1, v[12:13]
	v_addc_co_u32_e64 v5, s[0:1], v8, v5, s[0:1]
	s_add_i32 s43, s35, 0x200
	v_ashrrev_i32_e32 v15, 31, v14
	v_add_co_u32_e64 v12, s[0:1], s20, v12
	v_add_u32_e32 v16, s43, v2
	v_addc_co_u32_e64 v13, s[0:1], v8, v13, s[0:1]
	v_lshlrev_b64 v[14:15], 1, v[14:15]
	s_add_i32 s46, s34, 0x400
	v_ashrrev_i32_e32 v17, 31, v16
	global_load_ushort v9, v[4:5], off
	global_load_ushort v11, v[12:13], off
	v_add_co_u32_e64 v4, s[0:1], s20, v14
	v_add_u32_e32 v18, s46, v2
	v_lshlrev_b64 v[16:17], 1, v[16:17]
	v_addc_co_u32_e64 v5, s[0:1], v8, v15, s[0:1]
	s_add_i32 s45, s35, 0x400
	v_ashrrev_i32_e32 v19, 31, v18
	v_add_co_u32_e64 v12, s[0:1], s20, v16
	v_add_u32_e32 v20, s45, v2
	v_lshlrev_b64 v[18:19], 1, v[18:19]
	v_addc_co_u32_e64 v13, s[0:1], v8, v17, s[0:1]
	s_add_i32 s48, s34, 0x600
	v_ashrrev_i32_e32 v21, 31, v20
	;; [unrolled: 6-line block ×3, first 2 shown]
	v_add_co_u32_e64 v16, s[0:1], s20, v20
	v_add_u32_e32 v24, s47, v2
	v_lshlrev_b64 v[22:23], 1, v[22:23]
	v_addc_co_u32_e64 v17, s[0:1], v8, v21, s[0:1]
	v_ashrrev_i32_e32 v25, 31, v24
	v_add_co_u32_e64 v18, s[0:1], s20, v22
	v_lshlrev_b64 v[24:25], 1, v[24:25]
	v_addc_co_u32_e64 v19, s[0:1], v8, v23, s[0:1]
	v_add_co_u32_e64 v20, s[0:1], s20, v24
	v_addc_co_u32_e64 v21, s[0:1], v8, v25, s[0:1]
	global_load_ushort v22, v[12:13], off
	global_load_ushort v23, v[4:5], off
	s_nop 0
	global_load_ushort v16, v[16:17], off
	s_nop 0
	;; [unrolled: 2-line block ×4, first 2 shown]
	global_load_ushort v18, v[18:19], off
	v_add_u32_e32 v7, -4, v7
	v_add_lshl_u32 v21, s34, v0, 2
	v_add_lshl_u32 v25, s35, v0, 2
	s_addk_i32 s35, 0x800
	s_addk_i32 s34, 0x800
	v_cmp_eq_u32_e64 s[0:1], 0, v7
	v_add_lshl_u32 v26, s44, v0, 2
	v_pk_mov_b32 v[4:5], s[34:35], s[34:35] op_sel:[0,1]
	s_or_b64 s[38:39], s[0:1], s[38:39]
	v_add_lshl_u32 v27, s43, v0, 2
	v_add_lshl_u32 v28, s46, v0, 2
	;; [unrolled: 1-line block ×5, first 2 shown]
	s_waitcnt vmcnt(7)
	v_lshlrev_b32_e32 v12, 16, v9
	s_waitcnt vmcnt(6)
	v_lshlrev_b32_e32 v13, 16, v11
	v_pk_mul_f32 v[12:13], s[28:29], v[12:13]
	ds_write_b32 v21, v12
	ds_write_b32 v25, v13
	s_waitcnt vmcnt(5)
	v_lshlrev_b32_e32 v15, 16, v22
	s_waitcnt vmcnt(4)
	v_lshlrev_b32_e32 v14, 16, v23
	;; [unrolled: 2-line block ×6, first 2 shown]
	v_pk_mul_f32 v[12:13], s[28:29], v[14:15]
	v_pk_mul_f32 v[14:15], s[28:29], v[16:17]
	;; [unrolled: 1-line block ×3, first 2 shown]
	ds_write_b32 v26, v12
	ds_write_b32 v27, v13
	;; [unrolled: 1-line block ×6, first 2 shown]
	s_andn2_b64 exec, exec, s[38:39]
	s_cbranch_execnz .LBB74_47
; %bb.48:
	s_or_b64 exec, exec, s[38:39]
.LBB74_49:
	s_or_b64 exec, exec, s[36:37]
	v_and_b32_e32 v6, 3, v6
	v_cmp_ne_u32_e64 s[0:1], 0, v6
	s_and_saveexec_b64 s[34:35], s[0:1]
	s_cbranch_execz .LBB74_52
; %bb.50:
	s_mov_b64 s[36:37], 0
	v_mov_b32_e32 v7, s21
.LBB74_51:                              ; =>This Inner Loop Header: Depth=1
	v_add_u32_e32 v8, v4, v2
	v_ashrrev_i32_e32 v9, 31, v8
	v_add_u32_e32 v12, v5, v2
	v_lshlrev_b64 v[8:9], 1, v[8:9]
	v_ashrrev_i32_e32 v13, 31, v12
	v_add_co_u32_e64 v8, s[0:1], s20, v8
	v_lshlrev_b64 v[12:13], 1, v[12:13]
	v_addc_co_u32_e64 v9, s[0:1], v7, v9, s[0:1]
	v_add_co_u32_e64 v12, s[0:1], s20, v12
	v_addc_co_u32_e64 v13, s[0:1], v7, v13, s[0:1]
	global_load_ushort v11, v[12:13], off
	global_load_ushort v14, v[8:9], off
	v_add_u32_e32 v6, -1, v6
	v_cmp_eq_u32_e64 s[0:1], 0, v6
	v_add_lshl_u32 v12, v4, v0, 2
	v_add_lshl_u32 v13, v5, v0, 2
	v_add_u32_e32 v5, 0x200, v5
	v_add_u32_e32 v4, 0x200, v4
	s_or_b64 s[36:37], s[0:1], s[36:37]
	s_waitcnt vmcnt(1)
	v_lshlrev_b32_e32 v9, 16, v11
	s_waitcnt vmcnt(0)
	v_lshlrev_b32_e32 v8, 16, v14
	v_pk_mul_f32 v[8:9], s[28:29], v[8:9]
	ds_write_b32 v12, v8
	ds_write_b32 v13, v9
	s_andn2_b64 exec, exec, s[36:37]
	s_cbranch_execnz .LBB74_51
.LBB74_52:
	s_or_b64 exec, exec, s[34:35]
	v_add_u32_e32 v4, 1, v3
	v_and_b32_e32 v5, 0x1fffffe, v4
	v_cmp_ne_u32_e64 s[0:1], v4, v5
	v_lshlrev_b32_e32 v3, 8, v5
	s_orn2_b64 s[34:35], s[0:1], exec
.LBB74_53:
	s_or_b64 exec, exec, s[30:31]
	s_andn2_b64 s[0:1], s[10:11], exec
	s_and_b64 s[10:11], s[34:35], exec
	s_or_b64 s[10:11], s[0:1], s[10:11]
.LBB74_54:
	s_or_b64 exec, exec, s[12:13]
	s_and_b64 exec, exec, s[10:11]
	s_cbranch_execz .LBB74_57
; %bb.55:
	v_lshlrev_b32_e32 v4, 2, v3
	v_lshl_add_u32 v4, v0, 2, v4
	v_add_u32_e32 v3, v0, v3
	s_sub_i32 s12, s33, s26
	s_mov_b64 s[10:11], 0
	v_mov_b32_e32 v5, s21
.LBB74_56:                              ; =>This Inner Loop Header: Depth=1
	v_add_u32_e32 v6, s12, v3
	v_ashrrev_i32_e32 v7, 31, v6
	v_lshlrev_b64 v[6:7], 1, v[6:7]
	v_add_co_u32_e64 v6, s[0:1], s20, v6
	v_addc_co_u32_e64 v7, s[0:1], v5, v7, s[0:1]
	global_load_ushort v6, v[6:7], off
	v_add_u32_e32 v3, 0x100, v3
	v_cmp_le_i32_e64 s[0:1], s8, v3
	s_or_b64 s[10:11], s[0:1], s[10:11]
	s_waitcnt vmcnt(0)
	v_lshlrev_b32_e32 v6, 16, v6
	v_mul_f32_e32 v6, s28, v6
	ds_write_b32 v4, v6
	v_add_u32_e32 v4, 0x400, v4
	s_andn2_b64 exec, exec, s[10:11]
	s_cbranch_execnz .LBB74_56
.LBB74_57:
	s_or_b64 exec, exec, s[4:5]
.LBB74_58:
	s_or_saveexec_b64 s[2:3], s[2:3]
	s_and_b32 s30, s40, 0xffff
	s_add_i32 s41, s41, s42
	v_ashrrev_i32_e32 v3, 31, v2
	s_xor_b64 exec, exec, s[2:3]
	s_cbranch_execz .LBB74_60
; %bb.59:
	v_lshlrev_b64 v[4:5], 1, v[2:3]
	v_mov_b32_e32 v6, s21
	v_add_co_u32_e64 v4, s[0:1], s20, v4
	v_addc_co_u32_e64 v5, s[0:1], v6, v5, s[0:1]
	global_load_ushort v6, v[4:5], off
	global_load_ushort v7, v[4:5], off offset:512
	global_load_ushort v8, v[4:5], off offset:1024
	;; [unrolled: 1-line block ×3, first 2 shown]
	s_waitcnt vmcnt(3)
	v_lshlrev_b32_e32 v4, 16, v6
	s_waitcnt vmcnt(2)
	v_lshlrev_b32_e32 v5, 16, v7
	;; [unrolled: 2-line block ×4, first 2 shown]
	v_mul_f32_e32 v4, s28, v4
	v_mul_f32_e32 v5, s28, v5
	;; [unrolled: 1-line block ×4, first 2 shown]
	ds_write2st64_b32 v1, v4, v5 offset1:4
	ds_write2st64_b32 v1, v6, v7 offset0:8 offset1:12
.LBB74_60:
	s_or_b64 exec, exec, s[2:3]
	s_mul_hi_u32 s8, s30, s41
	v_cmp_gt_i32_e64 s[0:1], s9, v0
	s_and_saveexec_b64 s[2:3], s[0:1]
	s_cbranch_execz .LBB74_63
; %bb.61:
	v_mov_b32_e32 v4, 0x1000
	v_lshl_add_u32 v4, v0, 2, v4
	s_mov_b64 s[4:5], 0
	v_mov_b32_e32 v5, 0
	v_mov_b32_e32 v6, v0
.LBB74_62:                              ; =>This Inner Loop Header: Depth=1
	v_add_u32_e32 v6, 0x100, v6
	v_cmp_le_i32_e64 s[0:1], s9, v6
	ds_write_b32 v4, v5
	s_or_b64 s[4:5], s[0:1], s[4:5]
	v_add_u32_e32 v4, 0x400, v4
	s_andn2_b64 exec, exec, s[4:5]
	s_cbranch_execnz .LBB74_62
.LBB74_63:
	s_or_b64 exec, exec, s[2:3]
	s_sub_i32 s0, s25, s9
	s_cmp_ge_i32 s25, s9
	s_cselect_b32 s31, s0, 0
	s_waitcnt lgkmcnt(0)
	s_barrier
	s_and_saveexec_b64 s[0:1], vcc
	s_xor_b64 s[4:5], exec, s[0:1]
	s_cbranch_execz .LBB74_79
; %bb.64:
	s_ashr_i32 s1, s25, 31
	s_mov_b32 s0, s25
	s_lshl_b64 s[0:1], s[0:1], 2
	s_add_u32 s0, s16, s0
	s_addc_u32 s1, s17, s1
	s_load_dword s0, s[0:1], 0x0
	s_waitcnt lgkmcnt(0)
	s_sub_i32 s34, s0, s33
	v_cmp_gt_i32_e32 vcc, s34, v0
	s_and_saveexec_b64 s[10:11], vcc
	s_cbranch_execz .LBB74_78
; %bb.65:
	s_add_i32 s35, s25, -1
	s_cmp_gt_i32 s35, s24
	s_cselect_b64 s[2:3], -1, 0
	s_add_i32 s1, s25, -2
	s_cmp_lg_u32 s1, s24
	s_cselect_b64 s[20:21], -1, 0
	s_sub_i32 s36, s0, s26
	s_and_b64 s[0:1], s[2:3], s[20:21]
	v_cndmask_b32_e64 v3, 0, 1, s[0:1]
	s_mov_b32 s37, 0
	s_mov_b64 s[12:13], 0
	v_cmp_ne_u32_e64 s[0:1], 1, v3
	v_mov_b32_e32 v3, s17
	v_mov_b32_e32 v10, s19
	;; [unrolled: 1-line block ×3, first 2 shown]
	s_branch .LBB74_67
.LBB74_66:                              ;   in Loop: Header=BB74_67 Depth=1
	s_or_b64 exec, exec, s[20:21]
	s_addk_i32 s37, 0x100
	v_add_u32_e32 v4, s37, v0
	v_cmp_le_i32_e32 vcc, s34, v4
	s_or_b64 s[12:13], vcc, s[12:13]
	s_andn2_b64 exec, exec, s[12:13]
	s_cbranch_execz .LBB74_78
.LBB74_67:                              ; =>This Loop Header: Depth=1
                                        ;     Child Loop BB74_69 Depth 2
                                        ;     Child Loop BB74_74 Depth 2
	v_add_u32_e32 v4, s37, v2
	s_and_b64 vcc, exec, s[0:1]
	v_mov_b32_e32 v9, s24
	v_mov_b32_e32 v6, s35
	s_cbranch_vccnz .LBB74_71
; %bb.68:                               ;   in Loop: Header=BB74_67 Depth=1
	s_mov_b64 s[20:21], 0
	v_mov_b32_e32 v9, s24
	v_mov_b32_e32 v6, s35
.LBB74_69:                              ;   Parent Loop BB74_67 Depth=1
                                        ; =>  This Inner Loop Header: Depth=2
	v_add_u32_e32 v5, v6, v9
	v_lshrrev_b32_e32 v8, 31, v5
	v_add_u32_e32 v5, v5, v8
	v_ashrrev_i32_e32 v12, 1, v5
	v_ashrrev_i32_e32 v13, 31, v12
	v_lshlrev_b64 v[14:15], 2, v[12:13]
	v_mov_b32_e32 v7, s17
	v_add_co_u32_e32 v14, vcc, s16, v14
	v_addc_co_u32_e32 v15, vcc, v7, v15, vcc
	global_load_dword v5, v[14:15], off
	s_waitcnt vmcnt(0)
	v_subrev_u32_e32 v5, s26, v5
	v_cmp_gt_i32_e32 vcc, v5, v4
	v_cndmask_b32_e32 v6, v6, v12, vcc
	v_cndmask_b32_e32 v9, v12, v9, vcc
	v_add_u32_e32 v5, -1, v6
	v_cmp_ge_i32_e32 vcc, v9, v6
	v_cmp_eq_u32_e64 s[2:3], v9, v5
	s_or_b64 s[2:3], vcc, s[2:3]
	s_and_b64 s[2:3], exec, s[2:3]
	s_or_b64 s[20:21], s[2:3], s[20:21]
	s_andn2_b64 exec, exec, s[20:21]
	s_cbranch_execnz .LBB74_69
; %bb.70:                               ;   in Loop: Header=BB74_67 Depth=1
	s_or_b64 exec, exec, s[20:21]
.LBB74_71:                              ;   in Loop: Header=BB74_67 Depth=1
	v_ashrrev_i32_e32 v7, 31, v6
	v_lshlrev_b64 v[12:13], 2, v[6:7]
	v_add_co_u32_e32 v12, vcc, s16, v12
	v_addc_co_u32_e32 v13, vcc, v3, v13, vcc
	v_ashrrev_i32_e32 v5, 31, v4
	global_load_dword v7, v[12:13], off
	v_lshlrev_b64 v[12:13], 2, v[4:5]
	v_add_co_u32_e32 v12, vcc, s18, v12
	v_addc_co_u32_e32 v13, vcc, v10, v13, vcc
	global_load_dword v5, v[12:13], off
	v_cmp_gt_i32_e64 s[2:3], s36, v4
	s_waitcnt vmcnt(1)
	v_subrev_u32_e32 v7, s26, v7
	v_cmp_gt_i32_e32 vcc, v7, v4
	v_cndmask_b32_e32 v6, v6, v9, vcc
	s_waitcnt vmcnt(0)
	v_subrev_u32_e32 v8, s26, v5
	v_cmp_ne_u32_e32 vcc, v8, v6
	s_and_b64 s[2:3], vcc, s[2:3]
	s_and_saveexec_b64 s[20:21], s[2:3]
	s_cbranch_execz .LBB74_66
; %bb.72:                               ;   in Loop: Header=BB74_67 Depth=1
	v_ashrrev_i32_e32 v7, 31, v6
	v_lshlrev_b64 v[4:5], 1, v[6:7]
	v_mov_b32_e32 v6, s23
	v_add_co_u32_e32 v4, vcc, s22, v4
	v_addc_co_u32_e32 v5, vcc, v6, v5, vcc
	global_load_ushort v4, v[4:5], off
	v_lshl_add_u32 v5, s37, 2, v1
	ds_read_b32 v5, v5
	v_cmp_gt_i32_e32 vcc, s31, v8
	v_cmp_le_i32_e64 s[2:3], s25, v8
	s_or_b64 s[2:3], vcc, s[2:3]
	s_waitcnt vmcnt(0)
	v_lshlrev_b32_e32 v4, 16, v4
	s_waitcnt lgkmcnt(0)
	v_mul_f32_e32 v12, v5, v4
	s_and_saveexec_b64 s[28:29], s[2:3]
	s_xor_b64 s[2:3], exec, s[28:29]
	s_cbranch_execz .LBB74_76
; %bb.73:                               ;   in Loop: Header=BB74_67 Depth=1
	v_ashrrev_i32_e32 v9, 31, v8
	v_lshlrev_b64 v[4:5], 2, v[8:9]
	v_mov_b32_e32 v6, s15
	v_add_co_u32_e32 v4, vcc, s14, v4
	v_addc_co_u32_e32 v5, vcc, v6, v5, vcc
	global_load_dword v7, v[4:5], off
	s_mov_b64 s[28:29], 0
.LBB74_74:                              ;   Parent Loop BB74_67 Depth=1
                                        ; =>  This Inner Loop Header: Depth=2
	s_waitcnt vmcnt(0)
	v_add_f32_e32 v6, v7, v12
	global_atomic_cmpswap v6, v[4:5], v[6:7], off glc
	s_waitcnt vmcnt(0)
	v_cmp_eq_u32_e32 vcc, v6, v7
	s_or_b64 s[28:29], vcc, s[28:29]
	v_mov_b32_e32 v7, v6
	s_andn2_b64 exec, exec, s[28:29]
	s_cbranch_execnz .LBB74_74
; %bb.75:                               ;   in Loop: Header=BB74_67 Depth=1
	s_or_b64 exec, exec, s[28:29]
                                        ; implicit-def: $vgpr8
                                        ; implicit-def: $vgpr12
.LBB74_76:                              ;   in Loop: Header=BB74_67 Depth=1
	s_andn2_saveexec_b64 s[2:3], s[2:3]
	s_cbranch_execz .LBB74_66
; %bb.77:                               ;   in Loop: Header=BB74_67 Depth=1
	v_subrev_u32_e32 v4, s31, v8
	v_lshl_add_u32 v4, v4, 2, v11
	ds_add_f32 v4, v12
	s_branch .LBB74_66
.LBB74_78:
	s_or_b64 exec, exec, s[10:11]
                                        ; implicit-def: $vgpr10
                                        ; implicit-def: $vgpr2
.LBB74_79:
	s_andn2_saveexec_b64 s[4:5], s[4:5]
	s_cbranch_execz .LBB74_129
; %bb.80:
	s_add_i32 s20, s25, -1
	s_cmp_le_i32 s20, s24
	s_cselect_b64 s[0:1], -1, 0
	s_add_i32 s2, s25, -2
	s_cmp_eq_u32 s2, s24
	s_cselect_b64 s[2:3], -1, 0
	s_or_b64 s[2:3], s[0:1], s[2:3]
	s_and_b64 vcc, exec, s[2:3]
	v_mov_b32_e32 v8, s24
	v_mov_b32_e32 v6, s20
	s_cbranch_vccnz .LBB74_84
; %bb.81:
	s_mov_b64 s[10:11], 0
	v_mov_b32_e32 v8, s24
	v_mov_b32_e32 v6, s20
	;; [unrolled: 1-line block ×3, first 2 shown]
.LBB74_82:                              ; =>This Inner Loop Header: Depth=1
	v_add_u32_e32 v5, v6, v8
	v_lshrrev_b32_e32 v7, 31, v5
	v_add_u32_e32 v5, v5, v7
	v_ashrrev_i32_e32 v12, 1, v5
	v_ashrrev_i32_e32 v13, 31, v12
	v_lshlrev_b64 v[14:15], 2, v[12:13]
	v_add_co_u32_e32 v14, vcc, s16, v14
	v_addc_co_u32_e32 v15, vcc, v4, v15, vcc
	global_load_dword v5, v[14:15], off
	s_waitcnt vmcnt(0)
	v_subrev_u32_e32 v5, s26, v5
	v_cmp_gt_i32_e32 vcc, v5, v2
	v_cndmask_b32_e32 v6, v6, v12, vcc
	v_cndmask_b32_e32 v8, v12, v8, vcc
	v_add_u32_e32 v5, -1, v6
	v_cmp_ge_i32_e32 vcc, v8, v6
	v_cmp_eq_u32_e64 s[0:1], v8, v5
	s_or_b64 s[0:1], vcc, s[0:1]
	s_and_b64 s[0:1], exec, s[0:1]
	s_or_b64 s[10:11], s[0:1], s[10:11]
	s_andn2_b64 exec, exec, s[10:11]
	s_cbranch_execnz .LBB74_82
; %bb.83:
	s_or_b64 exec, exec, s[10:11]
.LBB74_84:
	v_ashrrev_i32_e32 v7, 31, v6
	v_lshlrev_b64 v[4:5], 2, v[6:7]
	v_mov_b32_e32 v7, s17
	v_add_co_u32_e32 v4, vcc, s16, v4
	v_addc_co_u32_e32 v5, vcc, v7, v5, vcc
	global_load_dword v7, v[4:5], off
	v_lshlrev_b64 v[4:5], 2, v[2:3]
	v_mov_b32_e32 v3, s19
	v_add_co_u32_e32 v4, vcc, s18, v4
	v_addc_co_u32_e32 v5, vcc, v3, v5, vcc
	global_load_dword v3, v[4:5], off
	s_ashr_i32 s1, s25, 31
	s_mov_b32 s0, s25
	s_xor_b64 s[2:3], s[2:3], -1
	s_lshl_b64 s[0:1], s[0:1], 2
	s_add_u32 s10, s16, s0
	s_addc_u32 s11, s17, s1
	s_waitcnt vmcnt(1)
	v_subrev_u32_e32 v7, s26, v7
	v_cmp_gt_i32_e32 vcc, v7, v2
	v_cndmask_b32_e32 v8, v6, v8, vcc
	s_waitcnt vmcnt(0)
	v_subrev_u32_e32 v6, s26, v3
	v_cmp_ne_u32_e32 vcc, v6, v8
	s_and_saveexec_b64 s[12:13], vcc
	s_cbranch_execz .LBB74_92
; %bb.85:
	s_load_dword s0, s[10:11], 0x0
	s_waitcnt lgkmcnt(0)
	s_sub_i32 s0, s0, s26
	v_cmp_gt_i32_e32 vcc, s0, v2
	s_and_b64 exec, exec, vcc
	s_cbranch_execz .LBB74_92
; %bb.86:
	v_ashrrev_i32_e32 v9, 31, v8
	v_lshlrev_b64 v[8:9], 1, v[8:9]
	v_mov_b32_e32 v3, s23
	v_add_co_u32_e32 v8, vcc, s22, v8
	v_addc_co_u32_e32 v9, vcc, v3, v9, vcc
	global_load_ushort v3, v[8:9], off
	ds_read_b32 v7, v1
	v_cmp_gt_i32_e32 vcc, s31, v6
	v_cmp_le_i32_e64 s[0:1], s25, v6
	s_or_b64 s[0:1], vcc, s[0:1]
	s_waitcnt vmcnt(0)
	v_lshlrev_b32_e32 v3, 16, v3
	s_waitcnt lgkmcnt(0)
	v_mul_f32_e32 v3, v7, v3
	s_and_saveexec_b64 s[18:19], s[0:1]
	s_xor_b64 s[0:1], exec, s[18:19]
	s_cbranch_execz .LBB74_90
; %bb.87:
	v_ashrrev_i32_e32 v7, 31, v6
	v_lshlrev_b64 v[6:7], 2, v[6:7]
	v_mov_b32_e32 v8, s15
	v_add_co_u32_e32 v6, vcc, s14, v6
	v_addc_co_u32_e32 v7, vcc, v8, v7, vcc
	global_load_dword v9, v[6:7], off
	s_mov_b64 s[18:19], 0
.LBB74_88:                              ; =>This Inner Loop Header: Depth=1
	s_waitcnt vmcnt(0)
	v_add_f32_e32 v8, v9, v3
	global_atomic_cmpswap v8, v[6:7], v[8:9], off glc
	s_waitcnt vmcnt(0)
	v_cmp_eq_u32_e32 vcc, v8, v9
	s_or_b64 s[18:19], vcc, s[18:19]
	v_mov_b32_e32 v9, v8
	s_andn2_b64 exec, exec, s[18:19]
	s_cbranch_execnz .LBB74_88
; %bb.89:
	s_or_b64 exec, exec, s[18:19]
                                        ; implicit-def: $vgpr6
                                        ; implicit-def: $vgpr3
.LBB74_90:
	s_andn2_saveexec_b64 s[0:1], s[0:1]
	s_cbranch_execz .LBB74_92
; %bb.91:
	v_subrev_u32_e32 v6, s31, v6
	v_mov_b32_e32 v7, 0x1000
	v_lshl_add_u32 v6, v6, 2, v7
	ds_add_f32 v6, v3
.LBB74_92:
	s_or_b64 exec, exec, s[12:13]
	v_cndmask_b32_e64 v6, 0, 1, s[2:3]
	v_add_u32_e32 v3, 0x100, v2
	v_cmp_ne_u32_e64 s[0:1], 1, v6
	s_andn2_b64 vcc, exec, s[2:3]
	v_mov_b32_e32 v8, s24
	v_mov_b32_e32 v6, s20
	s_cbranch_vccnz .LBB74_96
; %bb.93:
	s_mov_b64 s[12:13], 0
	v_mov_b32_e32 v8, s24
	v_mov_b32_e32 v6, s20
	;; [unrolled: 1-line block ×3, first 2 shown]
.LBB74_94:                              ; =>This Inner Loop Header: Depth=1
	v_add_u32_e32 v9, v6, v8
	v_lshrrev_b32_e32 v11, 31, v9
	v_add_u32_e32 v9, v9, v11
	v_ashrrev_i32_e32 v12, 1, v9
	v_ashrrev_i32_e32 v13, 31, v12
	v_lshlrev_b64 v[14:15], 2, v[12:13]
	v_add_co_u32_e32 v14, vcc, s16, v14
	v_addc_co_u32_e32 v15, vcc, v7, v15, vcc
	global_load_dword v9, v[14:15], off
	s_waitcnt vmcnt(0)
	v_subrev_u32_e32 v9, s26, v9
	v_cmp_gt_i32_e32 vcc, v9, v3
	v_cndmask_b32_e32 v6, v6, v12, vcc
	v_cndmask_b32_e32 v8, v12, v8, vcc
	v_add_u32_e32 v9, -1, v6
	v_cmp_ge_i32_e32 vcc, v8, v6
	v_cmp_eq_u32_e64 s[2:3], v8, v9
	s_or_b64 s[2:3], vcc, s[2:3]
	s_and_b64 s[2:3], exec, s[2:3]
	s_or_b64 s[12:13], s[2:3], s[12:13]
	s_andn2_b64 exec, exec, s[12:13]
	s_cbranch_execnz .LBB74_94
; %bb.95:
	s_or_b64 exec, exec, s[12:13]
.LBB74_96:
	v_ashrrev_i32_e32 v7, 31, v6
	v_lshlrev_b64 v[12:13], 2, v[6:7]
	v_mov_b32_e32 v7, s17
	v_add_co_u32_e32 v12, vcc, s16, v12
	v_addc_co_u32_e32 v13, vcc, v7, v13, vcc
	global_load_dword v7, v[12:13], off
	global_load_dword v9, v[4:5], off offset:1024
	s_waitcnt vmcnt(1)
	v_subrev_u32_e32 v7, s26, v7
	v_cmp_gt_i32_e32 vcc, v7, v3
	v_cndmask_b32_e32 v8, v6, v8, vcc
	s_waitcnt vmcnt(0)
	v_subrev_u32_e32 v6, s26, v9
	v_cmp_ne_u32_e32 vcc, v6, v8
	s_and_saveexec_b64 s[12:13], vcc
	s_cbranch_execz .LBB74_104
; %bb.97:
	s_load_dword s2, s[10:11], 0x0
	s_waitcnt lgkmcnt(0)
	s_sub_i32 s2, s2, s26
	v_cmp_gt_i32_e32 vcc, s2, v3
	s_and_b64 exec, exec, vcc
	s_cbranch_execz .LBB74_104
; %bb.98:
	v_ashrrev_i32_e32 v9, 31, v8
	v_lshlrev_b64 v[8:9], 1, v[8:9]
	v_mov_b32_e32 v3, s23
	v_add_co_u32_e32 v8, vcc, s22, v8
	v_addc_co_u32_e32 v9, vcc, v3, v9, vcc
	global_load_ushort v3, v[8:9], off
	ds_read_b32 v7, v1 offset:1024
	v_cmp_gt_i32_e32 vcc, s31, v6
	v_cmp_le_i32_e64 s[2:3], s25, v6
	s_or_b64 s[2:3], vcc, s[2:3]
	s_waitcnt vmcnt(0)
	v_lshlrev_b32_e32 v3, 16, v3
	s_waitcnt lgkmcnt(0)
	v_mul_f32_e32 v3, v7, v3
	s_and_saveexec_b64 s[18:19], s[2:3]
	s_xor_b64 s[2:3], exec, s[18:19]
	s_cbranch_execz .LBB74_102
; %bb.99:
	v_ashrrev_i32_e32 v7, 31, v6
	v_lshlrev_b64 v[6:7], 2, v[6:7]
	v_mov_b32_e32 v8, s15
	v_add_co_u32_e32 v6, vcc, s14, v6
	v_addc_co_u32_e32 v7, vcc, v8, v7, vcc
	global_load_dword v9, v[6:7], off
	s_mov_b64 s[18:19], 0
.LBB74_100:                             ; =>This Inner Loop Header: Depth=1
	s_waitcnt vmcnt(0)
	v_add_f32_e32 v8, v9, v3
	global_atomic_cmpswap v8, v[6:7], v[8:9], off glc
	s_waitcnt vmcnt(0)
	v_cmp_eq_u32_e32 vcc, v8, v9
	s_or_b64 s[18:19], vcc, s[18:19]
	v_mov_b32_e32 v9, v8
	s_andn2_b64 exec, exec, s[18:19]
	s_cbranch_execnz .LBB74_100
; %bb.101:
	s_or_b64 exec, exec, s[18:19]
                                        ; implicit-def: $vgpr6
                                        ; implicit-def: $vgpr3
.LBB74_102:
	s_andn2_saveexec_b64 s[2:3], s[2:3]
	s_cbranch_execz .LBB74_104
; %bb.103:
	v_subrev_u32_e32 v6, s31, v6
	v_mov_b32_e32 v7, 0x1000
	v_lshl_add_u32 v6, v6, 2, v7
	ds_add_f32 v6, v3
.LBB74_104:
	s_or_b64 exec, exec, s[12:13]
	v_add_u32_e32 v7, 0x200, v2
	s_and_b64 vcc, exec, s[0:1]
	v_mov_b32_e32 v6, s24
	v_mov_b32_e32 v2, s20
	s_cbranch_vccnz .LBB74_108
; %bb.105:
	s_mov_b64 s[12:13], 0
	v_mov_b32_e32 v6, s24
	v_mov_b32_e32 v2, s20
	;; [unrolled: 1-line block ×3, first 2 shown]
.LBB74_106:                             ; =>This Inner Loop Header: Depth=1
	v_add_u32_e32 v8, v2, v6
	v_lshrrev_b32_e32 v9, 31, v8
	v_add_u32_e32 v8, v8, v9
	v_ashrrev_i32_e32 v8, 1, v8
	v_ashrrev_i32_e32 v9, 31, v8
	v_lshlrev_b64 v[12:13], 2, v[8:9]
	v_add_co_u32_e32 v12, vcc, s16, v12
	v_addc_co_u32_e32 v13, vcc, v3, v13, vcc
	global_load_dword v9, v[12:13], off
	s_waitcnt vmcnt(0)
	v_subrev_u32_e32 v9, s26, v9
	v_cmp_gt_i32_e32 vcc, v9, v7
	v_cndmask_b32_e32 v2, v2, v8, vcc
	v_cndmask_b32_e32 v6, v8, v6, vcc
	v_add_u32_e32 v8, -1, v2
	v_cmp_ge_i32_e32 vcc, v6, v2
	v_cmp_eq_u32_e64 s[2:3], v6, v8
	s_or_b64 s[2:3], vcc, s[2:3]
	s_and_b64 s[2:3], exec, s[2:3]
	s_or_b64 s[12:13], s[2:3], s[12:13]
	s_andn2_b64 exec, exec, s[12:13]
	s_cbranch_execnz .LBB74_106
; %bb.107:
	s_or_b64 exec, exec, s[12:13]
.LBB74_108:
	v_ashrrev_i32_e32 v3, 31, v2
	v_lshlrev_b64 v[8:9], 2, v[2:3]
	v_mov_b32_e32 v3, s17
	v_add_co_u32_e32 v8, vcc, s16, v8
	v_addc_co_u32_e32 v9, vcc, v3, v9, vcc
	global_load_dword v3, v[8:9], off
	global_load_dword v11, v[4:5], off offset:2048
	s_waitcnt vmcnt(1)
	v_subrev_u32_e32 v3, s26, v3
	v_cmp_gt_i32_e32 vcc, v3, v7
	v_cndmask_b32_e32 v6, v2, v6, vcc
	s_waitcnt vmcnt(0)
	v_subrev_u32_e32 v2, s26, v11
	v_cmp_ne_u32_e32 vcc, v2, v6
	s_and_saveexec_b64 s[12:13], vcc
	s_cbranch_execz .LBB74_116
; %bb.109:
	s_load_dword s2, s[10:11], 0x0
	s_waitcnt lgkmcnt(0)
	s_sub_i32 s2, s2, s26
	v_cmp_gt_i32_e32 vcc, s2, v7
	s_and_b64 exec, exec, vcc
	s_cbranch_execz .LBB74_116
; %bb.110:
	v_ashrrev_i32_e32 v7, 31, v6
	v_lshlrev_b64 v[6:7], 1, v[6:7]
	v_mov_b32_e32 v3, s23
	v_add_co_u32_e32 v6, vcc, s22, v6
	v_addc_co_u32_e32 v7, vcc, v3, v7, vcc
	global_load_ushort v3, v[6:7], off
	ds_read_b32 v6, v1 offset:2048
	v_cmp_gt_i32_e32 vcc, s31, v2
	v_cmp_le_i32_e64 s[2:3], s25, v2
	s_or_b64 s[2:3], vcc, s[2:3]
	s_waitcnt vmcnt(0)
	v_lshlrev_b32_e32 v3, 16, v3
	s_waitcnt lgkmcnt(0)
	v_mul_f32_e32 v8, v6, v3
	s_and_saveexec_b64 s[18:19], s[2:3]
	s_xor_b64 s[2:3], exec, s[18:19]
	s_cbranch_execz .LBB74_114
; %bb.111:
	v_ashrrev_i32_e32 v3, 31, v2
	v_lshlrev_b64 v[2:3], 2, v[2:3]
	v_mov_b32_e32 v6, s15
	v_add_co_u32_e32 v2, vcc, s14, v2
	v_addc_co_u32_e32 v3, vcc, v6, v3, vcc
	global_load_dword v7, v[2:3], off
	s_mov_b64 s[18:19], 0
.LBB74_112:                             ; =>This Inner Loop Header: Depth=1
	s_waitcnt vmcnt(0)
	v_add_f32_e32 v6, v7, v8
	global_atomic_cmpswap v6, v[2:3], v[6:7], off glc
	s_waitcnt vmcnt(0)
	v_cmp_eq_u32_e32 vcc, v6, v7
	s_or_b64 s[18:19], vcc, s[18:19]
	v_mov_b32_e32 v7, v6
	s_andn2_b64 exec, exec, s[18:19]
	s_cbranch_execnz .LBB74_112
; %bb.113:
	s_or_b64 exec, exec, s[18:19]
                                        ; implicit-def: $vgpr2
                                        ; implicit-def: $vgpr8
.LBB74_114:
	s_andn2_saveexec_b64 s[2:3], s[2:3]
	s_cbranch_execz .LBB74_116
; %bb.115:
	v_subrev_u32_e32 v2, s31, v2
	v_mov_b32_e32 v3, 0x1000
	v_lshl_add_u32 v2, v2, 2, v3
	ds_add_f32 v2, v8
.LBB74_116:
	s_or_b64 exec, exec, s[12:13]
	s_and_b64 vcc, exec, s[0:1]
	v_mov_b32_e32 v6, s24
	v_mov_b32_e32 v2, s20
	s_cbranch_vccnz .LBB74_120
; %bb.117:
	s_mov_b64 s[2:3], 0
	v_mov_b32_e32 v6, s24
	v_mov_b32_e32 v2, s20
	;; [unrolled: 1-line block ×3, first 2 shown]
.LBB74_118:                             ; =>This Inner Loop Header: Depth=1
	v_add_u32_e32 v7, v2, v6
	v_lshrrev_b32_e32 v8, 31, v7
	v_add_u32_e32 v7, v7, v8
	v_ashrrev_i32_e32 v8, 1, v7
	v_ashrrev_i32_e32 v9, 31, v8
	v_lshlrev_b64 v[12:13], 2, v[8:9]
	v_add_co_u32_e32 v12, vcc, s16, v12
	v_addc_co_u32_e32 v13, vcc, v3, v13, vcc
	global_load_dword v7, v[12:13], off
	s_waitcnt vmcnt(0)
	v_subrev_u32_e32 v7, s26, v7
	v_cmp_gt_i32_e32 vcc, v7, v10
	v_cndmask_b32_e32 v2, v2, v8, vcc
	v_cndmask_b32_e32 v6, v8, v6, vcc
	v_add_u32_e32 v7, -1, v2
	v_cmp_ge_i32_e32 vcc, v6, v2
	v_cmp_eq_u32_e64 s[0:1], v6, v7
	s_or_b64 s[0:1], vcc, s[0:1]
	s_and_b64 s[0:1], exec, s[0:1]
	s_or_b64 s[2:3], s[0:1], s[2:3]
	s_andn2_b64 exec, exec, s[2:3]
	s_cbranch_execnz .LBB74_118
; %bb.119:
	s_or_b64 exec, exec, s[2:3]
.LBB74_120:
	v_ashrrev_i32_e32 v3, 31, v2
	v_lshlrev_b64 v[8:9], 2, v[2:3]
	v_mov_b32_e32 v3, s17
	v_add_co_u32_e32 v8, vcc, s16, v8
	v_addc_co_u32_e32 v9, vcc, v3, v9, vcc
	global_load_dword v3, v[8:9], off
	global_load_dword v7, v[4:5], off offset:3072
	s_waitcnt vmcnt(1)
	v_subrev_u32_e32 v3, s26, v3
	v_cmp_gt_i32_e32 vcc, v3, v10
	v_cndmask_b32_e32 v4, v2, v6, vcc
	s_waitcnt vmcnt(0)
	v_subrev_u32_e32 v2, s26, v7
	v_cmp_ne_u32_e32 vcc, v2, v4
	s_and_saveexec_b64 s[2:3], vcc
	s_cbranch_execz .LBB74_128
; %bb.121:
	s_load_dword s0, s[10:11], 0x0
	s_waitcnt lgkmcnt(0)
	s_sub_i32 s0, s0, s26
	v_cmp_gt_i32_e32 vcc, s0, v10
	s_and_b64 exec, exec, vcc
	s_cbranch_execz .LBB74_128
; %bb.122:
	v_ashrrev_i32_e32 v5, 31, v4
	v_lshlrev_b64 v[4:5], 1, v[4:5]
	v_mov_b32_e32 v3, s23
	v_add_co_u32_e32 v4, vcc, s22, v4
	v_addc_co_u32_e32 v5, vcc, v3, v5, vcc
	global_load_ushort v3, v[4:5], off
	ds_read_b32 v4, v1 offset:3072
	v_cmp_gt_i32_e32 vcc, s31, v2
	v_cmp_le_i32_e64 s[0:1], s25, v2
	s_or_b64 s[0:1], vcc, s[0:1]
	s_waitcnt vmcnt(0)
	v_lshlrev_b32_e32 v3, 16, v3
	s_waitcnt lgkmcnt(0)
	v_mul_f32_e32 v6, v4, v3
	s_and_saveexec_b64 s[10:11], s[0:1]
	s_xor_b64 s[0:1], exec, s[10:11]
	s_cbranch_execz .LBB74_126
; %bb.123:
	v_ashrrev_i32_e32 v3, 31, v2
	v_lshlrev_b64 v[2:3], 2, v[2:3]
	v_mov_b32_e32 v4, s15
	v_add_co_u32_e32 v2, vcc, s14, v2
	v_addc_co_u32_e32 v3, vcc, v4, v3, vcc
	global_load_dword v5, v[2:3], off
	s_mov_b64 s[10:11], 0
.LBB74_124:                             ; =>This Inner Loop Header: Depth=1
	s_waitcnt vmcnt(0)
	v_add_f32_e32 v4, v5, v6
	global_atomic_cmpswap v4, v[2:3], v[4:5], off glc
	s_waitcnt vmcnt(0)
	v_cmp_eq_u32_e32 vcc, v4, v5
	s_or_b64 s[10:11], vcc, s[10:11]
	v_mov_b32_e32 v5, v4
	s_andn2_b64 exec, exec, s[10:11]
	s_cbranch_execnz .LBB74_124
; %bb.125:
	s_or_b64 exec, exec, s[10:11]
                                        ; implicit-def: $vgpr2
                                        ; implicit-def: $vgpr6
.LBB74_126:
	s_andn2_saveexec_b64 s[0:1], s[0:1]
	s_cbranch_execz .LBB74_128
; %bb.127:
	v_subrev_u32_e32 v2, s31, v2
	v_mov_b32_e32 v3, 0x1000
	v_lshl_add_u32 v2, v2, 2, v3
	ds_add_f32 v2, v6
.LBB74_128:
	s_or_b64 exec, exec, s[2:3]
.LBB74_129:
	s_or_b64 exec, exec, s[4:5]
	s_min_i32 s9, s25, s9
	s_sub_i32 s10, s9, s27
	v_cmp_gt_i32_e32 vcc, s10, v0
	s_waitcnt lgkmcnt(0)
	s_barrier
	s_and_saveexec_b64 s[0:1], vcc
	s_cbranch_execz .LBB74_134
; %bb.130:
	s_mov_b64 s[2:3], 0
	v_mov_b32_e32 v6, s15
	v_mov_b32_e32 v7, 0x1000
	;; [unrolled: 1-line block ×3, first 2 shown]
.LBB74_131:                             ; =>This Loop Header: Depth=1
                                        ;     Child Loop BB74_132 Depth 2
	v_add_u32_e32 v2, s31, v8
	v_ashrrev_i32_e32 v3, 31, v2
	v_lshlrev_b64 v[2:3], 2, v[2:3]
	v_add_co_u32_e32 v2, vcc, s14, v2
	v_addc_co_u32_e32 v3, vcc, v6, v3, vcc
	global_load_dword v5, v[2:3], off
	v_lshl_add_u32 v4, v8, 2, v7
	ds_read_b32 v9, v4
	s_mov_b64 s[4:5], 0
.LBB74_132:                             ;   Parent Loop BB74_131 Depth=1
                                        ; =>  This Inner Loop Header: Depth=2
	s_waitcnt vmcnt(0) lgkmcnt(0)
	v_add_f32_e32 v4, v5, v9
	global_atomic_cmpswap v4, v[2:3], v[4:5], off glc
	s_waitcnt vmcnt(0)
	v_cmp_eq_u32_e32 vcc, v4, v5
	s_or_b64 s[4:5], vcc, s[4:5]
	v_mov_b32_e32 v5, v4
	s_andn2_b64 exec, exec, s[4:5]
	s_cbranch_execnz .LBB74_132
; %bb.133:                              ;   in Loop: Header=BB74_131 Depth=1
	s_or_b64 exec, exec, s[4:5]
	v_add_u32_e32 v8, 0x100, v8
	v_cmp_le_i32_e32 vcc, s10, v8
	s_or_b64 s[2:3], vcc, s[2:3]
	s_andn2_b64 exec, exec, s[2:3]
	s_cbranch_execnz .LBB74_131
.LBB74_134:
	s_or_b64 exec, exec, s[0:1]
	s_mul_i32 s0, s8, s27
	s_sub_i32 s0, s30, s0
	s_add_i32 s1, s8, 1
	s_sub_i32 s2, s0, s27
	s_cmp_ge_u32 s0, s27
	s_cselect_b32 s1, s1, s8
	s_cselect_b32 s0, s2, s0
	s_add_i32 s2, s1, 1
	s_cmp_ge_u32 s0, s27
	s_cselect_b32 s0, s2, s1
	s_add_i32 s0, s0, -1
	s_ashr_i32 s1, s0, 1
	s_or_b32 s0, s1, s0
	s_ashr_i32 s1, s0, 2
	s_or_b32 s0, s1, s0
	;; [unrolled: 2-line block ×5, first 2 shown]
	s_add_i32 s11, s11, 1
	s_ashr_i32 s12, s11, 1
	v_add_u32_e32 v2, s24, v0
	s_cmp_gt_i32 s12, 1
	s_mov_b64 s[0:1], -1
	s_barrier
	s_cbranch_scc1 .LBB74_145
; %bb.135:
	v_cmp_gt_i32_e32 vcc, s25, v2
	s_and_saveexec_b64 s[0:1], vcc
	s_cbranch_execz .LBB74_144
; %bb.136:
	s_sub_i32 s2, s9, s25
	s_lshl_b32 s2, s2, 2
	s_add_i32 s13, s2, 0x1000
	s_lshl_b32 s2, s33, 2
	s_sub_i32 s18, 0, s2
	s_mov_b64 s[2:3], 0
	v_mov_b32_e32 v3, s17
	v_mov_b32_e32 v10, s15
	;; [unrolled: 1-line block ×3, first 2 shown]
.LBB74_137:                             ; =>This Loop Header: Depth=1
                                        ;     Child Loop BB74_139 Depth 2
                                        ;     Child Loop BB74_142 Depth 2
	v_ashrrev_i32_e32 v5, 31, v4
	v_lshlrev_b64 v[6:7], 2, v[4:5]
	v_add_co_u32_e32 v8, vcc, s16, v6
	v_addc_co_u32_e32 v9, vcc, v3, v7, vcc
	global_load_dwordx2 v[8:9], v[8:9], off
	v_mov_b32_e32 v5, 0
	s_waitcnt vmcnt(0)
	v_cmp_lt_i32_e32 vcc, v8, v9
	s_and_saveexec_b64 s[4:5], vcc
	s_cbranch_execz .LBB74_141
; %bb.138:                              ;   in Loop: Header=BB74_137 Depth=1
	v_subrev_u32_e32 v9, s33, v9
	v_subrev_u32_e32 v11, s33, v8
	v_lshl_add_u32 v8, v8, 2, s18
	s_mov_b64 s[8:9], 0
	v_mov_b32_e32 v5, 0
.LBB74_139:                             ;   Parent Loop BB74_137 Depth=1
                                        ; =>  This Inner Loop Header: Depth=2
	ds_read_b32 v12, v8
	v_add_u32_e32 v11, 1, v11
	v_cmp_ge_i32_e32 vcc, v11, v9
	v_add_u32_e32 v8, 4, v8
	s_or_b64 s[8:9], vcc, s[8:9]
	s_waitcnt lgkmcnt(0)
	v_add_f32_e32 v5, v5, v12
	s_andn2_b64 exec, exec, s[8:9]
	s_cbranch_execnz .LBB74_139
; %bb.140:                              ;   in Loop: Header=BB74_137 Depth=1
	s_or_b64 exec, exec, s[8:9]
.LBB74_141:                             ;   in Loop: Header=BB74_137 Depth=1
	s_or_b64 exec, exec, s[4:5]
	v_add_co_u32_e32 v6, vcc, s14, v6
	v_addc_co_u32_e32 v7, vcc, v10, v7, vcc
	global_load_dword v9, v[6:7], off
	v_lshl_add_u32 v8, v4, 2, s13
	ds_read_b32 v8, v8
	s_mov_b64 s[4:5], 0
	s_waitcnt lgkmcnt(0)
	v_add_f32_e32 v5, v5, v8
.LBB74_142:                             ;   Parent Loop BB74_137 Depth=1
                                        ; =>  This Inner Loop Header: Depth=2
	s_waitcnt vmcnt(0)
	v_add_f32_e32 v8, v9, v5
	global_atomic_cmpswap v8, v[6:7], v[8:9], off glc
	s_waitcnt vmcnt(0)
	v_cmp_eq_u32_e32 vcc, v8, v9
	s_or_b64 s[4:5], vcc, s[4:5]
	v_mov_b32_e32 v9, v8
	s_andn2_b64 exec, exec, s[4:5]
	s_cbranch_execnz .LBB74_142
; %bb.143:                              ;   in Loop: Header=BB74_137 Depth=1
	s_or_b64 exec, exec, s[4:5]
	v_add_u32_e32 v4, s30, v4
	v_cmp_le_i32_e32 vcc, s25, v4
	s_or_b64 s[2:3], vcc, s[2:3]
	s_andn2_b64 exec, exec, s[2:3]
	s_cbranch_execnz .LBB74_137
.LBB74_144:
	s_or_b64 exec, exec, s[0:1]
	s_mov_b64 s[0:1], 0
.LBB74_145:
	s_andn2_b64 vcc, exec, s[0:1]
	s_cbranch_vccnz .LBB74_170
; %bb.146:
	v_cvt_f32_u32_e32 v3, s12
	s_sub_i32 s0, 0, s12
	v_mov_b32_e32 v8, 0
	v_rcp_iflag_f32_e32 v3, v3
	v_mul_f32_e32 v3, 0x4f7ffffe, v3
	v_cvt_u32_f32_e32 v3, v3
	v_mul_lo_u32 v4, s0, v3
	v_mul_hi_u32 v4, v3, v4
	v_add_u32_e32 v3, v3, v4
	v_mul_hi_u32 v3, v0, v3
	v_mul_lo_u32 v4, v3, s12
	v_sub_u32_e32 v4, v0, v4
	v_add_u32_e32 v5, 1, v3
	v_cmp_le_u32_e32 vcc, s12, v4
	v_cndmask_b32_e32 v3, v3, v5, vcc
	v_subrev_u32_e32 v5, s12, v4
	v_cndmask_b32_e32 v4, v4, v5, vcc
	v_add_u32_e32 v5, 1, v3
	v_cmp_le_u32_e32 vcc, s12, v4
	v_cndmask_b32_e32 v3, v3, v5, vcc
	v_lshlrev_b32_e32 v4, 2, v3
	global_load_dwordx2 v[6:7], v4, s[6:7]
	v_cmp_gt_i32_e32 vcc, s27, v3
	s_and_saveexec_b64 s[0:1], vcc
	s_cbranch_execz .LBB74_160
; %bb.147:
	s_abs_i32 s4, s12
	v_cvt_f32_u32_e32 v5, s4
	s_waitcnt vmcnt(0)
	v_subrev_u32_e32 v4, s33, v6
	v_subrev_u32_e32 v3, s33, v7
	v_sub_u32_e32 v7, v3, v4
	v_rcp_iflag_f32_e32 v5, v5
	s_sub_i32 s2, 0, s4
	v_sub_u32_e32 v8, 0, v7
	v_ashrrev_i32_e32 v10, 31, v7
	v_mul_f32_e32 v5, 0x4f7ffffe, v5
	v_cvt_u32_f32_e32 v5, v5
	v_max_i32_e32 v7, v7, v8
	s_ashr_i32 s5, s12, 31
	v_mul_lo_u32 v8, s2, v5
	v_mul_hi_u32 v8, v5, v8
	v_add_u32_e32 v5, v5, v8
	v_mad_u64_u32 v[8:9], s[2:3], v7, v5, 0
	v_mul_lo_u32 v8, v9, s4
	v_sub_u32_e32 v7, v7, v8
	v_add_u32_e32 v8, 1, v9
	v_cmp_le_u32_e32 vcc, s4, v7
	v_cndmask_b32_e32 v8, v9, v8, vcc
	v_subrev_u32_e32 v9, s4, v7
	v_cndmask_b32_e32 v7, v7, v9, vcc
	v_add_u32_e32 v9, 1, v8
	v_cmp_le_u32_e32 vcc, s4, v7
	v_xor_b32_e32 v5, s5, v10
	v_cndmask_b32_e32 v7, v8, v9, vcc
	v_xor_b32_e32 v7, v7, v5
	v_sub_u32_e32 v5, v7, v5
	s_add_i32 s2, s12, -1
	v_and_b32_e32 v7, s2, v0
	v_cmp_lt_i32_e32 vcc, 0, v5
	v_mov_b32_e32 v8, 0
	s_and_saveexec_b64 s[2:3], vcc
	s_cbranch_execz .LBB74_157
; %bb.148:
	v_cmp_lt_u32_e32 vcc, 7, v5
	v_mov_b32_e32 v9, 0
	v_mov_b32_e32 v8, 0
	s_and_saveexec_b64 s[4:5], vcc
	s_cbranch_execz .LBB74_152
; %bb.149:
	v_add_u32_e32 v8, v6, v7
	v_subrev_u32_e32 v8, s33, v8
	v_and_b32_e32 v9, 0x7ffffff8, v5
	v_lshlrev_b32_e32 v10, 2, v8
	s_lshl_b32 s8, s12, 5
	s_lshl_b32 s9, s12, 2
	s_mov_b32 s13, 0
	s_mov_b64 s[6:7], 0
	v_mov_b32_e32 v8, 0
.LBB74_150:                             ; =>This Inner Loop Header: Depth=1
	ds_read_b32 v11, v10
	v_add_u32_e32 v12, s9, v10
	v_add_u32_e32 v13, s9, v12
	ds_read_b32 v12, v12
	v_add_u32_e32 v14, s9, v13
	ds_read_b32 v13, v13
	;; [unrolled: 2-line block ×4, first 2 shown]
	s_waitcnt lgkmcnt(4)
	v_add_f32_e32 v8, v8, v11
	v_add_u32_e32 v11, s9, v16
	ds_read_b32 v16, v16
	ds_read_b32 v17, v11
	s_waitcnt lgkmcnt(5)
	v_add_f32_e32 v8, v8, v12
	v_add_u32_e32 v11, s9, v11
	s_waitcnt lgkmcnt(4)
	v_add_f32_e32 v8, v8, v13
	ds_read_b32 v11, v11
	s_waitcnt lgkmcnt(4)
	v_add_f32_e32 v8, v8, v14
	s_waitcnt lgkmcnt(3)
	v_add_f32_e32 v8, v8, v15
	s_add_i32 s13, s13, 8
	s_waitcnt lgkmcnt(2)
	v_add_f32_e32 v8, v8, v16
	v_cmp_eq_u32_e32 vcc, s13, v9
	s_waitcnt lgkmcnt(1)
	v_add_f32_e32 v8, v8, v17
	v_add_u32_e32 v10, s8, v10
	s_or_b64 s[6:7], vcc, s[6:7]
	s_waitcnt lgkmcnt(0)
	v_add_f32_e32 v8, v8, v11
	s_andn2_b64 exec, exec, s[6:7]
	s_cbranch_execnz .LBB74_150
; %bb.151:
	s_or_b64 exec, exec, s[6:7]
.LBB74_152:
	s_or_b64 exec, exec, s[4:5]
	v_and_b32_e32 v10, 7, v5
	v_cmp_ne_u32_e32 vcc, 0, v10
	s_and_saveexec_b64 s[4:5], vcc
	s_cbranch_execz .LBB74_156
; %bb.153:
	v_mul_lo_u32 v9, v9, s12
	v_add3_u32 v6, v6, v7, v9
	v_subrev_u32_e32 v6, s33, v6
	v_lshlrev_b32_e32 v6, 2, v6
	s_lshl_b32 s8, s12, 2
	s_mov_b64 s[6:7], 0
.LBB74_154:                             ; =>This Inner Loop Header: Depth=1
	ds_read_b32 v9, v6
	v_add_u32_e32 v10, -1, v10
	v_cmp_eq_u32_e32 vcc, 0, v10
	v_add_u32_e32 v6, s8, v6
	s_or_b64 s[6:7], vcc, s[6:7]
	s_waitcnt lgkmcnt(0)
	v_add_f32_e32 v8, v8, v9
	s_andn2_b64 exec, exec, s[6:7]
	s_cbranch_execnz .LBB74_154
; %bb.155:
	s_or_b64 exec, exec, s[6:7]
.LBB74_156:
	s_or_b64 exec, exec, s[4:5]
.LBB74_157:
	s_or_b64 exec, exec, s[2:3]
	v_mad_u64_u32 v[4:5], s[2:3], v5, s12, v[4:5]
	v_sub_u32_e32 v3, v3, v4
	v_cmp_lt_i32_e32 vcc, v7, v3
	s_and_saveexec_b64 s[2:3], vcc
	s_cbranch_execz .LBB74_159
; %bb.158:
	v_add_lshl_u32 v3, v4, v7, 2
	ds_read_b32 v3, v3
	s_waitcnt lgkmcnt(0)
	v_add_f32_e32 v8, v8, v3
.LBB74_159:
	s_or_b64 exec, exec, s[2:3]
.LBB74_160:
	s_or_b64 exec, exec, s[0:1]
	v_cmp_gt_i32_e32 vcc, s27, v0
	s_barrier
	ds_write_b32 v1, v8
	s_waitcnt lgkmcnt(0)
	s_barrier
	s_and_saveexec_b64 s[0:1], vcc
	s_cbranch_execz .LBB74_170
; %bb.161:
	s_cmp_lt_u32 s12, 8
	v_mul_lo_u32 v1, s12, v0
	s_cbranch_scc1 .LBB74_164
; %bb.162:
	s_and_b32 s0, s12, 0x7ffffff8
	v_lshlrev_b32_e32 v3, 2, v1
	s_mov_b32 s1, 0
	v_mov_b32_e32 v4, 0
.LBB74_163:                             ; =>This Inner Loop Header: Depth=1
	s_waitcnt vmcnt(0)
	ds_read2_b32 v[6:7], v3 offset1:1
	ds_read2_b32 v[8:9], v3 offset0:2 offset1:3
	ds_read2_b32 v[10:11], v3 offset0:4 offset1:5
	;; [unrolled: 1-line block ×3, first 2 shown]
	s_add_i32 s1, s1, 8
	s_waitcnt lgkmcnt(3)
	v_add_f32_e32 v4, v4, v6
	v_add_f32_e32 v4, v4, v7
	s_waitcnt lgkmcnt(2)
	v_add_f32_e32 v4, v4, v8
	v_add_f32_e32 v4, v4, v9
	;; [unrolled: 3-line block ×3, first 2 shown]
	s_waitcnt lgkmcnt(0)
	v_add_f32_e32 v4, v4, v12
	v_add_u32_e32 v3, 32, v3
	s_cmp_eq_u32 s0, s1
	v_add_f32_e32 v4, v4, v13
	s_cbranch_scc0 .LBB74_163
	s_branch .LBB74_165
.LBB74_164:
	s_mov_b32 s0, 0
	v_mov_b32_e32 v4, 0
.LBB74_165:
	s_bfe_u32 s1, s11, 0x30001
	s_cmp_eq_u32 s1, 0
	s_cbranch_scc1 .LBB74_168
; %bb.166:
	v_add_lshl_u32 v1, s0, v1, 2
.LBB74_167:                             ; =>This Inner Loop Header: Depth=1
	ds_read_b32 v3, v1
	s_add_i32 s1, s1, -1
	v_add_u32_e32 v1, 4, v1
	s_cmp_lg_u32 s1, 0
	s_waitcnt lgkmcnt(0)
	v_add_f32_e32 v4, v4, v3
	s_cbranch_scc1 .LBB74_167
.LBB74_168:
	v_ashrrev_i32_e32 v3, 31, v2
	v_lshlrev_b64 v[2:3], 2, v[2:3]
	v_mov_b32_e32 v1, s15
	v_add_co_u32_e32 v2, vcc, s14, v2
	v_addc_co_u32_e32 v3, vcc, v1, v3, vcc
	global_load_dword v1, v[2:3], off
	s_lshl_b32 s0, s10, 2
	s_addk_i32 s0, 0x1000
	v_lshl_add_u32 v0, v0, 2, s0
	ds_read_b32 v0, v0
	s_mov_b64 s[0:1], 0
	s_waitcnt lgkmcnt(0)
	v_add_f32_e32 v4, v4, v0
.LBB74_169:                             ; =>This Inner Loop Header: Depth=1
	s_waitcnt vmcnt(0)
	v_add_f32_e32 v0, v1, v4
	global_atomic_cmpswap v0, v[2:3], v[0:1], off glc
	s_waitcnt vmcnt(0)
	v_cmp_eq_u32_e32 vcc, v0, v1
	s_or_b64 s[0:1], vcc, s[0:1]
	v_mov_b32_e32 v1, v0
	s_andn2_b64 exec, exec, s[0:1]
	s_cbranch_execnz .LBB74_169
.LBB74_170:
	s_endpgm
	.section	.rodata,"a",@progbits
	.p2align	6, 0x0
	.amdhsa_kernel _ZN9rocsparseL27csrmvn_symm_adaptive_kernelIii18rocsparse_bfloat16S1_ffEEvbT_S2_PKS2_NS_24const_host_device_scalarIT4_EES4_PKT0_PKT1_PKT2_S7_PT3_21rocsparse_index_base_b
		.amdhsa_group_segment_fixed_size 4096
		.amdhsa_private_segment_fixed_size 0
		.amdhsa_kernarg_size 344
		.amdhsa_user_sgpr_count 6
		.amdhsa_user_sgpr_private_segment_buffer 1
		.amdhsa_user_sgpr_dispatch_ptr 0
		.amdhsa_user_sgpr_queue_ptr 0
		.amdhsa_user_sgpr_kernarg_segment_ptr 1
		.amdhsa_user_sgpr_dispatch_id 0
		.amdhsa_user_sgpr_flat_scratch_init 0
		.amdhsa_user_sgpr_kernarg_preload_length 0
		.amdhsa_user_sgpr_kernarg_preload_offset 0
		.amdhsa_user_sgpr_private_segment_size 0
		.amdhsa_uses_dynamic_stack 0
		.amdhsa_system_sgpr_private_segment_wavefront_offset 0
		.amdhsa_system_sgpr_workgroup_id_x 1
		.amdhsa_system_sgpr_workgroup_id_y 0
		.amdhsa_system_sgpr_workgroup_id_z 0
		.amdhsa_system_sgpr_workgroup_info 0
		.amdhsa_system_vgpr_workitem_id 0
		.amdhsa_next_free_vgpr 32
		.amdhsa_next_free_sgpr 49
		.amdhsa_accum_offset 32
		.amdhsa_reserve_vcc 1
		.amdhsa_reserve_flat_scratch 0
		.amdhsa_float_round_mode_32 0
		.amdhsa_float_round_mode_16_64 0
		.amdhsa_float_denorm_mode_32 3
		.amdhsa_float_denorm_mode_16_64 3
		.amdhsa_dx10_clamp 1
		.amdhsa_ieee_mode 1
		.amdhsa_fp16_overflow 0
		.amdhsa_tg_split 0
		.amdhsa_exception_fp_ieee_invalid_op 0
		.amdhsa_exception_fp_denorm_src 0
		.amdhsa_exception_fp_ieee_div_zero 0
		.amdhsa_exception_fp_ieee_overflow 0
		.amdhsa_exception_fp_ieee_underflow 0
		.amdhsa_exception_fp_ieee_inexact 0
		.amdhsa_exception_int_div_zero 0
	.end_amdhsa_kernel
	.section	.text._ZN9rocsparseL27csrmvn_symm_adaptive_kernelIii18rocsparse_bfloat16S1_ffEEvbT_S2_PKS2_NS_24const_host_device_scalarIT4_EES4_PKT0_PKT1_PKT2_S7_PT3_21rocsparse_index_base_b,"axG",@progbits,_ZN9rocsparseL27csrmvn_symm_adaptive_kernelIii18rocsparse_bfloat16S1_ffEEvbT_S2_PKS2_NS_24const_host_device_scalarIT4_EES4_PKT0_PKT1_PKT2_S7_PT3_21rocsparse_index_base_b,comdat
.Lfunc_end74:
	.size	_ZN9rocsparseL27csrmvn_symm_adaptive_kernelIii18rocsparse_bfloat16S1_ffEEvbT_S2_PKS2_NS_24const_host_device_scalarIT4_EES4_PKT0_PKT1_PKT2_S7_PT3_21rocsparse_index_base_b, .Lfunc_end74-_ZN9rocsparseL27csrmvn_symm_adaptive_kernelIii18rocsparse_bfloat16S1_ffEEvbT_S2_PKS2_NS_24const_host_device_scalarIT4_EES4_PKT0_PKT1_PKT2_S7_PT3_21rocsparse_index_base_b
                                        ; -- End function
	.section	.AMDGPU.csdata,"",@progbits
; Kernel info:
; codeLenInByte = 7408
; NumSgprs: 53
; NumVgprs: 32
; NumAgprs: 0
; TotalNumVgprs: 32
; ScratchSize: 0
; MemoryBound: 0
; FloatMode: 240
; IeeeMode: 1
; LDSByteSize: 4096 bytes/workgroup (compile time only)
; SGPRBlocks: 6
; VGPRBlocks: 3
; NumSGPRsForWavesPerEU: 53
; NumVGPRsForWavesPerEU: 32
; AccumOffset: 32
; Occupancy: 8
; WaveLimiterHint : 1
; COMPUTE_PGM_RSRC2:SCRATCH_EN: 0
; COMPUTE_PGM_RSRC2:USER_SGPR: 6
; COMPUTE_PGM_RSRC2:TRAP_HANDLER: 0
; COMPUTE_PGM_RSRC2:TGID_X_EN: 1
; COMPUTE_PGM_RSRC2:TGID_Y_EN: 0
; COMPUTE_PGM_RSRC2:TGID_Z_EN: 0
; COMPUTE_PGM_RSRC2:TIDIG_COMP_CNT: 0
; COMPUTE_PGM_RSRC3_GFX90A:ACCUM_OFFSET: 7
; COMPUTE_PGM_RSRC3_GFX90A:TG_SPLIT: 0
	.section	.text._ZL33csrmvn_symm_large_adaptive_kernelIii18rocsparse_bfloat16S0_ffEvbT_PKS1_N9rocsparse24const_host_device_scalarIT4_EES3_PKT0_PKT1_PKT2_S7_PT3_21rocsparse_index_base_b,"axG",@progbits,_ZL33csrmvn_symm_large_adaptive_kernelIii18rocsparse_bfloat16S0_ffEvbT_PKS1_N9rocsparse24const_host_device_scalarIT4_EES3_PKT0_PKT1_PKT2_S7_PT3_21rocsparse_index_base_b,comdat
	.globl	_ZL33csrmvn_symm_large_adaptive_kernelIii18rocsparse_bfloat16S0_ffEvbT_PKS1_N9rocsparse24const_host_device_scalarIT4_EES3_PKT0_PKT1_PKT2_S7_PT3_21rocsparse_index_base_b ; -- Begin function _ZL33csrmvn_symm_large_adaptive_kernelIii18rocsparse_bfloat16S0_ffEvbT_PKS1_N9rocsparse24const_host_device_scalarIT4_EES3_PKT0_PKT1_PKT2_S7_PT3_21rocsparse_index_base_b
	.p2align	8
	.type	_ZL33csrmvn_symm_large_adaptive_kernelIii18rocsparse_bfloat16S0_ffEvbT_PKS1_N9rocsparse24const_host_device_scalarIT4_EES3_PKT0_PKT1_PKT2_S7_PT3_21rocsparse_index_base_b,@function
_ZL33csrmvn_symm_large_adaptive_kernelIii18rocsparse_bfloat16S0_ffEvbT_PKS1_N9rocsparse24const_host_device_scalarIT4_EES3_PKT0_PKT1_PKT2_S7_PT3_21rocsparse_index_base_b: ; @_ZL33csrmvn_symm_large_adaptive_kernelIii18rocsparse_bfloat16S0_ffEvbT_PKS1_N9rocsparse24const_host_device_scalarIT4_EES3_PKT0_PKT1_PKT2_S7_PT3_21rocsparse_index_base_b
; %bb.0:
	s_load_dwordx2 s[20:21], s[4:5], 0x48
	s_load_dwordx2 s[22:23], s[4:5], 0x10
	;; [unrolled: 1-line block ×3, first 2 shown]
	s_waitcnt lgkmcnt(0)
	s_bitcmp1_b32 s21, 0
	s_cselect_b64 s[8:9], -1, 0
	s_xor_b64 s[2:3], s[8:9], -1
	s_and_b64 vcc, exec, s[8:9]
	s_cbranch_vccnz .LBB75_2
; %bb.1:
	s_load_dword s22, s[22:23], 0x0
.LBB75_2:
	s_andn2_b64 vcc, exec, s[2:3]
	s_cbranch_vccnz .LBB75_4
; %bb.3:
	s_load_dword s0, s[0:1], 0x0
.LBB75_4:
	s_waitcnt lgkmcnt(0)
	v_cmp_neq_f32_e64 s[2:3], s22, 0
	v_cmp_neq_f32_e64 s[0:1], s0, 1.0
	s_or_b64 s[0:1], s[2:3], s[0:1]
	s_andn2_b64 vcc, exec, s[0:1]
	s_cbranch_vccnz .LBB75_38
; %bb.5:
	s_load_dwordx2 s[0:1], s[4:5], 0x8
	s_ashr_i32 s7, s6, 31
	s_lshl_b64 s[2:3], s[6:7], 2
	v_lshlrev_b32_e32 v6, 2, v0
	v_mov_b32_e32 v1, 0
	s_waitcnt lgkmcnt(0)
	s_add_u32 s0, s0, s2
	s_addc_u32 s1, s1, s3
	ds_write2st64_b32 v6, v1, v1 offset1:4
	ds_write2st64_b32 v6, v1, v1 offset0:8 offset1:12
	s_waitcnt lgkmcnt(0)
	s_barrier
	s_load_dwordx2 s[24:25], s[0:1], 0x0
	s_load_dwordx8 s[12:19], s[4:5], 0x18
	s_load_dwordx2 s[26:27], s[4:5], 0x40
	s_waitcnt lgkmcnt(0)
	s_cmp_lt_i32 s24, s25
	s_cbranch_scc1 .LBB75_7
; %bb.6:
	s_ashr_i32 s1, s24, 31
	s_mov_b32 s0, s24
	s_lshl_b64 s[0:1], s[0:1], 2
	s_add_u32 s0, s12, s0
	s_addc_u32 s1, s13, s1
	s_load_dword s21, s[0:1], 0x0
	v_subrev_u32_e32 v7, s20, v0
	s_cbranch_execz .LBB75_8
	s_branch .LBB75_28
.LBB75_7:
                                        ; implicit-def: $sgpr21
	v_subrev_u32_e32 v7, s20, v0
.LBB75_8:
	s_ashr_i32 s11, s24, 31
	s_mov_b32 s10, s24
	s_lshl_b64 s[10:11], s[10:11], 2
	s_add_u32 s10, s12, s10
	s_addc_u32 s11, s13, s11
	s_waitcnt lgkmcnt(0)
	s_load_dword s21, s[10:11], 0x0
	s_movk_i32 s0, 0x100
	s_add_u32 s23, s12, 4
	v_cmp_gt_u32_e64 s[0:1], s0, v0
	v_cmp_gt_u32_e64 s[2:3], 64, v0
	;; [unrolled: 1-line block ×4, first 2 shown]
	v_cmp_eq_u32_e64 s[8:9], 0, v0
	s_addc_u32 s33, s13, 0
	v_mov_b32_e32 v8, s19
	v_mov_b32_e32 v9, 0
	s_waitcnt lgkmcnt(0)
	s_mov_b32 s29, s21
	s_mov_b32 s28, s24
	s_branch .LBB75_10
.LBB75_9:                               ;   in Loop: Header=BB75_10 Depth=1
	s_or_b64 exec, exec, s[10:11]
	s_add_i32 s28, s28, 1
	s_cmp_ge_i32 s28, s25
	s_cbranch_scc1 .LBB75_28
.LBB75_10:                              ; =>This Loop Header: Depth=1
                                        ;     Child Loop BB75_12 Depth 2
                                        ;     Child Loop BB75_27 Depth 2
	s_mov_b32 s34, s29
	s_ashr_i32 s29, s28, 31
	s_lshl_b64 s[30:31], s[28:29], 2
	s_add_u32 s10, s23, s30
	s_addc_u32 s11, s33, s31
	s_load_dword s29, s[10:11], 0x0
	v_add_u32_e32 v0, s34, v7
	v_mov_b32_e32 v1, 0
	s_waitcnt lgkmcnt(0)
	s_sub_i32 s38, s29, s20
	v_cmp_gt_i32_e32 vcc, s38, v0
	s_and_saveexec_b64 s[34:35], vcc
	s_cbranch_execz .LBB75_14
; %bb.11:                               ;   in Loop: Header=BB75_10 Depth=1
	v_ashrrev_i32_e32 v1, 31, v0
	v_lshlrev_b64 v[2:3], 2, v[0:1]
	v_mov_b32_e32 v4, s15
	v_add_co_u32_e32 v2, vcc, s14, v2
	v_addc_co_u32_e32 v3, vcc, v4, v3, vcc
	v_lshlrev_b64 v[4:5], 1, v[0:1]
	v_mov_b32_e32 v1, s17
	v_add_co_u32_e32 v4, vcc, s16, v4
	v_addc_co_u32_e32 v5, vcc, v1, v5, vcc
	s_mov_b64 s[36:37], 0
	v_mov_b32_e32 v1, 0
.LBB75_12:                              ;   Parent Loop BB75_10 Depth=1
                                        ; =>  This Inner Loop Header: Depth=2
	global_load_dword v10, v[2:3], off
	global_load_ushort v12, v[4:5], off
	v_add_u32_e32 v0, 0x100, v0
	v_cmp_le_i32_e64 s[10:11], s38, v0
	s_or_b64 s[36:37], s[10:11], s[36:37]
	s_waitcnt vmcnt(1)
	v_subrev_u32_e32 v10, s20, v10
	v_ashrrev_i32_e32 v11, 31, v10
	v_lshlrev_b64 v[10:11], 1, v[10:11]
	v_add_co_u32_e32 v10, vcc, s18, v10
	v_addc_co_u32_e32 v11, vcc, v8, v11, vcc
	global_load_ushort v10, v[10:11], off
	v_add_co_u32_e32 v2, vcc, 0x400, v2
	v_addc_co_u32_e32 v3, vcc, 0, v3, vcc
	v_add_co_u32_e32 v4, vcc, 0x200, v4
	s_waitcnt vmcnt(1)
	v_lshlrev_b32_e32 v11, 16, v12
	v_addc_co_u32_e32 v5, vcc, 0, v5, vcc
	s_waitcnt vmcnt(0)
	v_lshlrev_b32_e32 v10, 16, v10
	v_fmac_f32_e32 v1, v11, v10
	s_andn2_b64 exec, exec, s[36:37]
	s_cbranch_execnz .LBB75_12
; %bb.13:                               ;   in Loop: Header=BB75_10 Depth=1
	s_or_b64 exec, exec, s[36:37]
.LBB75_14:                              ;   in Loop: Header=BB75_10 Depth=1
	s_or_b64 exec, exec, s[34:35]
	ds_write_b32 v6, v1
	s_waitcnt lgkmcnt(0)
	s_barrier
	s_and_saveexec_b64 s[10:11], s[0:1]
	s_cbranch_execz .LBB75_16
; %bb.15:                               ;   in Loop: Header=BB75_10 Depth=1
	ds_read2st64_b32 v[0:1], v6 offset1:4
	ds_read2st64_b32 v[2:3], v6 offset0:8 offset1:12
	s_waitcnt lgkmcnt(0)
	v_add_f32_e32 v1, v1, v2
	v_add_f32_e32 v1, v1, v3
	;; [unrolled: 1-line block ×3, first 2 shown]
	ds_write_b32 v6, v0
.LBB75_16:                              ;   in Loop: Header=BB75_10 Depth=1
	s_or_b64 exec, exec, s[10:11]
	s_waitcnt lgkmcnt(0)
	s_barrier
	s_and_saveexec_b64 s[10:11], s[2:3]
	s_cbranch_execz .LBB75_18
; %bb.17:                               ;   in Loop: Header=BB75_10 Depth=1
	ds_read2st64_b32 v[0:1], v6 offset1:1
	ds_read2st64_b32 v[2:3], v6 offset0:2 offset1:3
	s_waitcnt lgkmcnt(0)
	v_add_f32_e32 v1, v1, v2
	v_add_f32_e32 v1, v1, v3
	v_add_f32_e32 v0, v0, v1
	ds_write_b32 v6, v0
.LBB75_18:                              ;   in Loop: Header=BB75_10 Depth=1
	s_or_b64 exec, exec, s[10:11]
	s_waitcnt lgkmcnt(0)
	s_barrier
	s_and_saveexec_b64 s[10:11], s[4:5]
	s_cbranch_execz .LBB75_20
; %bb.19:                               ;   in Loop: Header=BB75_10 Depth=1
	ds_read2_b32 v[0:1], v6 offset1:16
	ds_read2_b32 v[2:3], v6 offset0:32 offset1:48
	s_waitcnt lgkmcnt(0)
	v_add_f32_e32 v1, v1, v2
	v_add_f32_e32 v1, v1, v3
	;; [unrolled: 1-line block ×3, first 2 shown]
	ds_write_b32 v6, v0
.LBB75_20:                              ;   in Loop: Header=BB75_10 Depth=1
	s_or_b64 exec, exec, s[10:11]
	s_waitcnt lgkmcnt(0)
	s_barrier
	s_and_saveexec_b64 s[10:11], s[6:7]
	s_cbranch_execz .LBB75_22
; %bb.21:                               ;   in Loop: Header=BB75_10 Depth=1
	ds_read2_b32 v[0:1], v6 offset1:4
	ds_read2_b32 v[2:3], v6 offset0:8 offset1:12
	s_waitcnt lgkmcnt(0)
	v_add_f32_e32 v1, v1, v2
	v_add_f32_e32 v1, v1, v3
	;; [unrolled: 1-line block ×3, first 2 shown]
	ds_write_b32 v6, v0
.LBB75_22:                              ;   in Loop: Header=BB75_10 Depth=1
	s_or_b64 exec, exec, s[10:11]
	s_waitcnt lgkmcnt(0)
	s_barrier
	s_and_saveexec_b64 s[10:11], s[8:9]
	s_cbranch_execz .LBB75_24
; %bb.23:                               ;   in Loop: Header=BB75_10 Depth=1
	ds_read2_b32 v[0:1], v9 offset0:1 offset1:2
	ds_read_b32 v2, v9 offset:12
	ds_read_b32 v3, v6
	s_waitcnt lgkmcnt(2)
	v_add_f32_e32 v0, v0, v1
	s_waitcnt lgkmcnt(1)
	v_add_f32_e32 v0, v0, v2
	;; [unrolled: 2-line block ×3, first 2 shown]
	ds_write_b32 v6, v0
.LBB75_24:                              ;   in Loop: Header=BB75_10 Depth=1
	s_or_b64 exec, exec, s[10:11]
	s_waitcnt lgkmcnt(0)
	s_barrier
	s_and_saveexec_b64 s[10:11], s[8:9]
	s_cbranch_execz .LBB75_9
; %bb.25:                               ;   in Loop: Header=BB75_10 Depth=1
	s_mov_b64 s[34:35], exec
	v_mbcnt_lo_u32_b32 v0, s34, 0
	v_mbcnt_hi_u32_b32 v0, s35, v0
	v_cmp_eq_u32_e32 vcc, 0, v0
	s_and_b64 s[36:37], exec, vcc
	s_mov_b64 exec, s[36:37]
	s_cbranch_execz .LBB75_9
; %bb.26:                               ;   in Loop: Header=BB75_10 Depth=1
	s_add_u32 s30, s26, s30
	s_addc_u32 s31, s27, s31
	global_load_dword v1, v9, s[30:31]
	ds_read_b32 v0, v9
	s_bcnt1_i32_b64 s34, s[34:35]
	v_cvt_f32_ubyte0_e32 v2, s34
	s_mov_b64 s[34:35], 0
	s_waitcnt lgkmcnt(0)
	v_mul_f32_e32 v0, s22, v0
	v_mul_f32_e32 v2, v0, v2
.LBB75_27:                              ;   Parent Loop BB75_10 Depth=1
                                        ; =>  This Inner Loop Header: Depth=2
	s_waitcnt vmcnt(0)
	v_add_f32_e32 v0, v1, v2
	global_atomic_cmpswap v0, v9, v[0:1], s[30:31] glc
	s_waitcnt vmcnt(0)
	v_cmp_eq_u32_e32 vcc, v0, v1
	s_or_b64 s[34:35], vcc, s[34:35]
	v_mov_b32_e32 v1, v0
	s_andn2_b64 exec, exec, s[34:35]
	s_cbranch_execnz .LBB75_27
	s_branch .LBB75_9
.LBB75_28:
	s_ashr_i32 s1, s25, 31
	s_mov_b32 s0, s25
	s_lshl_b64 s[0:1], s[0:1], 2
	s_add_u32 s0, s12, s0
	s_addc_u32 s1, s13, s1
	s_load_dword s0, s[0:1], 0x0
	s_waitcnt lgkmcnt(0)
	v_add_u32_e32 v0, s21, v7
	s_sub_i32 s8, s0, s20
	v_cmp_gt_i32_e32 vcc, s8, v0
	s_and_saveexec_b64 s[0:1], vcc
	s_cbranch_execz .LBB75_38
; %bb.29:
	s_add_i32 s9, s25, -1
	s_cmp_gt_i32 s9, s24
	s_cselect_b64 s[0:1], -1, 0
	s_add_i32 s2, s25, -2
	s_cmp_lg_u32 s2, s24
	s_cselect_b64 s[2:3], -1, 0
	s_and_b64 s[0:1], s[0:1], s[2:3]
	v_cndmask_b32_e64 v1, 0, 1, s[0:1]
	s_mov_b64 s[4:5], 0
	v_cmp_ne_u32_e64 s[0:1], 1, v1
	v_mov_b32_e32 v6, s13
	v_mov_b32_e32 v7, s15
	s_branch .LBB75_31
.LBB75_30:                              ;   in Loop: Header=BB75_31 Depth=1
	s_or_b64 exec, exec, s[2:3]
	v_add_u32_e32 v0, 0x100, v0
	v_cmp_le_i32_e32 vcc, s8, v0
	s_or_b64 s[4:5], vcc, s[4:5]
	s_andn2_b64 exec, exec, s[4:5]
	s_cbranch_execz .LBB75_38
.LBB75_31:                              ; =>This Loop Header: Depth=1
                                        ;     Child Loop BB75_33 Depth 2
                                        ;     Child Loop BB75_37 Depth 2
	s_and_b64 vcc, exec, s[0:1]
	v_mov_b32_e32 v4, s24
	v_mov_b32_e32 v2, s9
	s_cbranch_vccnz .LBB75_35
; %bb.32:                               ;   in Loop: Header=BB75_31 Depth=1
	s_mov_b64 s[6:7], 0
	v_mov_b32_e32 v4, s24
	v_mov_b32_e32 v2, s9
.LBB75_33:                              ;   Parent Loop BB75_31 Depth=1
                                        ; =>  This Inner Loop Header: Depth=2
	v_add_u32_e32 v1, v2, v4
	v_lshrrev_b32_e32 v5, 31, v1
	v_add_u32_e32 v1, v1, v5
	v_ashrrev_i32_e32 v8, 1, v1
	v_ashrrev_i32_e32 v9, 31, v8
	v_lshlrev_b64 v[10:11], 2, v[8:9]
	v_mov_b32_e32 v3, s13
	v_add_co_u32_e32 v10, vcc, s12, v10
	v_addc_co_u32_e32 v11, vcc, v3, v11, vcc
	global_load_dword v1, v[10:11], off
	s_waitcnt vmcnt(0)
	v_subrev_u32_e32 v1, s20, v1
	v_cmp_gt_i32_e32 vcc, v1, v0
	v_cndmask_b32_e32 v2, v2, v8, vcc
	v_cndmask_b32_e32 v4, v8, v4, vcc
	v_add_u32_e32 v1, -1, v2
	v_cmp_ge_i32_e32 vcc, v4, v2
	v_cmp_eq_u32_e64 s[2:3], v4, v1
	s_or_b64 s[2:3], vcc, s[2:3]
	s_and_b64 s[2:3], exec, s[2:3]
	s_or_b64 s[6:7], s[2:3], s[6:7]
	s_andn2_b64 exec, exec, s[6:7]
	s_cbranch_execnz .LBB75_33
; %bb.34:                               ;   in Loop: Header=BB75_31 Depth=1
	s_or_b64 exec, exec, s[6:7]
.LBB75_35:                              ;   in Loop: Header=BB75_31 Depth=1
	v_ashrrev_i32_e32 v3, 31, v2
	v_lshlrev_b64 v[8:9], 2, v[2:3]
	v_add_co_u32_e32 v8, vcc, s12, v8
	v_addc_co_u32_e32 v9, vcc, v6, v9, vcc
	v_ashrrev_i32_e32 v1, 31, v0
	global_load_dword v3, v[8:9], off
	v_lshlrev_b64 v[8:9], 2, v[0:1]
	v_add_co_u32_e32 v8, vcc, s14, v8
	v_addc_co_u32_e32 v9, vcc, v7, v9, vcc
	global_load_dword v5, v[8:9], off
	s_waitcnt vmcnt(1)
	v_subrev_u32_e32 v3, s20, v3
	v_cmp_gt_i32_e32 vcc, v3, v0
	v_cndmask_b32_e32 v2, v2, v4, vcc
	s_waitcnt vmcnt(0)
	v_subrev_u32_e32 v4, s20, v5
	v_cmp_ne_u32_e32 vcc, v4, v2
	s_and_saveexec_b64 s[2:3], vcc
	s_cbranch_execz .LBB75_30
; %bb.36:                               ;   in Loop: Header=BB75_31 Depth=1
	v_lshlrev_b64 v[8:9], 1, v[0:1]
	v_mov_b32_e32 v1, s17
	v_add_co_u32_e32 v8, vcc, s16, v8
	v_ashrrev_i32_e32 v3, 31, v2
	v_addc_co_u32_e32 v9, vcc, v1, v9, vcc
	v_lshlrev_b64 v[2:3], 1, v[2:3]
	v_ashrrev_i32_e32 v5, 31, v4
	global_load_ushort v1, v[8:9], off
	v_mov_b32_e32 v8, s19
	v_add_co_u32_e32 v2, vcc, s18, v2
	v_lshlrev_b64 v[4:5], 2, v[4:5]
	v_addc_co_u32_e32 v3, vcc, v8, v3, vcc
	v_mov_b32_e32 v10, s27
	global_load_ushort v8, v[2:3], off
	v_add_co_u32_e32 v2, vcc, s26, v4
	v_addc_co_u32_e32 v3, vcc, v10, v5, vcc
	global_load_dword v5, v[2:3], off
	s_mov_b64 s[6:7], 0
	s_waitcnt vmcnt(2)
	v_lshlrev_b32_e32 v1, 16, v1
	v_mul_f32_e32 v1, s22, v1
	s_waitcnt vmcnt(1)
	v_lshlrev_b32_e32 v4, 16, v8
	v_mul_f32_e32 v1, v1, v4
.LBB75_37:                              ;   Parent Loop BB75_31 Depth=1
                                        ; =>  This Inner Loop Header: Depth=2
	s_waitcnt vmcnt(0)
	v_add_f32_e32 v4, v5, v1
	global_atomic_cmpswap v4, v[2:3], v[4:5], off glc
	s_waitcnt vmcnt(0)
	v_cmp_eq_u32_e32 vcc, v4, v5
	s_or_b64 s[6:7], vcc, s[6:7]
	v_mov_b32_e32 v5, v4
	s_andn2_b64 exec, exec, s[6:7]
	s_cbranch_execnz .LBB75_37
	s_branch .LBB75_30
.LBB75_38:
	s_endpgm
	.section	.rodata,"a",@progbits
	.p2align	6, 0x0
	.amdhsa_kernel _ZL33csrmvn_symm_large_adaptive_kernelIii18rocsparse_bfloat16S0_ffEvbT_PKS1_N9rocsparse24const_host_device_scalarIT4_EES3_PKT0_PKT1_PKT2_S7_PT3_21rocsparse_index_base_b
		.amdhsa_group_segment_fixed_size 4096
		.amdhsa_private_segment_fixed_size 0
		.amdhsa_kernarg_size 80
		.amdhsa_user_sgpr_count 6
		.amdhsa_user_sgpr_private_segment_buffer 1
		.amdhsa_user_sgpr_dispatch_ptr 0
		.amdhsa_user_sgpr_queue_ptr 0
		.amdhsa_user_sgpr_kernarg_segment_ptr 1
		.amdhsa_user_sgpr_dispatch_id 0
		.amdhsa_user_sgpr_flat_scratch_init 0
		.amdhsa_user_sgpr_kernarg_preload_length 0
		.amdhsa_user_sgpr_kernarg_preload_offset 0
		.amdhsa_user_sgpr_private_segment_size 0
		.amdhsa_uses_dynamic_stack 0
		.amdhsa_system_sgpr_private_segment_wavefront_offset 0
		.amdhsa_system_sgpr_workgroup_id_x 1
		.amdhsa_system_sgpr_workgroup_id_y 0
		.amdhsa_system_sgpr_workgroup_id_z 0
		.amdhsa_system_sgpr_workgroup_info 0
		.amdhsa_system_vgpr_workitem_id 0
		.amdhsa_next_free_vgpr 13
		.amdhsa_next_free_sgpr 39
		.amdhsa_accum_offset 16
		.amdhsa_reserve_vcc 1
		.amdhsa_reserve_flat_scratch 0
		.amdhsa_float_round_mode_32 0
		.amdhsa_float_round_mode_16_64 0
		.amdhsa_float_denorm_mode_32 3
		.amdhsa_float_denorm_mode_16_64 3
		.amdhsa_dx10_clamp 1
		.amdhsa_ieee_mode 1
		.amdhsa_fp16_overflow 0
		.amdhsa_tg_split 0
		.amdhsa_exception_fp_ieee_invalid_op 0
		.amdhsa_exception_fp_denorm_src 0
		.amdhsa_exception_fp_ieee_div_zero 0
		.amdhsa_exception_fp_ieee_overflow 0
		.amdhsa_exception_fp_ieee_underflow 0
		.amdhsa_exception_fp_ieee_inexact 0
		.amdhsa_exception_int_div_zero 0
	.end_amdhsa_kernel
	.section	.text._ZL33csrmvn_symm_large_adaptive_kernelIii18rocsparse_bfloat16S0_ffEvbT_PKS1_N9rocsparse24const_host_device_scalarIT4_EES3_PKT0_PKT1_PKT2_S7_PT3_21rocsparse_index_base_b,"axG",@progbits,_ZL33csrmvn_symm_large_adaptive_kernelIii18rocsparse_bfloat16S0_ffEvbT_PKS1_N9rocsparse24const_host_device_scalarIT4_EES3_PKT0_PKT1_PKT2_S7_PT3_21rocsparse_index_base_b,comdat
.Lfunc_end75:
	.size	_ZL33csrmvn_symm_large_adaptive_kernelIii18rocsparse_bfloat16S0_ffEvbT_PKS1_N9rocsparse24const_host_device_scalarIT4_EES3_PKT0_PKT1_PKT2_S7_PT3_21rocsparse_index_base_b, .Lfunc_end75-_ZL33csrmvn_symm_large_adaptive_kernelIii18rocsparse_bfloat16S0_ffEvbT_PKS1_N9rocsparse24const_host_device_scalarIT4_EES3_PKT0_PKT1_PKT2_S7_PT3_21rocsparse_index_base_b
                                        ; -- End function
	.section	.AMDGPU.csdata,"",@progbits
; Kernel info:
; codeLenInByte = 1612
; NumSgprs: 43
; NumVgprs: 13
; NumAgprs: 0
; TotalNumVgprs: 13
; ScratchSize: 0
; MemoryBound: 0
; FloatMode: 240
; IeeeMode: 1
; LDSByteSize: 4096 bytes/workgroup (compile time only)
; SGPRBlocks: 5
; VGPRBlocks: 1
; NumSGPRsForWavesPerEU: 43
; NumVGPRsForWavesPerEU: 13
; AccumOffset: 16
; Occupancy: 8
; WaveLimiterHint : 1
; COMPUTE_PGM_RSRC2:SCRATCH_EN: 0
; COMPUTE_PGM_RSRC2:USER_SGPR: 6
; COMPUTE_PGM_RSRC2:TRAP_HANDLER: 0
; COMPUTE_PGM_RSRC2:TGID_X_EN: 1
; COMPUTE_PGM_RSRC2:TGID_Y_EN: 0
; COMPUTE_PGM_RSRC2:TGID_Z_EN: 0
; COMPUTE_PGM_RSRC2:TIDIG_COMP_CNT: 0
; COMPUTE_PGM_RSRC3_GFX90A:ACCUM_OFFSET: 3
; COMPUTE_PGM_RSRC3_GFX90A:TG_SPLIT: 0
	.section	.text._ZN9rocsparseL22csrmvn_adaptive_kernelIli18rocsparse_bfloat16S1_ffEEvbT_PKS2_PjPKT0_NS_24const_host_device_scalarIT4_EES4_S8_PKT1_PKT2_SB_PT3_21rocsparse_index_base_b,"axG",@progbits,_ZN9rocsparseL22csrmvn_adaptive_kernelIli18rocsparse_bfloat16S1_ffEEvbT_PKS2_PjPKT0_NS_24const_host_device_scalarIT4_EES4_S8_PKT1_PKT2_SB_PT3_21rocsparse_index_base_b,comdat
	.globl	_ZN9rocsparseL22csrmvn_adaptive_kernelIli18rocsparse_bfloat16S1_ffEEvbT_PKS2_PjPKT0_NS_24const_host_device_scalarIT4_EES4_S8_PKT1_PKT2_SB_PT3_21rocsparse_index_base_b ; -- Begin function _ZN9rocsparseL22csrmvn_adaptive_kernelIli18rocsparse_bfloat16S1_ffEEvbT_PKS2_PjPKT0_NS_24const_host_device_scalarIT4_EES4_S8_PKT1_PKT2_SB_PT3_21rocsparse_index_base_b
	.p2align	8
	.type	_ZN9rocsparseL22csrmvn_adaptive_kernelIli18rocsparse_bfloat16S1_ffEEvbT_PKS2_PjPKT0_NS_24const_host_device_scalarIT4_EES4_S8_PKT1_PKT2_SB_PT3_21rocsparse_index_base_b,@function
_ZN9rocsparseL22csrmvn_adaptive_kernelIli18rocsparse_bfloat16S1_ffEEvbT_PKS2_PjPKT0_NS_24const_host_device_scalarIT4_EES4_S8_PKT1_PKT2_SB_PT3_21rocsparse_index_base_b: ; @_ZN9rocsparseL22csrmvn_adaptive_kernelIli18rocsparse_bfloat16S1_ffEEvbT_PKS2_PjPKT0_NS_24const_host_device_scalarIT4_EES4_S8_PKT1_PKT2_SB_PT3_21rocsparse_index_base_b
; %bb.0:
	s_load_dwordx2 s[48:49], s[4:5], 0x60
	s_load_dwordx2 s[46:47], s[4:5], 0x28
	;; [unrolled: 1-line block ×3, first 2 shown]
	s_waitcnt lgkmcnt(0)
	s_bitcmp1_b32 s49, 0
	s_cselect_b64 s[2:3], -1, 0
	s_xor_b64 s[0:1], s[2:3], -1
	s_and_b64 vcc, exec, s[2:3]
	s_cbranch_vccnz .LBB76_2
; %bb.1:
	s_load_dword s46, s[46:47], 0x0
.LBB76_2:
	s_andn2_b64 vcc, exec, s[0:1]
	s_cbranch_vccnz .LBB76_4
; %bb.3:
	s_load_dword s34, s[34:35], 0x0
.LBB76_4:
	s_waitcnt lgkmcnt(0)
	v_cmp_neq_f32_e64 s[0:1], s46, 0
	v_cmp_neq_f32_e64 s[2:3], s34, 1.0
	s_or_b64 s[0:1], s[0:1], s[2:3]
	s_andn2_b64 vcc, exec, s[0:1]
	s_cbranch_vccnz .LBB76_121
; %bb.5:
	s_load_dwordx2 s[0:1], s[4:5], 0x10
	s_load_dwordx2 s[8:9], s[4:5], 0x20
	s_ashr_i32 s7, s6, 31
	s_lshl_b64 s[2:3], s[6:7], 3
	s_waitcnt lgkmcnt(0)
	s_add_u32 s0, s0, s2
	s_addc_u32 s1, s1, s3
	s_load_dwordx4 s[36:39], s[0:1], 0x0
	s_load_dwordx2 s[40:41], s[4:5], 0x58
	s_load_dwordx8 s[24:31], s[4:5], 0x30
	s_lshl_b64 s[50:51], s[6:7], 2
	s_waitcnt lgkmcnt(0)
	s_sub_i32 s2, s38, s36
	s_add_u32 s0, s8, s50
	s_addc_u32 s1, s9, s51
	s_lshl_b64 s[8:9], s[36:37], 3
	s_add_u32 s42, s24, s8
	s_addc_u32 s43, s25, s9
	s_load_dword s33, s[0:1], 0x0
	s_load_dwordx2 s[44:45], s[42:43], 0x0
	s_cmp_lt_i32 s2, 2
	s_mov_b64 s[0:1], -1
	s_cbranch_scc0 .LBB76_72
; %bb.6:
	s_cmp_lg_u32 s2, 1
	s_cselect_b64 s[0:1], -1, 0
	s_waitcnt lgkmcnt(0)
	s_cmp_lg_u32 s33, 0
	s_cselect_b64 s[2:3], -1, 0
	s_or_b64 s[2:3], s[0:1], s[2:3]
	s_mov_b64 s[0:1], -1
	s_and_b64 vcc, exec, s[2:3]
	s_cbranch_vccnz .LBB76_35
; %bb.7:
	v_pk_mov_b32 v[2:3], s[36:37], s[36:37] op_sel:[0,1]
	v_cmp_le_i64_e32 vcc, s[38:39], v[2:3]
	s_cbranch_vccnz .LBB76_34
; %bb.8:
	v_subrev_co_u32_e32 v1, vcc, s48, v0
	v_subb_co_u32_e64 v10, s[0:1], 0, 0, vcc
	v_cmp_neq_f32_e64 s[20:21], s34, 0
	s_movk_i32 s0, 0x80
	s_add_u32 s7, s24, 8
	v_cndmask_b32_e64 v2, 0, 1, s[20:21]
	v_lshlrev_b32_e32 v11, 2, v0
	v_cmp_gt_u32_e64 s[0:1], s0, v0
	v_cmp_gt_u32_e64 s[2:3], 64, v0
	;; [unrolled: 1-line block ×7, first 2 shown]
	v_cmp_eq_u32_e64 s[18:19], 0, v0
	s_addc_u32 s35, s25, 0
	v_mov_b32_e32 v12, s31
	s_movk_i32 s47, 0x100
	v_mov_b32_e32 v13, 0
	v_cmp_ne_u32_e64 s[20:21], 1, v2
	v_pk_mov_b32 v[2:3], s[38:39], s[38:39] op_sel:[0,1]
	s_mov_b64 s[54:55], s[44:45]
	s_mov_b64 s[52:53], s[36:37]
	s_branch .LBB76_11
.LBB76_9:                               ;   in Loop: Header=BB76_11 Depth=1
	s_lshl_b64 s[56:57], s[52:53], 2
	s_add_u32 s56, s40, s56
	s_addc_u32 s57, s41, s57
	s_waitcnt lgkmcnt(0)
	global_store_dword v13, v4, s[56:57]
.LBB76_10:                              ;   in Loop: Header=BB76_11 Depth=1
	s_or_b64 exec, exec, s[22:23]
	s_add_u32 s52, s52, 1
	s_addc_u32 s53, s53, 0
	v_cmp_ge_i64_e32 vcc, s[52:53], v[2:3]
	s_cbranch_vccnz .LBB76_34
.LBB76_11:                              ; =>This Loop Header: Depth=1
                                        ;     Child Loop BB76_13 Depth 2
	s_mov_b64 s[22:23], s[54:55]
	s_lshl_b64 s[54:55], s[52:53], 3
	s_add_u32 s54, s7, s54
	s_addc_u32 s55, s35, s55
	s_load_dwordx2 s[54:55], s[54:55], 0x0
	v_mov_b32_e32 v5, s23
	v_add_co_u32_e32 v4, vcc, s22, v1
	v_addc_co_u32_e32 v5, vcc, v5, v10, vcc
	s_waitcnt lgkmcnt(0)
	s_sub_u32 s56, s54, s48
	s_subb_u32 s57, s55, 0
	v_cmp_gt_i64_e32 vcc, s[56:57], v[4:5]
	v_mov_b32_e32 v14, 0
	s_and_saveexec_b64 s[58:59], vcc
	s_cbranch_execz .LBB76_15
; %bb.12:                               ;   in Loop: Header=BB76_11 Depth=1
	v_lshlrev_b64 v[6:7], 1, v[4:5]
	v_mov_b32_e32 v8, s29
	v_add_co_u32_e32 v6, vcc, s28, v6
	v_addc_co_u32_e32 v7, vcc, v8, v7, vcc
	v_lshlrev_b64 v[8:9], 2, v[4:5]
	v_mov_b32_e32 v14, s27
	v_add_co_u32_e32 v8, vcc, s26, v8
	v_addc_co_u32_e32 v9, vcc, v14, v9, vcc
	s_mov_b64 s[60:61], 0
	v_mov_b32_e32 v14, 0
.LBB76_13:                              ;   Parent Loop BB76_11 Depth=1
                                        ; =>  This Inner Loop Header: Depth=2
	global_load_dword v15, v[8:9], off
	global_load_ushort v18, v[6:7], off
	s_waitcnt vmcnt(1)
	v_subrev_u32_e32 v16, s48, v15
	v_ashrrev_i32_e32 v17, 31, v16
	v_lshlrev_b64 v[16:17], 1, v[16:17]
	v_add_co_u32_e32 v16, vcc, s30, v16
	v_addc_co_u32_e32 v17, vcc, v12, v17, vcc
	global_load_ushort v15, v[16:17], off
	v_add_co_u32_e32 v4, vcc, s47, v4
	v_addc_co_u32_e32 v5, vcc, 0, v5, vcc
	v_add_co_u32_e32 v6, vcc, 0x200, v6
	v_addc_co_u32_e32 v7, vcc, 0, v7, vcc
	s_waitcnt vmcnt(1)
	v_lshlrev_b32_e32 v16, 16, v18
	v_add_co_u32_e32 v8, vcc, 0x400, v8
	v_cmp_le_i64_e64 s[22:23], s[56:57], v[4:5]
	v_mul_f32_e32 v16, s46, v16
	v_addc_co_u32_e32 v9, vcc, 0, v9, vcc
	s_or_b64 s[60:61], s[22:23], s[60:61]
	s_waitcnt vmcnt(0)
	v_lshlrev_b32_e32 v15, 16, v15
	v_fmac_f32_e32 v14, v16, v15
	s_andn2_b64 exec, exec, s[60:61]
	s_cbranch_execnz .LBB76_13
; %bb.14:                               ;   in Loop: Header=BB76_11 Depth=1
	s_or_b64 exec, exec, s[60:61]
.LBB76_15:                              ;   in Loop: Header=BB76_11 Depth=1
	s_or_b64 exec, exec, s[58:59]
	ds_write_b32 v11, v14
	s_waitcnt lgkmcnt(0)
	s_barrier
	s_and_saveexec_b64 s[22:23], s[0:1]
	s_cbranch_execz .LBB76_17
; %bb.16:                               ;   in Loop: Header=BB76_11 Depth=1
	ds_read2st64_b32 v[4:5], v11 offset1:2
	s_waitcnt lgkmcnt(0)
	v_add_f32_e32 v4, v4, v5
	ds_write_b32 v11, v4
.LBB76_17:                              ;   in Loop: Header=BB76_11 Depth=1
	s_or_b64 exec, exec, s[22:23]
	s_waitcnt lgkmcnt(0)
	s_barrier
	s_and_saveexec_b64 s[22:23], s[2:3]
	s_cbranch_execz .LBB76_19
; %bb.18:                               ;   in Loop: Header=BB76_11 Depth=1
	ds_read2st64_b32 v[4:5], v11 offset1:1
	s_waitcnt lgkmcnt(0)
	v_add_f32_e32 v4, v4, v5
	ds_write_b32 v11, v4
.LBB76_19:                              ;   in Loop: Header=BB76_11 Depth=1
	s_or_b64 exec, exec, s[22:23]
	s_waitcnt lgkmcnt(0)
	s_barrier
	s_and_saveexec_b64 s[22:23], s[8:9]
	s_cbranch_execz .LBB76_21
; %bb.20:                               ;   in Loop: Header=BB76_11 Depth=1
	ds_read2_b32 v[4:5], v11 offset1:32
	s_waitcnt lgkmcnt(0)
	v_add_f32_e32 v4, v4, v5
	ds_write_b32 v11, v4
.LBB76_21:                              ;   in Loop: Header=BB76_11 Depth=1
	s_or_b64 exec, exec, s[22:23]
	s_waitcnt lgkmcnt(0)
	s_barrier
	s_and_saveexec_b64 s[22:23], s[10:11]
	s_cbranch_execz .LBB76_23
; %bb.22:                               ;   in Loop: Header=BB76_11 Depth=1
	ds_read2_b32 v[4:5], v11 offset1:16
	s_waitcnt lgkmcnt(0)
	v_add_f32_e32 v4, v4, v5
	ds_write_b32 v11, v4
.LBB76_23:                              ;   in Loop: Header=BB76_11 Depth=1
	;; [unrolled: 11-line block ×5, first 2 shown]
	s_or_b64 exec, exec, s[22:23]
	s_waitcnt lgkmcnt(0)
	s_barrier
	s_and_saveexec_b64 s[22:23], s[18:19]
	s_cbranch_execz .LBB76_31
; %bb.30:                               ;   in Loop: Header=BB76_11 Depth=1
	ds_read_b64 v[4:5], v13
	s_waitcnt lgkmcnt(0)
	v_add_f32_e32 v4, v4, v5
	ds_write_b32 v13, v4
.LBB76_31:                              ;   in Loop: Header=BB76_11 Depth=1
	s_or_b64 exec, exec, s[22:23]
	s_waitcnt lgkmcnt(0)
	s_barrier
	s_and_saveexec_b64 s[22:23], s[18:19]
	s_cbranch_execz .LBB76_10
; %bb.32:                               ;   in Loop: Header=BB76_11 Depth=1
	ds_read_b32 v4, v13
	s_and_b64 vcc, exec, s[20:21]
	s_cbranch_vccnz .LBB76_9
; %bb.33:                               ;   in Loop: Header=BB76_11 Depth=1
	s_lshl_b64 s[56:57], s[52:53], 2
	s_add_u32 s56, s40, s56
	s_addc_u32 s57, s41, s57
	global_load_dword v5, v13, s[56:57]
	s_waitcnt vmcnt(0) lgkmcnt(0)
	v_fmac_f32_e32 v4, s34, v5
	s_branch .LBB76_9
.LBB76_34:
	s_mov_b64 s[0:1], 0
.LBB76_35:
	s_andn2_b64 vcc, exec, s[0:1]
	s_cbranch_vccnz .LBB76_71
; %bb.36:
	s_load_dwordx2 s[8:9], s[4:5], 0x18
	s_sub_i32 s6, s6, s33
	v_or_b32_e32 v1, s33, v0
	v_cmp_eq_u32_e32 vcc, 0, v1
	v_mov_b32_e32 v1, 0
	s_waitcnt lgkmcnt(0)
	s_add_u32 s2, s8, s50
	s_addc_u32 s3, s9, s51
	s_load_dword s16, s[2:3], 0x0
	s_and_saveexec_b64 s[0:1], vcc
	s_cbranch_execz .LBB76_40
; %bb.37:
	s_lshl_b64 s[12:13], s[36:37], 2
	s_add_u32 s12, s40, s12
	s_addc_u32 s13, s41, s13
	s_load_dword s14, s[12:13], 0x0
	s_mov_b64 s[10:11], exec
	v_mbcnt_lo_u32_b32 v2, s10, 0
	v_mbcnt_hi_u32_b32 v2, s11, v2
	v_add_f32_e64 v1, s34, -1.0
	v_cmp_eq_u32_e32 vcc, 0, v2
	s_waitcnt vmcnt(0) expcnt(0) lgkmcnt(0)
	s_and_saveexec_b64 s[12:13], vcc
	s_cbranch_execz .LBB76_39
; %bb.38:
	s_ashr_i32 s7, s6, 31
	s_lshl_b64 s[18:19], s[6:7], 2
	s_add_u32 s18, s8, s18
	s_addc_u32 s19, s9, s19
	s_bcnt1_i32_b64 s7, s[10:11]
	s_and_b32 s7, s7, 1
	v_mov_b32_e32 v2, 0
	v_mov_b32_e32 v3, s7
	global_atomic_xor v2, v3, s[18:19]
.LBB76_39:
	s_or_b64 exec, exec, s[12:13]
	v_mul_f32_e32 v1, s14, v1
.LBB76_40:
	s_or_b64 exec, exec, s[0:1]
	s_load_dwordx2 s[0:1], s[42:43], 0x8
	s_sub_u32 s11, s44, s48
	s_mul_i32 s7, s33, 0xc00
	s_subb_u32 s12, s45, 0
	s_mul_hi_i32 s10, s33, 0xc00
	s_add_u32 s7, s11, s7
	s_addc_u32 s12, s12, s10
	s_waitcnt lgkmcnt(0)
	s_sub_u32 s0, s0, s48
	v_mov_b32_e32 v3, s12
	v_add_co_u32_e32 v2, vcc, s7, v0
	s_subb_u32 s1, s1, 0
	v_addc_co_u32_e32 v3, vcc, 0, v3, vcc
	v_cmp_gt_i64_e32 vcc, s[0:1], v[2:3]
	s_and_saveexec_b64 s[10:11], vcc
	s_cbranch_execz .LBB76_44
; %bb.41:
	s_add_u32 s14, s7, 0xc00
	s_addc_u32 s15, s12, 0
	v_pk_mov_b32 v[4:5], s[0:1], s[0:1] op_sel:[0,1]
	v_cmp_lt_i64_e32 vcc, s[14:15], v[4:5]
	v_lshlrev_b64 v[4:5], 1, v[2:3]
	s_and_b64 s[12:13], vcc, exec
	v_mov_b32_e32 v6, s29
	v_add_co_u32_e32 v4, vcc, s28, v4
	v_addc_co_u32_e32 v5, vcc, v6, v5, vcc
	v_lshlrev_b64 v[6:7], 2, v[2:3]
	v_mov_b32_e32 v8, s27
	v_add_co_u32_e32 v6, vcc, s26, v6
	s_cselect_b32 s13, s15, s1
	s_cselect_b32 s12, s14, s0
	v_addc_co_u32_e32 v7, vcc, v8, v7, vcc
	s_mov_b64 s[14:15], 0
	v_mov_b32_e32 v8, s31
	s_movk_i32 s7, 0x100
.LBB76_42:                              ; =>This Inner Loop Header: Depth=1
	global_load_dword v9, v[6:7], off
	global_load_ushort v12, v[4:5], off
	s_waitcnt vmcnt(1)
	v_subrev_u32_e32 v10, s48, v9
	v_ashrrev_i32_e32 v11, 31, v10
	v_lshlrev_b64 v[10:11], 1, v[10:11]
	v_add_co_u32_e32 v10, vcc, s30, v10
	v_addc_co_u32_e32 v11, vcc, v8, v11, vcc
	global_load_ushort v9, v[10:11], off
	v_add_co_u32_e32 v2, vcc, s7, v2
	v_addc_co_u32_e32 v3, vcc, 0, v3, vcc
	v_add_co_u32_e32 v4, vcc, 0x200, v4
	v_addc_co_u32_e32 v5, vcc, 0, v5, vcc
	s_waitcnt vmcnt(1)
	v_lshlrev_b32_e32 v10, 16, v12
	v_add_co_u32_e32 v6, vcc, 0x400, v6
	v_cmp_le_i64_e64 s[0:1], s[12:13], v[2:3]
	v_mul_f32_e32 v10, s46, v10
	v_addc_co_u32_e32 v7, vcc, 0, v7, vcc
	s_or_b64 s[14:15], s[0:1], s[14:15]
	s_waitcnt vmcnt(0)
	v_lshlrev_b32_e32 v9, 16, v9
	v_fmac_f32_e32 v1, v10, v9
	s_andn2_b64 exec, exec, s[14:15]
	s_cbranch_execnz .LBB76_42
; %bb.43:
	s_or_b64 exec, exec, s[14:15]
.LBB76_44:
	s_or_b64 exec, exec, s[10:11]
	s_movk_i32 s0, 0x80
	v_lshlrev_b32_e32 v2, 2, v0
	v_cmp_gt_u32_e32 vcc, s0, v0
	ds_write_b32 v2, v1
	s_waitcnt lgkmcnt(0)
	s_barrier
	s_and_saveexec_b64 s[0:1], vcc
	s_cbranch_execz .LBB76_46
; %bb.45:
	ds_read2st64_b32 v[4:5], v2 offset1:2
	s_waitcnt lgkmcnt(0)
	v_add_f32_e32 v1, v4, v5
	ds_write_b32 v2, v1
.LBB76_46:
	s_or_b64 exec, exec, s[0:1]
	v_cmp_gt_u32_e32 vcc, 64, v0
	s_waitcnt lgkmcnt(0)
	s_barrier
	s_and_saveexec_b64 s[0:1], vcc
	s_cbranch_execz .LBB76_48
; %bb.47:
	ds_read2st64_b32 v[4:5], v2 offset1:1
	s_waitcnt lgkmcnt(0)
	v_add_f32_e32 v1, v4, v5
	ds_write_b32 v2, v1
.LBB76_48:
	s_or_b64 exec, exec, s[0:1]
	v_cmp_gt_u32_e32 vcc, 32, v0
	s_waitcnt lgkmcnt(0)
	s_barrier
	s_and_saveexec_b64 s[0:1], vcc
	s_cbranch_execz .LBB76_50
; %bb.49:
	ds_read2_b32 v[4:5], v2 offset1:32
	s_waitcnt lgkmcnt(0)
	v_add_f32_e32 v1, v4, v5
	ds_write_b32 v2, v1
.LBB76_50:
	s_or_b64 exec, exec, s[0:1]
	v_cmp_gt_u32_e32 vcc, 16, v0
	s_waitcnt lgkmcnt(0)
	s_barrier
	s_and_saveexec_b64 s[0:1], vcc
	s_cbranch_execz .LBB76_52
; %bb.51:
	ds_read2_b32 v[4:5], v2 offset1:16
	s_waitcnt lgkmcnt(0)
	v_add_f32_e32 v1, v4, v5
	ds_write_b32 v2, v1
.LBB76_52:
	;; [unrolled: 12-line block ×5, first 2 shown]
	s_or_b64 exec, exec, s[0:1]
	v_cmp_eq_u32_e32 vcc, 0, v0
	s_waitcnt lgkmcnt(0)
	s_barrier
	s_and_saveexec_b64 s[0:1], vcc
	s_cbranch_execz .LBB76_60
; %bb.59:
	v_mov_b32_e32 v1, 0
	ds_read_b64 v[2:3], v1
	s_waitcnt lgkmcnt(0)
	v_add_f32_e32 v2, v2, v3
	ds_write_b32 v1, v2
.LBB76_60:
	s_or_b64 exec, exec, s[0:1]
	s_waitcnt lgkmcnt(0)
	s_barrier
	s_and_saveexec_b64 s[0:1], vcc
	s_cbranch_execz .LBB76_70
; %bb.61:
	s_cmp_eq_u32 s33, 0
	s_cbranch_scc1 .LBB76_67
; %bb.62:
	s_ashr_i32 s7, s6, 31
	s_lshl_b64 s[6:7], s[6:7], 2
	s_add_u32 s6, s8, s6
	s_addc_u32 s7, s9, s7
	v_mov_b32_e32 v1, 0
	s_branch .LBB76_64
.LBB76_63:                              ;   in Loop: Header=BB76_64 Depth=1
	s_or_b64 exec, exec, s[8:9]
	s_waitcnt vmcnt(0)
	v_readfirstlane_b32 s8, v2
	s_cmp_eq_u32 s8, s16
	s_cbranch_scc0 .LBB76_66
.LBB76_64:                              ; =>This Inner Loop Header: Depth=1
	v_mbcnt_lo_u32_b32 v2, exec_lo, 0
	v_mbcnt_hi_u32_b32 v2, exec_hi, v2
	v_cmp_eq_u32_e32 vcc, 0, v2
                                        ; implicit-def: $vgpr2
	s_and_saveexec_b64 s[8:9], vcc
	s_cbranch_execz .LBB76_63
; %bb.65:                               ;   in Loop: Header=BB76_64 Depth=1
	global_load_dword v2, v1, s[6:7] glc
	s_branch .LBB76_63
.LBB76_66:
	v_mov_b32_e32 v1, 0
	global_load_dword v2, v1, s[2:3]
	s_waitcnt vmcnt(0)
	v_xor_b32_e32 v2, 1, v2
	global_store_dword v1, v2, s[2:3]
.LBB76_67:
	s_mov_b64 s[6:7], exec
	v_mbcnt_lo_u32_b32 v1, s6, 0
	v_mbcnt_hi_u32_b32 v1, s7, v1
	v_cmp_eq_u32_e32 vcc, 0, v1
	s_and_b64 s[2:3], exec, vcc
	s_mov_b64 exec, s[2:3]
	s_cbranch_execz .LBB76_70
; %bb.68:
	s_lshl_b64 s[2:3], s[36:37], 2
	s_add_u32 s2, s40, s2
	s_addc_u32 s3, s41, s3
	v_mov_b32_e32 v1, 0
	global_load_dword v3, v1, s[2:3]
	ds_read_b32 v2, v1
	s_bcnt1_i32_b64 s6, s[6:7]
	v_cvt_f32_ubyte0_e32 v4, s6
	s_mov_b64 s[6:7], 0
	s_waitcnt lgkmcnt(0)
	v_mul_f32_e32 v4, v2, v4
.LBB76_69:                              ; =>This Inner Loop Header: Depth=1
	s_waitcnt vmcnt(0)
	v_add_f32_e32 v2, v3, v4
	global_atomic_cmpswap v2, v1, v[2:3], s[2:3] glc
	s_waitcnt vmcnt(0)
	v_cmp_eq_u32_e32 vcc, v2, v3
	s_or_b64 s[6:7], vcc, s[6:7]
	v_mov_b32_e32 v3, v2
	s_andn2_b64 exec, exec, s[6:7]
	s_cbranch_execnz .LBB76_69
.LBB76_70:
	s_or_b64 exec, exec, s[0:1]
.LBB76_71:
	s_mov_b64 s[0:1], 0
.LBB76_72:
	s_andn2_b64 vcc, exec, s[0:1]
	s_cbranch_vccnz .LBB76_121
; %bb.73:
	s_load_dwordx2 s[0:1], s[4:5], 0x8
	v_subrev_co_u32_e32 v1, vcc, s48, v0
	v_subb_co_u32_e64 v2, s[2:3], 0, 0, vcc
	s_waitcnt lgkmcnt(0)
	v_mov_b32_e32 v3, s45
	v_add_co_u32_e32 v4, vcc, s44, v1
	v_addc_co_u32_e32 v5, vcc, v3, v2, vcc
	v_add_co_u32_e32 v2, vcc, 0x300, v4
	v_addc_co_u32_e32 v3, vcc, 0, v5, vcc
	s_mov_b32 s16, 0
	v_cmp_le_i64_e32 vcc, s[0:1], v[2:3]
	s_and_saveexec_b64 s[0:1], vcc
	s_xor_b64 s[2:3], exec, s[0:1]
	s_cbranch_execz .LBB76_83
; %bb.74:
	s_lshl_b64 s[0:1], s[38:39], 3
	s_add_u32 s0, s24, s0
	s_addc_u32 s1, s25, s1
	s_load_dwordx2 s[0:1], s[0:1], 0x0
	s_waitcnt lgkmcnt(0)
	s_sub_u32 s4, s0, s48
	s_subb_u32 s5, s1, 0
	v_cmp_gt_i64_e32 vcc, s[4:5], v[4:5]
	s_and_saveexec_b64 s[6:7], vcc
	s_cbranch_execz .LBB76_82
; %bb.75:
	v_mov_b32_e32 v1, s45
	v_add_co_u32_e32 v2, vcc, s44, v0
	v_addc_co_u32_e32 v1, vcc, 0, v1, vcc
	v_mov_b32_e32 v3, s16
	v_subrev_co_u32_e32 v2, vcc, s48, v2
	v_subb_co_u32_e32 v1, vcc, v1, v3, vcc
	v_add_co_u32_e32 v2, vcc, 0x100, v2
	v_addc_co_u32_e32 v3, vcc, 0, v1, vcc
	v_mov_b32_e32 v1, s5
	v_cmp_lt_i64_e32 vcc, s[4:5], v[2:3]
	s_not_b64 s[0:1], s[44:45]
	v_cndmask_b32_e32 v1, v1, v3, vcc
	v_mov_b32_e32 v3, s4
	s_add_u32 s0, s0, s48
	v_cndmask_b32_e32 v2, v3, v2, vcc
	s_addc_u32 s1, s1, 0
	v_mov_b32_e32 v3, s1
	v_add_co_u32_e32 v2, vcc, s0, v2
	v_addc_co_u32_e32 v1, vcc, v3, v1, vcc
	v_sub_co_u32_e32 v2, vcc, v2, v0
	v_subbrev_co_u32_e32 v3, vcc, 0, v1, vcc
	s_mov_b64 s[0:1], 0xff
	s_mov_b64 s[8:9], 0x100
	v_cmp_lt_u64_e32 vcc, s[0:1], v[2:3]
	s_mov_b64 s[0:1], -1
	v_pk_mov_b32 v[10:11], 0, 0
	s_and_saveexec_b64 s[10:11], vcc
	s_cbranch_execz .LBB76_79
; %bb.76:
	v_lshrrev_b64 v[2:3], 8, v[2:3]
	v_add_co_u32_e32 v6, vcc, 1, v2
	v_addc_co_u32_e32 v7, vcc, 0, v3, vcc
	v_and_b32_e32 v8, -2, v6
	v_mov_b32_e32 v9, v7
	v_mov_b32_e32 v2, v4
	;; [unrolled: 1-line block ×3, first 2 shown]
	s_mov_b32 s47, s46
	s_mov_b32 s17, s48
	;; [unrolled: 1-line block ×3, first 2 shown]
	v_mov_b32_e32 v1, v0
	s_mov_b64 s[12:13], 0
	v_mov_b32_e32 v12, s29
	v_mov_b32_e32 v13, s27
	;; [unrolled: 1-line block ×3, first 2 shown]
	v_pk_mov_b32 v[10:11], v[8:9], v[8:9] op_sel:[0,1]
	s_mov_b64 s[14:15], 0
.LBB76_77:                              ; =>This Inner Loop Header: Depth=1
	v_mov_b32_e32 v17, s15
	v_add_co_u32_e32 v16, vcc, s14, v4
	v_addc_co_u32_e32 v17, vcc, v17, v5, vcc
	v_mov_b32_e32 v15, s9
	v_add_co_u32_e64 v18, s[0:1], s8, v2
	v_lshlrev_b64 v[20:21], 2, v[16:17]
	v_addc_co_u32_e64 v19, s[0:1], v15, v3, s[0:1]
	v_add_co_u32_e32 v20, vcc, s26, v20
	v_lshlrev_b64 v[22:23], 2, v[18:19]
	v_addc_co_u32_e32 v21, vcc, v13, v21, vcc
	v_add_co_u32_e32 v22, vcc, s26, v22
	v_addc_co_u32_e32 v23, vcc, v13, v23, vcc
	global_load_dword v15, v[20:21], off
	global_load_dword v24, v[22:23], off
	v_lshlrev_b64 v[16:17], 1, v[16:17]
	v_add_co_u32_e32 v16, vcc, s28, v16
	v_lshlrev_b64 v[18:19], 1, v[18:19]
	v_addc_co_u32_e32 v17, vcc, v12, v17, vcc
	v_add_co_u32_e32 v18, vcc, s28, v18
	v_addc_co_u32_e32 v19, vcc, v12, v19, vcc
	global_load_ushort v20, v[16:17], off
	global_load_ushort v21, v[18:19], off
	v_add_lshl_u32 v23, v0, s14, 2
	s_add_u32 s14, s14, 0x200
	s_addc_u32 s15, s15, 0
	s_waitcnt vmcnt(3)
	v_subrev_u32_e32 v16, s17, v15
	v_ashrrev_i32_e32 v17, 31, v16
	s_waitcnt vmcnt(2)
	v_subrev_u32_e32 v18, s18, v24
	v_lshlrev_b64 v[16:17], 1, v[16:17]
	v_ashrrev_i32_e32 v19, 31, v18
	v_add_co_u32_e32 v16, vcc, s30, v16
	v_lshlrev_b64 v[18:19], 1, v[18:19]
	v_addc_co_u32_e32 v17, vcc, v14, v17, vcc
	v_add_co_u32_e32 v18, vcc, s30, v18
	v_addc_co_u32_e32 v19, vcc, v14, v19, vcc
	global_load_ushort v15, v[18:19], off
	global_load_ushort v22, v[16:17], off
	v_add_co_u32_e32 v10, vcc, -2, v10
	v_add_lshl_u32 v24, v1, s8, 2
	v_addc_co_u32_e32 v11, vcc, -1, v11, vcc
	s_add_u32 s8, s8, 0x200
	s_waitcnt vmcnt(2)
	v_lshlrev_b32_e32 v17, 16, v21
	v_lshlrev_b32_e32 v16, 16, v20
	v_cmp_eq_u64_e32 vcc, 0, v[10:11]
	s_addc_u32 s9, s9, 0
	v_pk_mul_f32 v[16:17], s[46:47], v[16:17]
	s_or_b64 s[12:13], vcc, s[12:13]
	s_waitcnt vmcnt(1)
	v_lshlrev_b32_e32 v19, 16, v15
	s_waitcnt vmcnt(0)
	v_lshlrev_b32_e32 v18, 16, v22
	v_pk_mul_f32 v[16:17], v[16:17], v[18:19]
	ds_write_b32 v23, v16
	ds_write_b32 v24, v17
	s_andn2_b64 exec, exec, s[12:13]
	s_cbranch_execnz .LBB76_77
; %bb.78:
	s_or_b64 exec, exec, s[12:13]
	v_cmp_ne_u64_e32 vcc, v[6:7], v[8:9]
	v_lshlrev_b64 v[10:11], 8, v[8:9]
	s_orn2_b64 s[0:1], vcc, exec
.LBB76_79:
	s_or_b64 exec, exec, s[10:11]
	s_and_b64 exec, exec, s[0:1]
	s_cbranch_execz .LBB76_82
; %bb.80:
	v_mov_b32_e32 v1, s45
	v_add_co_u32_e32 v2, vcc, s44, v10
	v_addc_co_u32_e32 v1, vcc, v11, v1, vcc
	v_add_co_u32_e32 v2, vcc, v2, v0
	v_addc_co_u32_e32 v1, vcc, 0, v1, vcc
	v_mov_b32_e32 v3, s16
	v_subrev_co_u32_e32 v2, vcc, s48, v2
	v_subb_co_u32_e32 v3, vcc, v1, v3, vcc
	v_lshlrev_b64 v[4:5], 1, v[2:3]
	v_mov_b32_e32 v6, s29
	v_add_co_u32_e32 v4, vcc, s28, v4
	v_addc_co_u32_e32 v5, vcc, v6, v5, vcc
	v_lshlrev_b64 v[6:7], 2, v[2:3]
	v_mov_b32_e32 v8, s27
	v_add_co_u32_e32 v6, vcc, s26, v6
	v_add_lshl_u32 v1, v0, v10, 2
	v_addc_co_u32_e32 v7, vcc, v8, v7, vcc
	s_mov_b64 s[8:9], 0
	v_mov_b32_e32 v8, s31
	s_movk_i32 s10, 0x100
.LBB76_81:                              ; =>This Inner Loop Header: Depth=1
	global_load_dword v9, v[6:7], off
	global_load_ushort v12, v[4:5], off
	s_waitcnt vmcnt(1)
	v_subrev_u32_e32 v10, s48, v9
	v_ashrrev_i32_e32 v11, 31, v10
	v_lshlrev_b64 v[10:11], 1, v[10:11]
	v_add_co_u32_e32 v10, vcc, s30, v10
	v_addc_co_u32_e32 v11, vcc, v8, v11, vcc
	global_load_ushort v9, v[10:11], off
	v_add_co_u32_e32 v2, vcc, s10, v2
	v_addc_co_u32_e32 v3, vcc, 0, v3, vcc
	v_add_co_u32_e32 v4, vcc, 0x200, v4
	s_waitcnt vmcnt(1)
	v_lshlrev_b32_e32 v10, 16, v12
	v_addc_co_u32_e32 v5, vcc, 0, v5, vcc
	v_mul_f32_e32 v10, s46, v10
	v_add_co_u32_e32 v6, vcc, 0x400, v6
	v_cmp_le_i64_e64 s[0:1], s[4:5], v[2:3]
	v_addc_co_u32_e32 v7, vcc, 0, v7, vcc
	s_or_b64 s[8:9], s[0:1], s[8:9]
	s_waitcnt vmcnt(0)
	v_lshlrev_b32_e32 v9, 16, v9
	v_mul_f32_e32 v9, v10, v9
	ds_write_b32 v1, v9
	v_add_u32_e32 v1, 0x400, v1
	s_andn2_b64 exec, exec, s[8:9]
	s_cbranch_execnz .LBB76_81
.LBB76_82:
	s_or_b64 exec, exec, s[6:7]
                                        ; implicit-def: $vgpr4_vgpr5
.LBB76_83:
	s_or_saveexec_b64 s[0:1], s[2:3]
	v_lshlrev_b32_e32 v1, 2, v0
	s_xor_b64 exec, exec, s[0:1]
	s_cbranch_execz .LBB76_85
; %bb.84:
	v_lshlrev_b64 v[2:3], 2, v[4:5]
	v_mov_b32_e32 v6, s27
	v_add_co_u32_e32 v2, vcc, s26, v2
	v_addc_co_u32_e32 v3, vcc, v6, v3, vcc
	global_load_dword v6, v[2:3], off
	global_load_dword v7, v[2:3], off offset:1024
	global_load_dword v8, v[2:3], off offset:2048
	;; [unrolled: 1-line block ×3, first 2 shown]
	v_lshlrev_b64 v[2:3], 1, v[4:5]
	v_mov_b32_e32 v4, s29
	v_add_co_u32_e32 v2, vcc, s28, v2
	v_addc_co_u32_e32 v3, vcc, v4, v3, vcc
	global_load_ushort v11, v[2:3], off
	global_load_ushort v12, v[2:3], off offset:512
	global_load_ushort v13, v[2:3], off offset:1024
	;; [unrolled: 1-line block ×3, first 2 shown]
	v_mov_b32_e32 v10, s31
	s_waitcnt vmcnt(7)
	v_subrev_u32_e32 v2, s48, v6
	v_ashrrev_i32_e32 v3, 31, v2
	s_waitcnt vmcnt(6)
	v_subrev_u32_e32 v4, s48, v7
	v_lshlrev_b64 v[2:3], 1, v[2:3]
	v_ashrrev_i32_e32 v5, 31, v4
	v_add_co_u32_e32 v2, vcc, s30, v2
	s_waitcnt vmcnt(5)
	v_subrev_u32_e32 v6, s48, v8
	v_lshlrev_b64 v[4:5], 1, v[4:5]
	v_addc_co_u32_e32 v3, vcc, v10, v3, vcc
	v_ashrrev_i32_e32 v7, 31, v6
	v_add_co_u32_e32 v4, vcc, s30, v4
	s_waitcnt vmcnt(4)
	v_subrev_u32_e32 v8, s48, v9
	v_lshlrev_b64 v[6:7], 1, v[6:7]
	v_addc_co_u32_e32 v5, vcc, v10, v5, vcc
	v_ashrrev_i32_e32 v9, 31, v8
	v_add_co_u32_e32 v6, vcc, s30, v6
	v_lshlrev_b64 v[8:9], 1, v[8:9]
	v_addc_co_u32_e32 v7, vcc, v10, v7, vcc
	v_add_co_u32_e32 v8, vcc, s30, v8
	v_addc_co_u32_e32 v9, vcc, v10, v9, vcc
	global_load_ushort v10, v[2:3], off
	global_load_ushort v15, v[4:5], off
	;; [unrolled: 1-line block ×4, first 2 shown]
	s_waitcnt vmcnt(7)
	v_lshlrev_b32_e32 v2, 16, v11
	s_waitcnt vmcnt(6)
	v_lshlrev_b32_e32 v3, 16, v12
	;; [unrolled: 2-line block ×4, first 2 shown]
	v_mul_f32_e32 v2, s46, v2
	v_mul_f32_e32 v3, s46, v3
	;; [unrolled: 1-line block ×4, first 2 shown]
	s_waitcnt vmcnt(3)
	v_lshlrev_b32_e32 v6, 16, v10
	s_waitcnt vmcnt(2)
	v_lshlrev_b32_e32 v7, 16, v15
	s_waitcnt vmcnt(1)
	v_lshlrev_b32_e32 v8, 16, v16
	s_waitcnt vmcnt(0)
	v_lshlrev_b32_e32 v9, 16, v17
	v_mul_f32_e32 v2, v2, v6
	v_mul_f32_e32 v3, v3, v7
	;; [unrolled: 1-line block ×4, first 2 shown]
	ds_write2st64_b32 v1, v2, v3 offset1:4
	ds_write2st64_b32 v1, v4, v5 offset0:8 offset1:12
.LBB76_85:
	s_or_b64 exec, exec, s[0:1]
	s_cmp_lt_i32 s33, 2
	s_mov_b64 s[0:1], -1
	s_waitcnt lgkmcnt(0)
	s_barrier
	s_cbranch_scc0 .LBB76_96
; %bb.86:
	v_mov_b32_e32 v2, s37
	v_add_co_u32_e32 v6, vcc, s36, v0
	v_addc_co_u32_e32 v7, vcc, 0, v2, vcc
	v_cmp_gt_i64_e32 vcc, s[38:39], v[6:7]
	s_and_saveexec_b64 s[0:1], vcc
	s_cbranch_execz .LBB76_95
; %bb.87:
	s_lshl_b32 s4, s44, 2
	v_cmp_neq_f32_e64 s[2:3], s34, 0
	s_sub_i32 s10, 0, s4
	s_mov_b64 s[4:5], 0
	v_mov_b32_e32 v8, s25
	v_mov_b32_e32 v9, s41
	s_branch .LBB76_89
.LBB76_88:                              ;   in Loop: Header=BB76_89 Depth=1
	v_add_co_u32_e32 v2, vcc, s40, v2
	v_addc_co_u32_e32 v3, vcc, v9, v3, vcc
	v_add_co_u32_e32 v6, vcc, 0x100, v6
	v_addc_co_u32_e32 v7, vcc, 0, v7, vcc
	v_cmp_le_i64_e32 vcc, s[38:39], v[6:7]
	s_or_b64 s[4:5], vcc, s[4:5]
	global_store_dword v[2:3], v4, off
	s_andn2_b64 exec, exec, s[4:5]
	s_cbranch_execz .LBB76_95
.LBB76_89:                              ; =>This Loop Header: Depth=1
                                        ;     Child Loop BB76_91 Depth 2
	v_lshlrev_b64 v[2:3], 3, v[6:7]
	v_add_co_u32_e32 v2, vcc, s24, v2
	v_addc_co_u32_e32 v3, vcc, v8, v3, vcc
	global_load_dwordx4 v[2:5], v[2:3], off
	s_waitcnt vmcnt(0)
	v_subrev_u32_e32 v3, s44, v2
	v_subrev_u32_e32 v5, s44, v4
	v_cmp_lt_i32_e32 vcc, v3, v5
	v_mov_b32_e32 v4, 0
	s_and_saveexec_b64 s[6:7], vcc
	s_cbranch_execz .LBB76_93
; %bb.90:                               ;   in Loop: Header=BB76_89 Depth=1
	v_lshl_add_u32 v2, v2, 2, s10
	s_mov_b64 s[8:9], 0
	v_mov_b32_e32 v4, 0
.LBB76_91:                              ;   Parent Loop BB76_89 Depth=1
                                        ; =>  This Inner Loop Header: Depth=2
	ds_read_b32 v10, v2
	v_add_u32_e32 v3, 1, v3
	v_cmp_ge_i32_e32 vcc, v3, v5
	v_add_u32_e32 v2, 4, v2
	s_or_b64 s[8:9], vcc, s[8:9]
	s_waitcnt lgkmcnt(0)
	v_add_f32_e32 v4, v4, v10
	s_andn2_b64 exec, exec, s[8:9]
	s_cbranch_execnz .LBB76_91
; %bb.92:                               ;   in Loop: Header=BB76_89 Depth=1
	s_or_b64 exec, exec, s[8:9]
.LBB76_93:                              ;   in Loop: Header=BB76_89 Depth=1
	s_or_b64 exec, exec, s[6:7]
	s_and_b64 vcc, exec, s[2:3]
	v_lshlrev_b64 v[2:3], 2, v[6:7]
	s_cbranch_vccz .LBB76_88
; %bb.94:                               ;   in Loop: Header=BB76_89 Depth=1
	v_mov_b32_e32 v5, s41
	v_add_co_u32_e32 v10, vcc, s40, v2
	v_addc_co_u32_e32 v11, vcc, v5, v3, vcc
	global_load_dword v5, v[10:11], off
	s_waitcnt vmcnt(0)
	v_fmac_f32_e32 v4, s34, v5
	s_branch .LBB76_88
.LBB76_95:
	s_or_b64 exec, exec, s[0:1]
	s_mov_b64 s[0:1], 0
.LBB76_96:
	s_andn2_b64 vcc, exec, s[0:1]
	s_cbranch_vccnz .LBB76_121
; %bb.97:
	s_flbit_i32_b32 s0, s33
	s_xor_b32 s0, s0, 31
	v_lshrrev_b32_e32 v4, s0, v0
	v_mov_b32_e32 v3, s37
	v_add_co_u32_e32 v2, vcc, s36, v4
	v_addc_co_u32_e32 v3, vcc, 0, v3, vcc
	s_add_i32 s0, s33, -1
	v_mov_b32_e32 v5, 0
	v_and_b32_e32 v0, s0, v0
	v_cmp_le_i64_e32 vcc, s[38:39], v[2:3]
	v_cmp_gt_i64_e64 s[0:1], s[38:39], v[2:3]
	s_and_saveexec_b64 s[2:3], s[0:1]
	s_cbranch_execz .LBB76_103
; %bb.98:
	v_lshlrev_b32_e32 v4, 3, v4
	global_load_dword v5, v4, s[42:43] offset:8
	global_load_dword v6, v4, s[42:43]
	s_waitcnt vmcnt(1)
	v_subrev_u32_e32 v4, s44, v5
	s_waitcnt vmcnt(0)
	v_subrev_u32_e32 v5, s44, v6
	v_add_u32_e32 v6, v0, v5
	v_cmp_lt_i32_e64 s[0:1], v6, v4
	v_mov_b32_e32 v5, 0
	s_and_saveexec_b64 s[4:5], s[0:1]
	s_cbranch_execz .LBB76_102
; %bb.99:
	v_lshlrev_b32_e32 v7, 2, v6
	s_lshl_b32 s8, s33, 2
	s_mov_b64 s[6:7], 0
	v_mov_b32_e32 v5, 0
.LBB76_100:                             ; =>This Inner Loop Header: Depth=1
	ds_read_b32 v8, v7
	v_add_u32_e32 v6, s33, v6
	v_cmp_ge_i32_e64 s[0:1], v6, v4
	v_add_u32_e32 v7, s8, v7
	s_or_b64 s[6:7], s[0:1], s[6:7]
	s_waitcnt lgkmcnt(0)
	v_add_f32_e32 v5, v5, v8
	s_andn2_b64 exec, exec, s[6:7]
	s_cbranch_execnz .LBB76_100
; %bb.101:
	s_or_b64 exec, exec, s[6:7]
.LBB76_102:
	s_or_b64 exec, exec, s[4:5]
.LBB76_103:
	s_or_b64 exec, exec, s[2:3]
	s_cmpk_lt_i32 s33, 0x81
	s_barrier
	ds_write_b32 v1, v5
	s_waitcnt lgkmcnt(0)
	s_barrier
	s_cbranch_scc1 .LBB76_105
; %bb.104:
	ds_read_b32 v4, v1 offset:512
	s_waitcnt lgkmcnt(0)
	s_barrier
	v_add_f32_e32 v5, v5, v4
	ds_write_b32 v1, v5
.LBB76_105:
	s_cmpk_lt_i32 s33, 0x41
	s_waitcnt lgkmcnt(0)
	s_barrier
	s_cbranch_scc1 .LBB76_107
; %bb.106:
	ds_read_b32 v4, v1 offset:256
	s_waitcnt lgkmcnt(0)
	s_barrier
	v_add_f32_e32 v5, v5, v4
	ds_write_b32 v1, v5
.LBB76_107:
	s_cmp_lt_i32 s33, 33
	s_waitcnt lgkmcnt(0)
	s_barrier
	s_cbranch_scc1 .LBB76_109
; %bb.108:
	ds_read_b32 v4, v1 offset:128
	s_waitcnt lgkmcnt(0)
	s_barrier
	v_add_f32_e32 v5, v5, v4
	ds_write_b32 v1, v5
.LBB76_109:
	s_cmp_lt_i32 s33, 17
	;; [unrolled: 11-line block ×4, first 2 shown]
	s_waitcnt lgkmcnt(0)
	s_barrier
	s_cbranch_scc1 .LBB76_115
; %bb.114:
	ds_read_b32 v4, v1 offset:16
	s_waitcnt lgkmcnt(0)
	s_barrier
	v_add_f32_e32 v5, v5, v4
	ds_write_b32 v1, v5
.LBB76_115:
	s_cmp_eq_u32 s33, 2
	s_waitcnt lgkmcnt(0)
	s_barrier
	s_cbranch_scc1 .LBB76_117
; %bb.116:
	ds_read_b32 v4, v1 offset:8
	s_waitcnt lgkmcnt(0)
	s_barrier
	v_add_f32_e32 v5, v5, v4
	ds_write_b32 v1, v5
.LBB76_117:
	s_waitcnt lgkmcnt(0)
	s_barrier
	ds_read_b32 v4, v1 offset:4
	v_cmp_eq_u32_e64 s[0:1], 0, v0
	s_xor_b64 s[2:3], vcc, -1
	s_and_b64 s[0:1], s[0:1], s[2:3]
	s_waitcnt lgkmcnt(0)
	v_add_f32_e32 v4, v5, v4
	s_barrier
	ds_write_b32 v1, v4
	s_and_saveexec_b64 s[2:3], s[0:1]
	s_cbranch_execz .LBB76_121
; %bb.118:
	v_cmp_eq_f32_e64 s[0:1], s34, 0
	s_and_b64 vcc, exec, s[0:1]
	v_lshlrev_b64 v[0:1], 2, v[2:3]
	s_cbranch_vccnz .LBB76_120
; %bb.119:
	v_mov_b32_e32 v3, s41
	v_add_co_u32_e32 v2, vcc, s40, v0
	v_addc_co_u32_e32 v3, vcc, v3, v1, vcc
	global_load_dword v2, v[2:3], off
	s_waitcnt vmcnt(0)
	v_fmac_f32_e32 v4, s34, v2
.LBB76_120:
	v_mov_b32_e32 v2, s41
	v_add_co_u32_e32 v0, vcc, s40, v0
	v_addc_co_u32_e32 v1, vcc, v2, v1, vcc
	global_store_dword v[0:1], v4, off
.LBB76_121:
	s_endpgm
	.section	.rodata,"a",@progbits
	.p2align	6, 0x0
	.amdhsa_kernel _ZN9rocsparseL22csrmvn_adaptive_kernelIli18rocsparse_bfloat16S1_ffEEvbT_PKS2_PjPKT0_NS_24const_host_device_scalarIT4_EES4_S8_PKT1_PKT2_SB_PT3_21rocsparse_index_base_b
		.amdhsa_group_segment_fixed_size 4096
		.amdhsa_private_segment_fixed_size 0
		.amdhsa_kernarg_size 104
		.amdhsa_user_sgpr_count 6
		.amdhsa_user_sgpr_private_segment_buffer 1
		.amdhsa_user_sgpr_dispatch_ptr 0
		.amdhsa_user_sgpr_queue_ptr 0
		.amdhsa_user_sgpr_kernarg_segment_ptr 1
		.amdhsa_user_sgpr_dispatch_id 0
		.amdhsa_user_sgpr_flat_scratch_init 0
		.amdhsa_user_sgpr_kernarg_preload_length 0
		.amdhsa_user_sgpr_kernarg_preload_offset 0
		.amdhsa_user_sgpr_private_segment_size 0
		.amdhsa_uses_dynamic_stack 0
		.amdhsa_system_sgpr_private_segment_wavefront_offset 0
		.amdhsa_system_sgpr_workgroup_id_x 1
		.amdhsa_system_sgpr_workgroup_id_y 0
		.amdhsa_system_sgpr_workgroup_id_z 0
		.amdhsa_system_sgpr_workgroup_info 0
		.amdhsa_system_vgpr_workitem_id 0
		.amdhsa_next_free_vgpr 25
		.amdhsa_next_free_sgpr 62
		.amdhsa_accum_offset 28
		.amdhsa_reserve_vcc 1
		.amdhsa_reserve_flat_scratch 0
		.amdhsa_float_round_mode_32 0
		.amdhsa_float_round_mode_16_64 0
		.amdhsa_float_denorm_mode_32 3
		.amdhsa_float_denorm_mode_16_64 3
		.amdhsa_dx10_clamp 1
		.amdhsa_ieee_mode 1
		.amdhsa_fp16_overflow 0
		.amdhsa_tg_split 0
		.amdhsa_exception_fp_ieee_invalid_op 0
		.amdhsa_exception_fp_denorm_src 0
		.amdhsa_exception_fp_ieee_div_zero 0
		.amdhsa_exception_fp_ieee_overflow 0
		.amdhsa_exception_fp_ieee_underflow 0
		.amdhsa_exception_fp_ieee_inexact 0
		.amdhsa_exception_int_div_zero 0
	.end_amdhsa_kernel
	.section	.text._ZN9rocsparseL22csrmvn_adaptive_kernelIli18rocsparse_bfloat16S1_ffEEvbT_PKS2_PjPKT0_NS_24const_host_device_scalarIT4_EES4_S8_PKT1_PKT2_SB_PT3_21rocsparse_index_base_b,"axG",@progbits,_ZN9rocsparseL22csrmvn_adaptive_kernelIli18rocsparse_bfloat16S1_ffEEvbT_PKS2_PjPKT0_NS_24const_host_device_scalarIT4_EES4_S8_PKT1_PKT2_SB_PT3_21rocsparse_index_base_b,comdat
.Lfunc_end76:
	.size	_ZN9rocsparseL22csrmvn_adaptive_kernelIli18rocsparse_bfloat16S1_ffEEvbT_PKS2_PjPKT0_NS_24const_host_device_scalarIT4_EES4_S8_PKT1_PKT2_SB_PT3_21rocsparse_index_base_b, .Lfunc_end76-_ZN9rocsparseL22csrmvn_adaptive_kernelIli18rocsparse_bfloat16S1_ffEEvbT_PKS2_PjPKT0_NS_24const_host_device_scalarIT4_EES4_S8_PKT1_PKT2_SB_PT3_21rocsparse_index_base_b
                                        ; -- End function
	.section	.AMDGPU.csdata,"",@progbits
; Kernel info:
; codeLenInByte = 4544
; NumSgprs: 66
; NumVgprs: 25
; NumAgprs: 0
; TotalNumVgprs: 25
; ScratchSize: 0
; MemoryBound: 0
; FloatMode: 240
; IeeeMode: 1
; LDSByteSize: 4096 bytes/workgroup (compile time only)
; SGPRBlocks: 8
; VGPRBlocks: 3
; NumSGPRsForWavesPerEU: 66
; NumVGPRsForWavesPerEU: 25
; AccumOffset: 28
; Occupancy: 8
; WaveLimiterHint : 1
; COMPUTE_PGM_RSRC2:SCRATCH_EN: 0
; COMPUTE_PGM_RSRC2:USER_SGPR: 6
; COMPUTE_PGM_RSRC2:TRAP_HANDLER: 0
; COMPUTE_PGM_RSRC2:TGID_X_EN: 1
; COMPUTE_PGM_RSRC2:TGID_Y_EN: 0
; COMPUTE_PGM_RSRC2:TGID_Z_EN: 0
; COMPUTE_PGM_RSRC2:TIDIG_COMP_CNT: 0
; COMPUTE_PGM_RSRC3_GFX90A:ACCUM_OFFSET: 6
; COMPUTE_PGM_RSRC3_GFX90A:TG_SPLIT: 0
	.section	.text._ZN9rocsparseL27csrmvn_symm_adaptive_kernelIli18rocsparse_bfloat16S1_ffEEvbT_S2_PKS2_NS_24const_host_device_scalarIT4_EES4_PKT0_PKT1_PKT2_S7_PT3_21rocsparse_index_base_b,"axG",@progbits,_ZN9rocsparseL27csrmvn_symm_adaptive_kernelIli18rocsparse_bfloat16S1_ffEEvbT_S2_PKS2_NS_24const_host_device_scalarIT4_EES4_PKT0_PKT1_PKT2_S7_PT3_21rocsparse_index_base_b,comdat
	.globl	_ZN9rocsparseL27csrmvn_symm_adaptive_kernelIli18rocsparse_bfloat16S1_ffEEvbT_S2_PKS2_NS_24const_host_device_scalarIT4_EES4_PKT0_PKT1_PKT2_S7_PT3_21rocsparse_index_base_b ; -- Begin function _ZN9rocsparseL27csrmvn_symm_adaptive_kernelIli18rocsparse_bfloat16S1_ffEEvbT_S2_PKS2_NS_24const_host_device_scalarIT4_EES4_PKT0_PKT1_PKT2_S7_PT3_21rocsparse_index_base_b
	.p2align	8
	.type	_ZN9rocsparseL27csrmvn_symm_adaptive_kernelIli18rocsparse_bfloat16S1_ffEEvbT_S2_PKS2_NS_24const_host_device_scalarIT4_EES4_PKT0_PKT1_PKT2_S7_PT3_21rocsparse_index_base_b,@function
_ZN9rocsparseL27csrmvn_symm_adaptive_kernelIli18rocsparse_bfloat16S1_ffEEvbT_S2_PKS2_NS_24const_host_device_scalarIT4_EES4_PKT0_PKT1_PKT2_S7_PT3_21rocsparse_index_base_b: ; @_ZN9rocsparseL27csrmvn_symm_adaptive_kernelIli18rocsparse_bfloat16S1_ffEEvbT_S2_PKS2_NS_24const_host_device_scalarIT4_EES4_PKT0_PKT1_PKT2_S7_PT3_21rocsparse_index_base_b
; %bb.0:
	s_load_dwordx2 s[30:31], s[4:5], 0x58
	s_load_dwordx2 s[36:37], s[4:5], 0x20
	;; [unrolled: 1-line block ×3, first 2 shown]
	s_waitcnt lgkmcnt(0)
	s_bitcmp1_b32 s31, 0
	s_cselect_b64 s[8:9], -1, 0
	s_xor_b64 s[2:3], s[8:9], -1
	s_and_b64 vcc, exec, s[8:9]
	s_cbranch_vccnz .LBB77_2
; %bb.1:
	s_load_dword s36, s[36:37], 0x0
.LBB77_2:
	s_andn2_b64 vcc, exec, s[2:3]
	s_cbranch_vccnz .LBB77_4
; %bb.3:
	s_load_dword s0, s[0:1], 0x0
.LBB77_4:
	s_waitcnt lgkmcnt(0)
	v_cmp_neq_f32_e64 s[2:3], s36, 0
	v_cmp_neq_f32_e64 s[0:1], s0, 1.0
	s_or_b64 s[0:1], s[2:3], s[0:1]
	s_andn2_b64 vcc, exec, s[0:1]
	s_cbranch_vccnz .LBB77_176
; %bb.5:
	s_load_dwordx2 s[0:1], s[4:5], 0x18
	s_ashr_i32 s7, s6, 31
	s_lshl_b64 s[2:3], s[6:7], 3
	v_lshlrev_b32_e32 v18, 2, v0
	v_mov_b32_e32 v1, 0
	s_waitcnt lgkmcnt(0)
	s_add_u32 s0, s0, s2
	s_addc_u32 s1, s1, s3
	ds_write2st64_b32 v18, v1, v1 offset1:4
	ds_write2st64_b32 v18, v1, v1 offset0:8 offset1:12
	s_waitcnt lgkmcnt(0)
	s_barrier
	s_load_dwordx4 s[24:27], s[0:1], 0x0
	s_load_dwordx8 s[16:23], s[4:5], 0x28
	s_load_dwordx2 s[14:15], s[4:5], 0x50
	s_mov_b64 s[0:1], -1
	s_waitcnt lgkmcnt(0)
	s_sub_u32 s28, s26, s24
	s_subb_u32 s29, s27, s25
	v_cmp_gt_i64_e64 s[2:3], s[28:29], 2
	s_and_b64 vcc, exec, s[2:3]
	s_cbranch_vccnz .LBB77_40
; %bb.6:
	v_pk_mov_b32 v[2:3], s[24:25], s[24:25] op_sel:[0,1]
	v_cmp_gt_i64_e32 vcc, s[26:27], v[2:3]
	v_subrev_co_u32_e64 v1, s[0:1], s30, v0
	s_mov_b32 s31, 0
	v_subb_co_u32_e64 v10, s[0:1], 0, 0, s[0:1]
	s_cbranch_vccnz .LBB77_8
; %bb.7:
	s_lshl_b64 s[0:1], s[24:25], 3
	s_add_u32 s0, s16, s0
	s_addc_u32 s1, s17, s1
	s_load_dwordx2 s[34:35], s[0:1], 0x0
	s_cbranch_execz .LBB77_9
	s_branch .LBB77_29
.LBB77_8:
                                        ; implicit-def: $sgpr34_sgpr35
.LBB77_9:
	s_lshl_b64 s[12:13], s[24:25], 3
	s_add_u32 s12, s16, s12
	s_addc_u32 s13, s17, s13
	s_waitcnt lgkmcnt(0)
	s_load_dwordx2 s[34:35], s[12:13], 0x0
	s_movk_i32 s33, 0x100
	s_add_u32 s37, s16, 8
	v_cmp_gt_u32_e64 s[0:1], s33, v0
	v_cmp_gt_u32_e64 s[2:3], 64, v0
	;; [unrolled: 1-line block ×4, first 2 shown]
	v_cmp_eq_u32_e64 s[10:11], 0, v0
	s_addc_u32 s48, s17, 0
	v_mov_b32_e32 v11, s23
	v_mov_b32_e32 v12, 0
	v_pk_mov_b32 v[2:3], s[26:27], s[26:27] op_sel:[0,1]
	s_waitcnt lgkmcnt(0)
	s_mov_b64 s[40:41], s[34:35]
	s_mov_b64 s[38:39], s[24:25]
	s_branch .LBB77_11
.LBB77_10:                              ;   in Loop: Header=BB77_11 Depth=1
	s_or_b64 exec, exec, s[12:13]
	s_add_u32 s38, s38, 1
	s_addc_u32 s39, s39, 0
	v_cmp_ge_i64_e32 vcc, s[38:39], v[2:3]
	s_cbranch_vccnz .LBB77_29
.LBB77_11:                              ; =>This Loop Header: Depth=1
                                        ;     Child Loop BB77_13 Depth 2
                                        ;     Child Loop BB77_28 Depth 2
	s_mov_b64 s[12:13], s[40:41]
	s_lshl_b64 s[40:41], s[38:39], 3
	s_add_u32 s40, s37, s40
	s_addc_u32 s41, s48, s41
	s_load_dwordx2 s[40:41], s[40:41], 0x0
	v_mov_b32_e32 v5, s13
	v_add_co_u32_e32 v4, vcc, s12, v1
	v_addc_co_u32_e32 v5, vcc, v5, v10, vcc
	s_waitcnt lgkmcnt(0)
	s_sub_u32 s42, s40, s30
	s_subb_u32 s43, s41, 0
	v_cmp_gt_i64_e32 vcc, s[42:43], v[4:5]
	v_mov_b32_e32 v13, 0
	s_and_saveexec_b64 s[44:45], vcc
	s_cbranch_execz .LBB77_15
; %bb.12:                               ;   in Loop: Header=BB77_11 Depth=1
	v_lshlrev_b64 v[6:7], 2, v[4:5]
	v_mov_b32_e32 v8, s19
	v_add_co_u32_e32 v6, vcc, s18, v6
	v_addc_co_u32_e32 v7, vcc, v8, v7, vcc
	v_lshlrev_b64 v[8:9], 1, v[4:5]
	v_mov_b32_e32 v13, s21
	v_add_co_u32_e32 v8, vcc, s20, v8
	v_addc_co_u32_e32 v9, vcc, v13, v9, vcc
	s_mov_b64 s[46:47], 0
	v_mov_b32_e32 v13, 0
.LBB77_13:                              ;   Parent Loop BB77_11 Depth=1
                                        ; =>  This Inner Loop Header: Depth=2
	global_load_dword v14, v[6:7], off
	global_load_ushort v16, v[8:9], off
	s_waitcnt vmcnt(1)
	v_subrev_u32_e32 v14, s30, v14
	v_ashrrev_i32_e32 v15, 31, v14
	v_lshlrev_b64 v[14:15], 1, v[14:15]
	v_add_co_u32_e32 v14, vcc, s22, v14
	v_addc_co_u32_e32 v15, vcc, v11, v15, vcc
	global_load_ushort v14, v[14:15], off
	v_add_co_u32_e32 v4, vcc, s33, v4
	v_addc_co_u32_e32 v5, vcc, 0, v5, vcc
	v_add_co_u32_e32 v6, vcc, 0x400, v6
	v_addc_co_u32_e32 v7, vcc, 0, v7, vcc
	v_add_co_u32_e32 v8, vcc, 0x200, v8
	v_cmp_le_i64_e64 s[12:13], s[42:43], v[4:5]
	s_waitcnt vmcnt(1)
	v_lshlrev_b32_e32 v15, 16, v16
	v_addc_co_u32_e32 v9, vcc, 0, v9, vcc
	s_or_b64 s[46:47], s[12:13], s[46:47]
	s_waitcnt vmcnt(0)
	v_lshlrev_b32_e32 v14, 16, v14
	v_fmac_f32_e32 v13, v15, v14
	s_andn2_b64 exec, exec, s[46:47]
	s_cbranch_execnz .LBB77_13
; %bb.14:                               ;   in Loop: Header=BB77_11 Depth=1
	s_or_b64 exec, exec, s[46:47]
.LBB77_15:                              ;   in Loop: Header=BB77_11 Depth=1
	s_or_b64 exec, exec, s[44:45]
	ds_write_b32 v18, v13
	s_waitcnt lgkmcnt(0)
	s_barrier
	s_and_saveexec_b64 s[12:13], s[0:1]
	s_cbranch_execz .LBB77_17
; %bb.16:                               ;   in Loop: Header=BB77_11 Depth=1
	ds_read2st64_b32 v[4:5], v18 offset1:4
	ds_read2st64_b32 v[6:7], v18 offset0:8 offset1:12
	s_waitcnt lgkmcnt(0)
	v_add_f32_e32 v5, v5, v6
	v_add_f32_e32 v5, v5, v7
	;; [unrolled: 1-line block ×3, first 2 shown]
	ds_write_b32 v18, v4
.LBB77_17:                              ;   in Loop: Header=BB77_11 Depth=1
	s_or_b64 exec, exec, s[12:13]
	s_waitcnt lgkmcnt(0)
	s_barrier
	s_and_saveexec_b64 s[12:13], s[2:3]
	s_cbranch_execz .LBB77_19
; %bb.18:                               ;   in Loop: Header=BB77_11 Depth=1
	ds_read2st64_b32 v[4:5], v18 offset1:1
	ds_read2st64_b32 v[6:7], v18 offset0:2 offset1:3
	s_waitcnt lgkmcnt(0)
	v_add_f32_e32 v5, v5, v6
	v_add_f32_e32 v5, v5, v7
	;; [unrolled: 1-line block ×3, first 2 shown]
	ds_write_b32 v18, v4
.LBB77_19:                              ;   in Loop: Header=BB77_11 Depth=1
	s_or_b64 exec, exec, s[12:13]
	s_waitcnt lgkmcnt(0)
	s_barrier
	s_and_saveexec_b64 s[12:13], s[6:7]
	s_cbranch_execz .LBB77_21
; %bb.20:                               ;   in Loop: Header=BB77_11 Depth=1
	ds_read2_b32 v[4:5], v18 offset1:16
	ds_read2_b32 v[6:7], v18 offset0:32 offset1:48
	s_waitcnt lgkmcnt(0)
	v_add_f32_e32 v5, v5, v6
	v_add_f32_e32 v5, v5, v7
	;; [unrolled: 1-line block ×3, first 2 shown]
	ds_write_b32 v18, v4
.LBB77_21:                              ;   in Loop: Header=BB77_11 Depth=1
	s_or_b64 exec, exec, s[12:13]
	s_waitcnt lgkmcnt(0)
	s_barrier
	s_and_saveexec_b64 s[12:13], s[8:9]
	s_cbranch_execz .LBB77_23
; %bb.22:                               ;   in Loop: Header=BB77_11 Depth=1
	ds_read2_b32 v[4:5], v18 offset1:4
	ds_read2_b32 v[6:7], v18 offset0:8 offset1:12
	s_waitcnt lgkmcnt(0)
	v_add_f32_e32 v5, v5, v6
	v_add_f32_e32 v5, v5, v7
	;; [unrolled: 1-line block ×3, first 2 shown]
	ds_write_b32 v18, v4
.LBB77_23:                              ;   in Loop: Header=BB77_11 Depth=1
	s_or_b64 exec, exec, s[12:13]
	s_waitcnt lgkmcnt(0)
	s_barrier
	s_and_saveexec_b64 s[12:13], s[10:11]
	s_cbranch_execz .LBB77_25
; %bb.24:                               ;   in Loop: Header=BB77_11 Depth=1
	ds_read2_b32 v[4:5], v12 offset0:1 offset1:2
	ds_read_b32 v6, v12 offset:12
	ds_read_b32 v7, v18
	s_waitcnt lgkmcnt(2)
	v_add_f32_e32 v4, v4, v5
	s_waitcnt lgkmcnt(1)
	v_add_f32_e32 v4, v4, v6
	s_waitcnt lgkmcnt(0)
	v_add_f32_e32 v4, v7, v4
	ds_write_b32 v18, v4
.LBB77_25:                              ;   in Loop: Header=BB77_11 Depth=1
	s_or_b64 exec, exec, s[12:13]
	s_waitcnt lgkmcnt(0)
	s_barrier
	s_and_saveexec_b64 s[12:13], s[10:11]
	s_cbranch_execz .LBB77_10
; %bb.26:                               ;   in Loop: Header=BB77_11 Depth=1
	s_mov_b64 s[44:45], exec
	v_mbcnt_lo_u32_b32 v4, s44, 0
	v_mbcnt_hi_u32_b32 v4, s45, v4
	v_cmp_eq_u32_e32 vcc, 0, v4
	s_and_b64 s[42:43], exec, vcc
	s_mov_b64 exec, s[42:43]
	s_cbranch_execz .LBB77_10
; %bb.27:                               ;   in Loop: Header=BB77_11 Depth=1
	s_lshl_b64 s[42:43], s[38:39], 2
	s_add_u32 s42, s14, s42
	s_addc_u32 s43, s15, s43
	global_load_dword v5, v12, s[42:43]
	ds_read_b32 v4, v12
	s_bcnt1_i32_b64 s44, s[44:45]
	v_cvt_f32_ubyte0_e32 v6, s44
	s_mov_b64 s[44:45], 0
	s_waitcnt lgkmcnt(0)
	v_mul_f32_e32 v4, s36, v4
	v_mul_f32_e32 v6, v4, v6
.LBB77_28:                              ;   Parent Loop BB77_11 Depth=1
                                        ; =>  This Inner Loop Header: Depth=2
	s_waitcnt vmcnt(0)
	v_add_f32_e32 v4, v5, v6
	global_atomic_cmpswap v4, v12, v[4:5], s[42:43] glc
	s_waitcnt vmcnt(0)
	v_cmp_eq_u32_e32 vcc, v4, v5
	s_or_b64 s[44:45], vcc, s[44:45]
	v_mov_b32_e32 v5, v4
	s_andn2_b64 exec, exec, s[44:45]
	s_cbranch_execnz .LBB77_28
	s_branch .LBB77_10
.LBB77_29:
	s_lshl_b64 s[0:1], s[26:27], 3
	s_add_u32 s0, s16, s0
	s_addc_u32 s1, s17, s1
	s_load_dwordx2 s[0:1], s[0:1], 0x0
	s_waitcnt lgkmcnt(0)
	v_mov_b32_e32 v3, s35
	v_add_co_u32_e32 v2, vcc, s34, v1
	v_addc_co_u32_e32 v3, vcc, v3, v10, vcc
	s_sub_u32 s6, s0, s30
	s_subb_u32 s7, s1, 0
	v_cmp_gt_i64_e32 vcc, s[6:7], v[2:3]
	s_and_saveexec_b64 s[8:9], vcc
	s_cbranch_execz .LBB77_39
; %bb.30:
	s_add_u32 s10, s26, -1
	s_addc_u32 s11, s27, -1
	s_add_u32 s0, s26, -2
	s_addc_u32 s1, s27, -1
	v_pk_mov_b32 v[4:5], s[24:25], s[24:25] op_sel:[0,1]
	s_cmp_lg_u64 s[0:1], s[24:25]
	v_cmp_gt_i64_e32 vcc, s[10:11], v[4:5]
	s_cselect_b64 s[0:1], -1, 0
	s_and_b64 s[0:1], vcc, s[0:1]
	v_cndmask_b32_e64 v1, 0, 1, s[0:1]
	s_mov_b64 s[12:13], 0
	v_cmp_ne_u32_e64 s[0:1], 1, v1
	v_mov_b32_e32 v1, s17
	v_mov_b32_e32 v10, s31
	;; [unrolled: 1-line block ×3, first 2 shown]
	s_branch .LBB77_32
.LBB77_31:                              ;   in Loop: Header=BB77_32 Depth=1
	s_or_b64 exec, exec, s[2:3]
	v_add_co_u32_e32 v2, vcc, 0x100, v2
	v_addc_co_u32_e32 v3, vcc, 0, v3, vcc
	v_cmp_le_i64_e32 vcc, s[6:7], v[2:3]
	s_or_b64 s[12:13], vcc, s[12:13]
	s_andn2_b64 exec, exec, s[12:13]
	s_cbranch_execz .LBB77_39
.LBB77_32:                              ; =>This Loop Header: Depth=1
                                        ;     Child Loop BB77_34 Depth 2
                                        ;     Child Loop BB77_38 Depth 2
	s_and_b64 vcc, exec, s[0:1]
	v_pk_mov_b32 v[4:5], s[24:25], s[24:25] op_sel:[0,1]
	v_pk_mov_b32 v[6:7], s[10:11], s[10:11] op_sel:[0,1]
	s_cbranch_vccnz .LBB77_36
; %bb.33:                               ;   in Loop: Header=BB77_32 Depth=1
	s_mov_b64 s[34:35], 0
	v_pk_mov_b32 v[4:5], s[24:25], s[24:25] op_sel:[0,1]
	v_pk_mov_b32 v[6:7], s[10:11], s[10:11] op_sel:[0,1]
.LBB77_34:                              ;   Parent Loop BB77_32 Depth=1
                                        ; =>  This Inner Loop Header: Depth=2
	v_add_co_u32_e32 v8, vcc, v6, v4
	v_addc_co_u32_e32 v9, vcc, v7, v5, vcc
	v_lshrrev_b32_e32 v12, 31, v9
	v_add_co_u32_e32 v8, vcc, v8, v12
	v_addc_co_u32_e32 v9, vcc, 0, v9, vcc
	v_ashrrev_i64 v[8:9], 1, v[8:9]
	v_lshlrev_b64 v[12:13], 3, v[8:9]
	v_mov_b32_e32 v14, s17
	v_add_co_u32_e32 v12, vcc, s16, v12
	v_addc_co_u32_e32 v13, vcc, v14, v13, vcc
	global_load_dwordx2 v[12:13], v[12:13], off
	v_mov_b32_e32 v14, s31
	s_waitcnt vmcnt(0)
	v_subrev_co_u32_e32 v12, vcc, s30, v12
	v_subb_co_u32_e32 v13, vcc, v13, v14, vcc
	v_cmp_gt_i64_e32 vcc, v[12:13], v[2:3]
	v_cndmask_b32_e32 v6, v6, v8, vcc
	v_cndmask_b32_e32 v7, v7, v9, vcc
	;; [unrolled: 1-line block ×3, first 2 shown]
	v_add_co_u32_e64 v8, s[2:3], -1, v6
	v_cndmask_b32_e32 v5, v9, v5, vcc
	v_addc_co_u32_e64 v9, s[2:3], -1, v7, s[2:3]
	v_cmp_ge_i64_e32 vcc, v[4:5], v[6:7]
	v_cmp_eq_u64_e64 s[2:3], v[4:5], v[8:9]
	s_or_b64 s[2:3], vcc, s[2:3]
	s_and_b64 s[2:3], exec, s[2:3]
	s_or_b64 s[34:35], s[2:3], s[34:35]
	s_andn2_b64 exec, exec, s[34:35]
	s_cbranch_execnz .LBB77_34
; %bb.35:                               ;   in Loop: Header=BB77_32 Depth=1
	s_or_b64 exec, exec, s[34:35]
.LBB77_36:                              ;   in Loop: Header=BB77_32 Depth=1
	v_lshlrev_b64 v[8:9], 3, v[6:7]
	v_add_co_u32_e32 v8, vcc, s16, v8
	v_addc_co_u32_e32 v9, vcc, v1, v9, vcc
	v_lshlrev_b64 v[12:13], 2, v[2:3]
	global_load_dwordx2 v[8:9], v[8:9], off
	v_add_co_u32_e32 v12, vcc, s18, v12
	v_addc_co_u32_e32 v13, vcc, v11, v13, vcc
	global_load_dword v14, v[12:13], off
	s_waitcnt vmcnt(1)
	v_subrev_co_u32_e32 v12, vcc, s30, v8
	v_subb_co_u32_e32 v13, vcc, v9, v10, vcc
	v_cmp_gt_i64_e32 vcc, v[12:13], v[2:3]
	s_waitcnt vmcnt(0)
	v_subrev_u32_e32 v8, s30, v14
	v_cndmask_b32_e32 v5, v7, v5, vcc
	v_cndmask_b32_e32 v4, v6, v4, vcc
	v_ashrrev_i32_e32 v9, 31, v8
	v_cmp_ne_u64_e32 vcc, v[4:5], v[8:9]
	s_and_saveexec_b64 s[2:3], vcc
	s_cbranch_execz .LBB77_31
; %bb.37:                               ;   in Loop: Header=BB77_32 Depth=1
	v_lshlrev_b64 v[6:7], 2, v[8:9]
	v_lshlrev_b64 v[8:9], 1, v[2:3]
	v_mov_b32_e32 v13, s21
	v_add_co_u32_e32 v8, vcc, s20, v8
	v_addc_co_u32_e32 v9, vcc, v13, v9, vcc
	v_lshlrev_b64 v[4:5], 1, v[4:5]
	global_load_ushort v8, v[8:9], off
	v_mov_b32_e32 v9, s23
	v_add_co_u32_e32 v4, vcc, s22, v4
	v_addc_co_u32_e32 v5, vcc, v9, v5, vcc
	v_mov_b32_e32 v12, s15
	global_load_ushort v9, v[4:5], off
	v_add_co_u32_e32 v4, vcc, s14, v6
	v_addc_co_u32_e32 v5, vcc, v12, v7, vcc
	global_load_dword v7, v[4:5], off
	s_mov_b64 s[34:35], 0
	s_waitcnt vmcnt(2)
	v_lshlrev_b32_e32 v6, 16, v8
	v_mul_f32_e32 v6, s36, v6
	s_waitcnt vmcnt(1)
	v_lshlrev_b32_e32 v8, 16, v9
	v_mul_f32_e32 v8, v6, v8
.LBB77_38:                              ;   Parent Loop BB77_32 Depth=1
                                        ; =>  This Inner Loop Header: Depth=2
	s_waitcnt vmcnt(0)
	v_add_f32_e32 v6, v7, v8
	global_atomic_cmpswap v6, v[4:5], v[6:7], off glc
	s_waitcnt vmcnt(0)
	v_cmp_eq_u32_e32 vcc, v6, v7
	s_or_b64 s[34:35], vcc, s[34:35]
	v_mov_b32_e32 v7, v6
	s_andn2_b64 exec, exec, s[34:35]
	s_cbranch_execnz .LBB77_38
	s_branch .LBB77_31
.LBB77_39:
	s_or_b64 exec, exec, s[8:9]
	s_mov_b64 s[0:1], 0
.LBB77_40:
	s_and_b64 vcc, exec, s[0:1]
	s_cbranch_vccz .LBB77_176
; %bb.41:
	s_load_dword s0, s[4:5], 0x6c
	s_mov_b32 s31, 0
	v_pk_mov_b32 v[2:3], s[28:29], s[28:29] op_sel:[0,1]
	s_mov_b32 s13, s31
	s_mov_b64 s[34:35], 0
	s_waitcnt lgkmcnt(0)
	s_and_b32 s12, s0, 0xffff
	v_cmp_lt_u64_e32 vcc, s[12:13], v[2:3]
	s_cbranch_vccnz .LBB77_43
; %bb.42:
	v_cvt_f32_u32_e32 v1, s28
	s_sub_i32 s0, 0, s28
	v_rcp_iflag_f32_e32 v1, v1
	v_mul_f32_e32 v1, 0x4f7ffffe, v1
	v_cvt_u32_f32_e32 v1, v1
	v_readfirstlane_b32 s1, v1
	s_mul_i32 s0, s0, s1
	s_mul_hi_u32 s0, s1, s0
	s_add_i32 s1, s1, s0
	s_mul_hi_u32 s0, s12, s1
	s_mul_i32 s2, s0, s28
	s_sub_i32 s2, s12, s2
	s_add_i32 s1, s0, 1
	s_sub_i32 s3, s2, s28
	s_cmp_ge_u32 s2, s28
	s_cselect_b32 s0, s1, s0
	s_cselect_b32 s2, s3, s2
	s_add_i32 s1, s0, 1
	s_cmp_ge_u32 s2, s28
	s_cselect_b32 s34, s1, s0
.LBB77_43:
	s_lshl_b64 s[0:1], s[24:25], 3
	s_add_u32 s10, s16, s0
	s_addc_u32 s11, s17, s1
	s_load_dwordx2 s[8:9], s[10:11], 0x0
	v_subrev_co_u32_e32 v2, vcc, s30, v0
	s_load_dwordx4 s[4:7], s[4:5], 0x8
	v_subb_co_u32_e64 v3, s[0:1], 0, 0, vcc
	s_waitcnt lgkmcnt(0)
	v_mov_b32_e32 v4, s9
	v_add_co_u32_e32 v8, vcc, s8, v2
	v_addc_co_u32_e32 v9, vcc, v4, v3, vcc
	v_add_co_u32_e32 v6, vcc, 0x300, v8
	v_addc_co_u32_e32 v7, vcc, 0, v9, vcc
	v_mov_b32_e32 v1, 0
	v_cmp_le_i64_e64 s[0:1], s[4:5], v[6:7]
	s_and_saveexec_b64 s[2:3], s[0:1]
	s_xor_b64 s[4:5], exec, s[2:3]
	s_cbranch_execnz .LBB77_46
; %bb.44:
	s_andn2_saveexec_b64 s[2:3], s[4:5]
	s_cbranch_execnz .LBB77_57
.LBB77_45:
	s_or_b64 exec, exec, s[2:3]
	v_cmp_gt_i64_e32 vcc, s[6:7], v[0:1]
	s_and_saveexec_b64 s[4:5], vcc
	s_cbranch_execnz .LBB77_58
	s_branch .LBB77_65
.LBB77_46:
	s_lshl_b64 s[2:3], s[26:27], 3
	s_add_u32 s2, s16, s2
	s_addc_u32 s3, s17, s3
	s_load_dwordx2 s[2:3], s[2:3], 0x0
	s_waitcnt lgkmcnt(0)
	s_sub_u32 s38, s2, s8
	s_subb_u32 s39, s3, s9
	v_cmp_gt_i64_e32 vcc, s[38:39], v[0:1]
	s_and_saveexec_b64 s[40:41], vcc
	s_cbranch_execz .LBB77_56
; %bb.47:
	s_not_b64 s[42:43], s[8:9]
	s_add_u32 s2, s2, s42
	s_addc_u32 s3, s3, s43
	v_mov_b32_e32 v2, s3
	v_sub_co_u32_e32 v4, vcc, s2, v0
	v_subbrev_co_u32_e32 v5, vcc, 0, v2, vcc
	s_mov_b64 s[2:3], 0xff
	v_cmp_lt_u64_e32 vcc, s[2:3], v[4:5]
	s_mov_b64 s[2:3], 0
                                        ; implicit-def: $vgpr12_vgpr13
                                        ; implicit-def: $vgpr2_vgpr3
	s_and_saveexec_b64 s[42:43], vcc
	s_xor_b64 s[42:43], exec, s[42:43]
	s_cbranch_execnz .LBB77_50
; %bb.48:
	s_andn2_saveexec_b64 s[42:43], s[42:43]
	s_cbranch_execnz .LBB77_53
.LBB77_49:
	s_or_b64 exec, exec, s[42:43]
	s_and_b64 exec, exec, s[2:3]
	s_cbranch_execnz .LBB77_54
	s_branch .LBB77_56
.LBB77_50:
	v_lshrrev_b64 v[2:3], 8, v[4:5]
	v_add_co_u32_e32 v4, vcc, 1, v2
	v_addc_co_u32_e32 v5, vcc, 0, v3, vcc
	v_lshlrev_b64 v[2:3], 1, v[8:9]
	v_mov_b32_e32 v14, s21
	v_add_co_u32_e32 v15, vcc, s20, v2
	v_addc_co_u32_e32 v16, vcc, v3, v14, vcc
	s_movk_i32 s2, 0x200
	v_and_b32_e32 v10, -2, v4
	v_mov_b32_e32 v11, v5
	v_add_co_u32_e32 v14, vcc, s2, v15
	s_mov_b32 s37, s36
	v_mov_b32_e32 v12, v0
	v_mov_b32_e32 v13, v0
	v_addc_co_u32_e32 v15, vcc, 0, v16, vcc
	s_mov_b64 s[46:47], 0x100
	s_mov_b64 s[44:45], 0
	v_pk_mov_b32 v[16:17], v[10:11], v[10:11] op_sel:[0,1]
	s_mov_b64 s[48:49], 0
.LBB77_51:                              ; =>This Inner Loop Header: Depth=1
	global_load_ushort v19, v[14:15], off
	global_load_ushort v20, v[14:15], off offset:-512
	v_add_lshl_u32 v22, v12, s48, 2
	s_add_u32 s48, s48, 0x200
	v_add_co_u32_e32 v14, vcc, 0x400, v14
	v_add_co_u32_e64 v16, s[2:3], -2, v16
	s_addc_u32 s49, s49, 0
	v_add_lshl_u32 v23, v13, s46, 2
	v_addc_co_u32_e64 v17, s[2:3], -1, v17, s[2:3]
	v_addc_co_u32_e32 v15, vcc, 0, v15, vcc
	s_add_u32 s46, s46, 0x200
	v_cmp_eq_u64_e32 vcc, 0, v[16:17]
	s_addc_u32 s47, s47, 0
	s_or_b64 s[44:45], vcc, s[44:45]
	s_waitcnt vmcnt(1)
	v_lshlrev_b32_e32 v21, 16, v19
	s_waitcnt vmcnt(0)
	v_lshlrev_b32_e32 v20, 16, v20
	v_pk_mul_f32 v[20:21], s[36:37], v[20:21]
	ds_write_b32 v22, v20
	ds_write_b32 v23, v21
	s_andn2_b64 exec, exec, s[44:45]
	s_cbranch_execnz .LBB77_51
; %bb.52:
	s_or_b64 exec, exec, s[44:45]
	v_cmp_ne_u64_e32 vcc, v[4:5], v[10:11]
	v_lshlrev_b64 v[12:13], 8, v[10:11]
	s_and_b64 s[2:3], vcc, exec
	s_andn2_saveexec_b64 s[42:43], s[42:43]
	s_cbranch_execz .LBB77_49
.LBB77_53:
	v_lshlrev_b64 v[2:3], 1, v[8:9]
	v_pk_mov_b32 v[12:13], 0, 0
	s_or_b64 s[2:3], s[2:3], exec
	s_or_b64 exec, exec, s[42:43]
	s_and_b64 exec, exec, s[2:3]
	s_cbranch_execz .LBB77_56
.LBB77_54:
	v_lshlrev_b64 v[4:5], 1, v[12:13]
	v_add_co_u32_e32 v2, vcc, v4, v2
	v_addc_co_u32_e32 v3, vcc, v5, v3, vcc
	v_mov_b32_e32 v4, s21
	v_add_co_u32_e32 v2, vcc, s20, v2
	v_addc_co_u32_e32 v3, vcc, v4, v3, vcc
	v_add_co_u32_e32 v4, vcc, v12, v0
	v_lshlrev_b32_e32 v10, 2, v12
	v_addc_co_u32_e32 v5, vcc, 0, v13, vcc
	v_lshl_add_u32 v10, v0, 2, v10
	s_mov_b64 s[2:3], 0
.LBB77_55:                              ; =>This Inner Loop Header: Depth=1
	global_load_ushort v11, v[2:3], off
	v_add_co_u32_e32 v2, vcc, 0x200, v2
	v_addc_co_u32_e32 v3, vcc, 0, v3, vcc
	v_add_co_u32_e32 v4, vcc, 0x100, v4
	v_addc_co_u32_e32 v5, vcc, 0, v5, vcc
	v_cmp_le_i64_e32 vcc, s[38:39], v[4:5]
	s_or_b64 s[2:3], vcc, s[2:3]
	s_waitcnt vmcnt(0)
	v_lshlrev_b32_e32 v11, 16, v11
	v_mul_f32_e32 v11, s36, v11
	ds_write_b32 v10, v11
	v_add_u32_e32 v10, 0x400, v10
	s_andn2_b64 exec, exec, s[2:3]
	s_cbranch_execnz .LBB77_55
.LBB77_56:
	s_or_b64 exec, exec, s[40:41]
	s_andn2_saveexec_b64 s[2:3], s[4:5]
	s_cbranch_execz .LBB77_45
.LBB77_57:
	v_lshlrev_b64 v[2:3], 1, v[8:9]
	v_mov_b32_e32 v4, s21
	v_add_co_u32_e32 v2, vcc, s20, v2
	v_addc_co_u32_e32 v3, vcc, v4, v3, vcc
	global_load_ushort v4, v[2:3], off
	global_load_ushort v5, v[2:3], off offset:512
	global_load_ushort v10, v[2:3], off offset:1024
	;; [unrolled: 1-line block ×3, first 2 shown]
	s_waitcnt vmcnt(3)
	v_lshlrev_b32_e32 v2, 16, v4
	s_waitcnt vmcnt(2)
	v_lshlrev_b32_e32 v3, 16, v5
	;; [unrolled: 2-line block ×4, first 2 shown]
	v_mul_f32_e32 v2, s36, v2
	v_mul_f32_e32 v3, s36, v3
	;; [unrolled: 1-line block ×4, first 2 shown]
	ds_write2st64_b32 v18, v2, v3 offset1:4
	ds_write2st64_b32 v18, v4, v5 offset0:8 offset1:12
	s_or_b64 exec, exec, s[2:3]
	v_cmp_gt_i64_e32 vcc, s[6:7], v[0:1]
	s_and_saveexec_b64 s[4:5], vcc
	s_cbranch_execz .LBB77_65
.LBB77_58:
	v_not_b32_e32 v3, v0
	v_not_b32_e32 v2, 0
	v_mov_b32_e32 v5, s7
	v_add_co_u32_e32 v4, vcc, s6, v3
	v_addc_co_u32_e32 v5, vcc, v2, v5, vcc
	s_mov_b64 s[2:3], 0x2ff
	v_cmp_lt_u64_e32 vcc, s[2:3], v[4:5]
	s_mov_b64 s[2:3], -1
	v_pk_mov_b32 v[2:3], v[0:1], v[0:1] op_sel:[0,1]
	s_and_saveexec_b64 s[20:21], vcc
	s_cbranch_execz .LBB77_62
; %bb.59:
	v_lshrrev_b64 v[2:3], 8, v[4:5]
	v_add_co_u32_e32 v10, vcc, 1, v2
	v_addc_co_u32_e32 v11, vcc, 0, v3, vcc
	v_or_b32_e32 v2, 0x100, v0
	v_mov_b32_e32 v3, v1
	v_and_b32_e32 v12, -4, v10
	v_mov_b32_e32 v13, v11
	v_pk_mov_b32 v[4:5], v[2:3], v[2:3] op_sel:[0,1]
	s_mov_b64 s[36:37], 0
	v_mov_b32_e32 v16, 0x1000
	v_mov_b32_e32 v17, 0
	v_pk_mov_b32 v[14:15], v[12:13], v[12:13] op_sel:[0,1]
	v_pk_mov_b32 v[2:3], v[0:1], v[0:1] op_sel:[0,1]
.LBB77_60:                              ; =>This Inner Loop Header: Depth=1
	v_lshl_add_u32 v20, v4, 2, v16
	v_add_co_u32_e32 v4, vcc, 0x400, v4
	v_add_co_u32_e64 v14, s[2:3], -4, v14
	v_addc_co_u32_e32 v5, vcc, 0, v5, vcc
	v_addc_co_u32_e64 v15, s[2:3], -1, v15, s[2:3]
	v_lshl_add_u32 v19, v2, 2, v16
	v_add_co_u32_e32 v2, vcc, 0x400, v2
	v_cmp_eq_u64_e64 s[2:3], 0, v[14:15]
	s_or_b64 s[36:37], s[2:3], s[36:37]
	v_addc_co_u32_e32 v3, vcc, 0, v3, vcc
	ds_write_b32 v19, v17
	ds_write_b32 v20, v17
	ds_write_b32 v19, v17 offset:2048
	ds_write_b32 v20, v17 offset:2048
	s_andn2_b64 exec, exec, s[36:37]
	s_cbranch_execnz .LBB77_60
; %bb.61:
	s_or_b64 exec, exec, s[36:37]
	v_lshlrev_b64 v[2:3], 8, v[12:13]
	v_cmp_ne_u64_e32 vcc, v[10:11], v[12:13]
	v_or_b32_e32 v3, 0, v3
	v_or_b32_e32 v2, v2, v0
	s_orn2_b64 s[2:3], vcc, exec
.LBB77_62:
	s_or_b64 exec, exec, s[20:21]
	s_and_b64 exec, exec, s[2:3]
	s_cbranch_execz .LBB77_65
; %bb.63:
	v_mov_b32_e32 v4, 0x1000
	v_lshl_add_u32 v4, v2, 2, v4
	s_mov_b64 s[2:3], 0
	v_mov_b32_e32 v5, 0
.LBB77_64:                              ; =>This Inner Loop Header: Depth=1
	v_add_co_u32_e32 v2, vcc, 0x100, v2
	v_addc_co_u32_e32 v3, vcc, 0, v3, vcc
	v_cmp_le_i64_e32 vcc, s[6:7], v[2:3]
	ds_write_b32 v4, v5
	s_or_b64 s[2:3], vcc, s[2:3]
	v_add_u32_e32 v4, 0x400, v4
	s_andn2_b64 exec, exec, s[2:3]
	s_cbranch_execnz .LBB77_64
.LBB77_65:
	s_or_b64 exec, exec, s[4:5]
	s_sub_u32 s4, s26, s6
	v_pk_mov_b32 v[2:3], s[6:7], s[6:7] op_sel:[0,1]
	s_subb_u32 s5, s27, s7
	v_cmp_ge_i64_e32 vcc, s[26:27], v[2:3]
	s_and_b64 s[2:3], vcc, exec
	s_cselect_b32 s5, s5, 0
	s_cselect_b32 s4, s4, 0
	s_waitcnt lgkmcnt(0)
	s_barrier
	s_and_saveexec_b64 s[2:3], s[0:1]
	s_xor_b64 s[20:21], exec, s[2:3]
	s_cbranch_execz .LBB77_81
; %bb.66:
	s_lshl_b64 s[0:1], s[26:27], 3
	s_add_u32 s0, s16, s0
	s_addc_u32 s1, s17, s1
	s_load_dwordx2 s[0:1], s[0:1], 0x0
	s_waitcnt lgkmcnt(0)
	s_sub_u32 s36, s0, s8
	s_subb_u32 s37, s1, s9
	v_cmp_gt_i64_e32 vcc, s[36:37], v[0:1]
	s_and_saveexec_b64 s[38:39], vcc
	s_cbranch_execz .LBB77_80
; %bb.67:
	s_add_u32 s40, s26, -1
	s_addc_u32 s41, s27, -1
	s_add_u32 s2, s26, -2
	s_addc_u32 s3, s27, -1
	v_pk_mov_b32 v[2:3], s[24:25], s[24:25] op_sel:[0,1]
	s_cmp_lg_u64 s[2:3], s[24:25]
	v_cmp_gt_i64_e32 vcc, s[40:41], v[2:3]
	s_cselect_b64 s[2:3], -1, 0
	s_and_b64 s[2:3], vcc, s[2:3]
	s_sub_u32 s42, s0, s30
	v_cndmask_b32_e64 v2, 0, 1, s[2:3]
	s_subb_u32 s43, s1, 0
	s_mov_b64 s[44:45], 0
	v_cmp_ne_u32_e64 s[0:1], 1, v2
	v_mov_b32_e32 v12, s17
	v_mov_b32_e32 v13, s31
	v_mov_b32_e32 v14, s19
	v_mov_b32_e32 v15, 0x1000
	s_mov_b64 s[46:47], 0
	s_branch .LBB77_69
.LBB77_68:                              ;   in Loop: Header=BB77_69 Depth=1
	s_or_b64 exec, exec, s[48:49]
	s_add_u32 s46, s46, 0x100
	s_addc_u32 s47, s47, 0
	v_mov_b32_e32 v3, s47
	v_add_co_u32_e32 v2, vcc, s46, v0
	v_addc_co_u32_e32 v3, vcc, 0, v3, vcc
	v_cmp_le_i64_e32 vcc, s[36:37], v[2:3]
	s_or_b64 s[44:45], vcc, s[44:45]
	s_andn2_b64 exec, exec, s[44:45]
	s_cbranch_execz .LBB77_80
.LBB77_69:                              ; =>This Loop Header: Depth=1
                                        ;     Child Loop BB77_71 Depth 2
                                        ;     Child Loop BB77_76 Depth 2
	v_mov_b32_e32 v3, s47
	v_add_co_u32_e32 v2, vcc, s46, v8
	v_addc_co_u32_e32 v3, vcc, v3, v9, vcc
	s_and_b64 vcc, exec, s[0:1]
	v_pk_mov_b32 v[4:5], s[24:25], s[24:25] op_sel:[0,1]
	v_pk_mov_b32 v[6:7], s[40:41], s[40:41] op_sel:[0,1]
	s_cbranch_vccnz .LBB77_73
; %bb.70:                               ;   in Loop: Header=BB77_69 Depth=1
	s_mov_b64 s[48:49], 0
	v_pk_mov_b32 v[4:5], s[24:25], s[24:25] op_sel:[0,1]
	v_pk_mov_b32 v[6:7], s[40:41], s[40:41] op_sel:[0,1]
.LBB77_71:                              ;   Parent Loop BB77_69 Depth=1
                                        ; =>  This Inner Loop Header: Depth=2
	v_add_co_u32_e32 v10, vcc, v6, v4
	v_addc_co_u32_e32 v11, vcc, v7, v5, vcc
	v_lshrrev_b32_e32 v16, 31, v11
	v_add_co_u32_e32 v10, vcc, v10, v16
	v_addc_co_u32_e32 v11, vcc, 0, v11, vcc
	v_ashrrev_i64 v[10:11], 1, v[10:11]
	v_lshlrev_b64 v[16:17], 3, v[10:11]
	v_mov_b32_e32 v19, s17
	v_add_co_u32_e32 v16, vcc, s16, v16
	v_addc_co_u32_e32 v17, vcc, v19, v17, vcc
	global_load_dwordx2 v[16:17], v[16:17], off
	v_mov_b32_e32 v19, s31
	s_waitcnt vmcnt(0)
	v_subrev_co_u32_e32 v16, vcc, s30, v16
	v_subb_co_u32_e32 v17, vcc, v17, v19, vcc
	v_cmp_gt_i64_e32 vcc, v[16:17], v[2:3]
	v_cndmask_b32_e32 v6, v6, v10, vcc
	v_cndmask_b32_e32 v7, v7, v11, vcc
	;; [unrolled: 1-line block ×3, first 2 shown]
	v_add_co_u32_e64 v10, s[2:3], -1, v6
	v_cndmask_b32_e32 v5, v11, v5, vcc
	v_addc_co_u32_e64 v11, s[2:3], -1, v7, s[2:3]
	v_cmp_ge_i64_e32 vcc, v[4:5], v[6:7]
	v_cmp_eq_u64_e64 s[2:3], v[4:5], v[10:11]
	s_or_b64 s[2:3], vcc, s[2:3]
	s_and_b64 s[2:3], exec, s[2:3]
	s_or_b64 s[48:49], s[2:3], s[48:49]
	s_andn2_b64 exec, exec, s[48:49]
	s_cbranch_execnz .LBB77_71
; %bb.72:                               ;   in Loop: Header=BB77_69 Depth=1
	s_or_b64 exec, exec, s[48:49]
.LBB77_73:                              ;   in Loop: Header=BB77_69 Depth=1
	v_lshlrev_b64 v[10:11], 3, v[6:7]
	v_add_co_u32_e32 v10, vcc, s16, v10
	v_addc_co_u32_e32 v11, vcc, v12, v11, vcc
	v_lshlrev_b64 v[16:17], 2, v[2:3]
	global_load_dwordx2 v[10:11], v[10:11], off
	v_add_co_u32_e32 v16, vcc, s18, v16
	v_addc_co_u32_e32 v17, vcc, v14, v17, vcc
	global_load_dword v19, v[16:17], off
	v_cmp_gt_i64_e64 s[2:3], s[42:43], v[2:3]
	s_waitcnt vmcnt(1)
	v_subrev_co_u32_e32 v16, vcc, s30, v10
	v_subb_co_u32_e32 v17, vcc, v11, v13, vcc
	v_cmp_gt_i64_e32 vcc, v[16:17], v[2:3]
	s_waitcnt vmcnt(0)
	v_subrev_u32_e32 v10, s30, v19
	v_cndmask_b32_e32 v5, v7, v5, vcc
	v_ashrrev_i32_e32 v11, 31, v10
	v_cndmask_b32_e32 v4, v6, v4, vcc
	v_cmp_ne_u64_e32 vcc, v[4:5], v[10:11]
	s_and_b64 s[2:3], vcc, s[2:3]
	s_and_saveexec_b64 s[48:49], s[2:3]
	s_cbranch_execz .LBB77_68
; %bb.74:                               ;   in Loop: Header=BB77_69 Depth=1
	v_add_co_u32_e32 v6, vcc, s46, v0
	v_cmp_gt_i64_e32 vcc, s[4:5], v[10:11]
	v_cmp_le_i64_e64 s[2:3], s[26:27], v[10:11]
	s_or_b64 s[2:3], vcc, s[2:3]
	v_lshlrev_b64 v[2:3], 1, v[4:5]
	v_lshlrev_b32_e32 v4, 2, v6
	s_and_saveexec_b64 s[50:51], s[2:3]
	s_xor_b64 s[2:3], exec, s[50:51]
	s_cbranch_execz .LBB77_78
; %bb.75:                               ;   in Loop: Header=BB77_69 Depth=1
	v_lshlrev_b64 v[6:7], 2, v[10:11]
	v_mov_b32_e32 v10, s23
	v_add_co_u32_e32 v2, vcc, s22, v2
	v_addc_co_u32_e32 v3, vcc, v10, v3, vcc
	v_mov_b32_e32 v5, s15
	global_load_ushort v10, v[2:3], off
	v_add_co_u32_e32 v2, vcc, s14, v6
	v_addc_co_u32_e32 v3, vcc, v5, v7, vcc
	global_load_dword v5, v[2:3], off
	ds_read_b32 v4, v4
	s_mov_b64 s[50:51], 0
	s_waitcnt vmcnt(1)
	v_lshlrev_b32_e32 v6, 16, v10
	s_waitcnt lgkmcnt(0)
	v_mul_f32_e32 v6, v4, v6
.LBB77_76:                              ;   Parent Loop BB77_69 Depth=1
                                        ; =>  This Inner Loop Header: Depth=2
	s_waitcnt vmcnt(0)
	v_add_f32_e32 v4, v5, v6
	global_atomic_cmpswap v4, v[2:3], v[4:5], off glc
	s_waitcnt vmcnt(0)
	v_cmp_eq_u32_e32 vcc, v4, v5
	s_or_b64 s[50:51], vcc, s[50:51]
	v_mov_b32_e32 v5, v4
	s_andn2_b64 exec, exec, s[50:51]
	s_cbranch_execnz .LBB77_76
; %bb.77:                               ;   in Loop: Header=BB77_69 Depth=1
	s_or_b64 exec, exec, s[50:51]
                                        ; implicit-def: $vgpr10_vgpr11
                                        ; implicit-def: $vgpr4
                                        ; implicit-def: $vgpr2_vgpr3
.LBB77_78:                              ;   in Loop: Header=BB77_69 Depth=1
	s_andn2_saveexec_b64 s[2:3], s[2:3]
	s_cbranch_execz .LBB77_68
; %bb.79:                               ;   in Loop: Header=BB77_69 Depth=1
	v_mov_b32_e32 v5, s23
	v_add_co_u32_e32 v2, vcc, s22, v2
	v_addc_co_u32_e32 v3, vcc, v5, v3, vcc
	global_load_ushort v2, v[2:3], off
	ds_read_b32 v3, v4
	v_subrev_u32_e32 v4, s4, v10
	v_lshl_add_u32 v4, v4, 2, v15
	s_waitcnt vmcnt(0)
	v_lshlrev_b32_e32 v2, 16, v2
	s_waitcnt lgkmcnt(0)
	v_mul_f32_e32 v2, v3, v2
	ds_add_f32 v4, v2
	s_branch .LBB77_68
.LBB77_80:
	s_or_b64 exec, exec, s[38:39]
                                        ; implicit-def: $vgpr6_vgpr7
                                        ; implicit-def: $vgpr8
.LBB77_81:
	s_andn2_saveexec_b64 s[20:21], s[20:21]
	s_cbranch_execz .LBB77_131
; %bb.82:
	s_add_u32 s36, s26, -1
	s_addc_u32 s37, s27, -1
	s_add_u32 s0, s26, -2
	s_addc_u32 s1, s27, -1
	v_pk_mov_b32 v[4:5], s[24:25], s[24:25] op_sel:[0,1]
	s_cmp_eq_u64 s[0:1], s[24:25]
	v_cmp_le_i64_e32 vcc, s[36:37], v[4:5]
	s_cselect_b64 s[0:1], -1, 0
	s_or_b64 s[2:3], vcc, s[0:1]
	s_and_b64 vcc, exec, s[2:3]
	v_pk_mov_b32 v[10:11], s[36:37], s[36:37] op_sel:[0,1]
	s_cbranch_vccnz .LBB77_86
; %bb.83:
	s_mov_b64 s[38:39], 0
	v_pk_mov_b32 v[4:5], s[24:25], s[24:25] op_sel:[0,1]
	v_pk_mov_b32 v[10:11], s[36:37], s[36:37] op_sel:[0,1]
	v_mov_b32_e32 v2, s17
	v_mov_b32_e32 v3, s31
.LBB77_84:                              ; =>This Inner Loop Header: Depth=1
	v_add_co_u32_e32 v12, vcc, v10, v4
	v_addc_co_u32_e32 v13, vcc, v11, v5, vcc
	v_lshrrev_b32_e32 v14, 31, v13
	v_add_co_u32_e32 v12, vcc, v12, v14
	v_addc_co_u32_e32 v13, vcc, 0, v13, vcc
	v_ashrrev_i64 v[12:13], 1, v[12:13]
	v_lshlrev_b64 v[14:15], 3, v[12:13]
	v_add_co_u32_e32 v14, vcc, s16, v14
	v_addc_co_u32_e32 v15, vcc, v2, v15, vcc
	global_load_dwordx2 v[14:15], v[14:15], off
	s_waitcnt vmcnt(0)
	v_subrev_co_u32_e32 v14, vcc, s30, v14
	v_subb_co_u32_e32 v15, vcc, v15, v3, vcc
	v_cmp_gt_i64_e32 vcc, v[14:15], v[8:9]
	v_cndmask_b32_e32 v10, v10, v12, vcc
	v_cndmask_b32_e32 v11, v11, v13, vcc
	;; [unrolled: 1-line block ×3, first 2 shown]
	v_add_co_u32_e64 v12, s[0:1], -1, v10
	v_cndmask_b32_e32 v5, v13, v5, vcc
	v_addc_co_u32_e64 v13, s[0:1], -1, v11, s[0:1]
	v_cmp_ge_i64_e32 vcc, v[4:5], v[10:11]
	v_cmp_eq_u64_e64 s[0:1], v[4:5], v[12:13]
	s_or_b64 s[0:1], vcc, s[0:1]
	s_and_b64 s[0:1], exec, s[0:1]
	s_or_b64 s[38:39], s[0:1], s[38:39]
	s_andn2_b64 exec, exec, s[38:39]
	s_cbranch_execnz .LBB77_84
; %bb.85:
	s_or_b64 exec, exec, s[38:39]
.LBB77_86:
	v_lshlrev_b64 v[2:3], 3, v[10:11]
	v_mov_b32_e32 v12, s17
	v_add_co_u32_e32 v2, vcc, s16, v2
	v_addc_co_u32_e32 v3, vcc, v12, v3, vcc
	global_load_dwordx2 v[12:13], v[2:3], off
	v_lshlrev_b64 v[2:3], 2, v[8:9]
	v_mov_b32_e32 v14, s19
	v_add_co_u32_e32 v2, vcc, s18, v2
	v_addc_co_u32_e32 v3, vcc, v14, v3, vcc
	global_load_dword v16, v[2:3], off
	v_mov_b32_e32 v15, s31
	s_xor_b64 s[2:3], s[2:3], -1
	s_lshl_b64 s[0:1], s[26:27], 3
	s_add_u32 s18, s16, s0
	s_addc_u32 s19, s17, s1
	s_waitcnt vmcnt(1)
	v_subrev_co_u32_e32 v14, vcc, s30, v12
	v_subb_co_u32_e32 v15, vcc, v13, v15, vcc
	v_cmp_gt_i64_e32 vcc, v[14:15], v[8:9]
	v_cndmask_b32_e32 v5, v11, v5, vcc
	v_cndmask_b32_e32 v4, v10, v4, vcc
	s_waitcnt vmcnt(0)
	v_subrev_u32_e32 v12, s30, v16
	v_ashrrev_i32_e32 v13, 31, v12
	v_cmp_ne_u64_e32 vcc, v[4:5], v[12:13]
	s_and_saveexec_b64 s[38:39], vcc
	s_cbranch_execz .LBB77_94
; %bb.87:
	s_load_dwordx2 s[0:1], s[18:19], 0x0
	s_waitcnt lgkmcnt(0)
	s_sub_u32 s0, s0, s30
	s_subb_u32 s1, s1, 0
	v_cmp_gt_i64_e32 vcc, s[0:1], v[8:9]
	s_and_b64 exec, exec, vcc
	s_cbranch_execz .LBB77_94
; %bb.88:
	v_cmp_gt_i64_e32 vcc, s[4:5], v[12:13]
	v_cmp_le_i64_e64 s[0:1], s[26:27], v[12:13]
	s_or_b64 s[0:1], vcc, s[0:1]
	v_lshlrev_b64 v[4:5], 1, v[4:5]
	s_and_saveexec_b64 s[40:41], s[0:1]
	s_xor_b64 s[0:1], exec, s[40:41]
	s_cbranch_execz .LBB77_92
; %bb.89:
	v_lshlrev_b64 v[10:11], 2, v[12:13]
	v_mov_b32_e32 v13, s23
	v_add_co_u32_e32 v4, vcc, s22, v4
	v_addc_co_u32_e32 v5, vcc, v13, v5, vcc
	v_mov_b32_e32 v12, s15
	global_load_ushort v13, v[4:5], off
	v_add_co_u32_e32 v4, vcc, s14, v10
	v_addc_co_u32_e32 v5, vcc, v12, v11, vcc
	global_load_dword v11, v[4:5], off
	ds_read_b32 v10, v18
	s_mov_b64 s[40:41], 0
	s_waitcnt vmcnt(1)
	v_lshlrev_b32_e32 v12, 16, v13
	s_waitcnt lgkmcnt(0)
	v_mul_f32_e32 v12, v10, v12
.LBB77_90:                              ; =>This Inner Loop Header: Depth=1
	s_waitcnt vmcnt(0)
	v_add_f32_e32 v10, v11, v12
	global_atomic_cmpswap v10, v[4:5], v[10:11], off glc
	s_waitcnt vmcnt(0)
	v_cmp_eq_u32_e32 vcc, v10, v11
	s_or_b64 s[40:41], vcc, s[40:41]
	v_mov_b32_e32 v11, v10
	s_andn2_b64 exec, exec, s[40:41]
	s_cbranch_execnz .LBB77_90
; %bb.91:
	s_or_b64 exec, exec, s[40:41]
                                        ; implicit-def: $vgpr12_vgpr13
                                        ; implicit-def: $vgpr4_vgpr5
.LBB77_92:
	s_andn2_saveexec_b64 s[0:1], s[0:1]
	s_cbranch_execz .LBB77_94
; %bb.93:
	v_mov_b32_e32 v10, s23
	v_add_co_u32_e32 v4, vcc, s22, v4
	v_addc_co_u32_e32 v5, vcc, v10, v5, vcc
	global_load_ushort v4, v[4:5], off
	ds_read_b32 v5, v18
	v_subrev_u32_e32 v10, s4, v12
	v_mov_b32_e32 v11, 0x1000
	v_lshl_add_u32 v10, v10, 2, v11
	s_waitcnt vmcnt(0)
	v_lshlrev_b32_e32 v4, 16, v4
	s_waitcnt lgkmcnt(0)
	v_mul_f32_e32 v4, v5, v4
	ds_add_f32 v10, v4
.LBB77_94:
	s_or_b64 exec, exec, s[38:39]
	v_add_co_u32_e32 v4, vcc, 0x100, v8
	v_addc_co_u32_e32 v5, vcc, 0, v9, vcc
	v_cndmask_b32_e64 v10, 0, 1, s[2:3]
	v_cmp_ne_u32_e64 s[0:1], 1, v10
	s_andn2_b64 vcc, exec, s[2:3]
	v_pk_mov_b32 v[10:11], s[24:25], s[24:25] op_sel:[0,1]
	v_pk_mov_b32 v[12:13], s[36:37], s[36:37] op_sel:[0,1]
	s_cbranch_vccnz .LBB77_98
; %bb.95:
	s_mov_b64 s[38:39], 0
	v_pk_mov_b32 v[10:11], s[24:25], s[24:25] op_sel:[0,1]
	v_pk_mov_b32 v[12:13], s[36:37], s[36:37] op_sel:[0,1]
	v_mov_b32_e32 v14, s17
	v_mov_b32_e32 v15, s31
.LBB77_96:                              ; =>This Inner Loop Header: Depth=1
	v_add_co_u32_e32 v16, vcc, v12, v10
	v_addc_co_u32_e32 v17, vcc, v13, v11, vcc
	v_lshrrev_b32_e32 v19, 31, v17
	v_add_co_u32_e32 v16, vcc, v16, v19
	v_addc_co_u32_e32 v17, vcc, 0, v17, vcc
	v_ashrrev_i64 v[16:17], 1, v[16:17]
	v_lshlrev_b64 v[20:21], 3, v[16:17]
	v_add_co_u32_e32 v20, vcc, s16, v20
	v_addc_co_u32_e32 v21, vcc, v14, v21, vcc
	global_load_dwordx2 v[20:21], v[20:21], off
	s_waitcnt vmcnt(0)
	v_subrev_co_u32_e32 v20, vcc, s30, v20
	v_subb_co_u32_e32 v21, vcc, v21, v15, vcc
	v_cmp_gt_i64_e32 vcc, v[20:21], v[4:5]
	v_cndmask_b32_e32 v12, v12, v16, vcc
	v_cndmask_b32_e32 v13, v13, v17, vcc
	;; [unrolled: 1-line block ×3, first 2 shown]
	v_add_co_u32_e64 v16, s[2:3], -1, v12
	v_cndmask_b32_e32 v11, v17, v11, vcc
	v_addc_co_u32_e64 v17, s[2:3], -1, v13, s[2:3]
	v_cmp_ge_i64_e32 vcc, v[10:11], v[12:13]
	v_cmp_eq_u64_e64 s[2:3], v[10:11], v[16:17]
	s_or_b64 s[2:3], vcc, s[2:3]
	s_and_b64 s[2:3], exec, s[2:3]
	s_or_b64 s[38:39], s[2:3], s[38:39]
	s_andn2_b64 exec, exec, s[38:39]
	s_cbranch_execnz .LBB77_96
; %bb.97:
	s_or_b64 exec, exec, s[38:39]
.LBB77_98:
	v_lshlrev_b64 v[14:15], 3, v[12:13]
	v_mov_b32_e32 v16, s17
	v_add_co_u32_e32 v14, vcc, s16, v14
	v_addc_co_u32_e32 v15, vcc, v16, v15, vcc
	global_load_dwordx2 v[16:17], v[14:15], off
	global_load_dword v19, v[2:3], off offset:1024
	v_mov_b32_e32 v15, s31
	s_waitcnt vmcnt(1)
	v_subrev_co_u32_e32 v16, vcc, s30, v16
	v_subb_co_u32_e32 v17, vcc, v17, v15, vcc
	s_waitcnt vmcnt(0)
	v_subrev_u32_e32 v14, s30, v19
	v_cmp_gt_i64_e32 vcc, v[16:17], v[4:5]
	v_cndmask_b32_e32 v11, v13, v11, vcc
	v_cndmask_b32_e32 v10, v12, v10, vcc
	v_ashrrev_i32_e32 v15, 31, v14
	v_cmp_ne_u64_e32 vcc, v[10:11], v[14:15]
	s_and_saveexec_b64 s[38:39], vcc
	s_cbranch_execz .LBB77_106
; %bb.99:
	s_load_dwordx2 s[2:3], s[18:19], 0x0
	s_waitcnt lgkmcnt(0)
	s_sub_u32 s2, s2, s30
	s_subb_u32 s3, s3, 0
	v_cmp_gt_i64_e32 vcc, s[2:3], v[4:5]
	s_and_b64 exec, exec, vcc
	s_cbranch_execz .LBB77_106
; %bb.100:
	v_cmp_gt_i64_e32 vcc, s[4:5], v[14:15]
	v_cmp_le_i64_e64 s[2:3], s[26:27], v[14:15]
	s_or_b64 s[2:3], vcc, s[2:3]
	v_lshlrev_b64 v[4:5], 1, v[10:11]
	s_and_saveexec_b64 s[40:41], s[2:3]
	s_xor_b64 s[2:3], exec, s[40:41]
	s_cbranch_execz .LBB77_104
; %bb.101:
	v_mov_b32_e32 v13, s23
	v_add_co_u32_e32 v4, vcc, s22, v4
	v_lshlrev_b64 v[10:11], 2, v[14:15]
	v_addc_co_u32_e32 v5, vcc, v13, v5, vcc
	v_mov_b32_e32 v12, s15
	global_load_ushort v13, v[4:5], off
	v_add_co_u32_e32 v4, vcc, s14, v10
	v_addc_co_u32_e32 v5, vcc, v12, v11, vcc
	global_load_dword v11, v[4:5], off
	ds_read_b32 v10, v18 offset:1024
	s_mov_b64 s[40:41], 0
	s_waitcnt vmcnt(1)
	v_lshlrev_b32_e32 v12, 16, v13
	s_waitcnt lgkmcnt(0)
	v_mul_f32_e32 v12, v10, v12
.LBB77_102:                             ; =>This Inner Loop Header: Depth=1
	s_waitcnt vmcnt(0)
	v_add_f32_e32 v10, v11, v12
	global_atomic_cmpswap v10, v[4:5], v[10:11], off glc
	s_waitcnt vmcnt(0)
	v_cmp_eq_u32_e32 vcc, v10, v11
	s_or_b64 s[40:41], vcc, s[40:41]
	v_mov_b32_e32 v11, v10
	s_andn2_b64 exec, exec, s[40:41]
	s_cbranch_execnz .LBB77_102
; %bb.103:
	s_or_b64 exec, exec, s[40:41]
                                        ; implicit-def: $vgpr14_vgpr15
                                        ; implicit-def: $vgpr4_vgpr5
.LBB77_104:
	s_andn2_saveexec_b64 s[2:3], s[2:3]
	s_cbranch_execz .LBB77_106
; %bb.105:
	v_mov_b32_e32 v10, s23
	v_add_co_u32_e32 v4, vcc, s22, v4
	v_addc_co_u32_e32 v5, vcc, v10, v5, vcc
	global_load_ushort v4, v[4:5], off
	ds_read_b32 v5, v18 offset:1024
	v_subrev_u32_e32 v10, s4, v14
	v_mov_b32_e32 v11, 0x1000
	v_lshl_add_u32 v10, v10, 2, v11
	s_waitcnt vmcnt(0)
	v_lshlrev_b32_e32 v4, 16, v4
	s_waitcnt lgkmcnt(0)
	v_mul_f32_e32 v4, v5, v4
	ds_add_f32 v10, v4
.LBB77_106:
	s_or_b64 exec, exec, s[38:39]
	v_add_co_u32_e32 v4, vcc, 0x200, v8
	v_addc_co_u32_e32 v5, vcc, 0, v9, vcc
	s_and_b64 vcc, exec, s[0:1]
	v_pk_mov_b32 v[8:9], s[24:25], s[24:25] op_sel:[0,1]
	v_pk_mov_b32 v[10:11], s[36:37], s[36:37] op_sel:[0,1]
	s_cbranch_vccnz .LBB77_110
; %bb.107:
	s_mov_b64 s[38:39], 0
	v_pk_mov_b32 v[8:9], s[24:25], s[24:25] op_sel:[0,1]
	v_pk_mov_b32 v[10:11], s[36:37], s[36:37] op_sel:[0,1]
	v_mov_b32_e32 v12, s17
	v_mov_b32_e32 v13, s31
.LBB77_108:                             ; =>This Inner Loop Header: Depth=1
	v_add_co_u32_e32 v14, vcc, v10, v8
	v_addc_co_u32_e32 v15, vcc, v11, v9, vcc
	v_lshrrev_b32_e32 v16, 31, v15
	v_add_co_u32_e32 v14, vcc, v14, v16
	v_addc_co_u32_e32 v15, vcc, 0, v15, vcc
	v_ashrrev_i64 v[14:15], 1, v[14:15]
	v_lshlrev_b64 v[16:17], 3, v[14:15]
	v_add_co_u32_e32 v16, vcc, s16, v16
	v_addc_co_u32_e32 v17, vcc, v12, v17, vcc
	global_load_dwordx2 v[16:17], v[16:17], off
	s_waitcnt vmcnt(0)
	v_subrev_co_u32_e32 v16, vcc, s30, v16
	v_subb_co_u32_e32 v17, vcc, v17, v13, vcc
	v_cmp_gt_i64_e32 vcc, v[16:17], v[4:5]
	v_cndmask_b32_e32 v10, v10, v14, vcc
	v_cndmask_b32_e32 v11, v11, v15, vcc
	;; [unrolled: 1-line block ×3, first 2 shown]
	v_add_co_u32_e64 v14, s[2:3], -1, v10
	v_cndmask_b32_e32 v9, v15, v9, vcc
	v_addc_co_u32_e64 v15, s[2:3], -1, v11, s[2:3]
	v_cmp_ge_i64_e32 vcc, v[8:9], v[10:11]
	v_cmp_eq_u64_e64 s[2:3], v[8:9], v[14:15]
	s_or_b64 s[2:3], vcc, s[2:3]
	s_and_b64 s[2:3], exec, s[2:3]
	s_or_b64 s[38:39], s[2:3], s[38:39]
	s_andn2_b64 exec, exec, s[38:39]
	s_cbranch_execnz .LBB77_108
; %bb.109:
	s_or_b64 exec, exec, s[38:39]
.LBB77_110:
	v_lshlrev_b64 v[12:13], 3, v[10:11]
	v_mov_b32_e32 v14, s17
	v_add_co_u32_e32 v12, vcc, s16, v12
	v_addc_co_u32_e32 v13, vcc, v14, v13, vcc
	global_load_dwordx2 v[14:15], v[12:13], off
	global_load_dword v16, v[2:3], off offset:2048
	v_mov_b32_e32 v13, s31
	s_waitcnt vmcnt(1)
	v_subrev_co_u32_e32 v14, vcc, s30, v14
	v_subb_co_u32_e32 v15, vcc, v15, v13, vcc
	s_waitcnt vmcnt(0)
	v_subrev_u32_e32 v12, s30, v16
	v_cmp_gt_i64_e32 vcc, v[14:15], v[4:5]
	v_cndmask_b32_e32 v9, v11, v9, vcc
	v_cndmask_b32_e32 v8, v10, v8, vcc
	v_ashrrev_i32_e32 v13, 31, v12
	v_cmp_ne_u64_e32 vcc, v[8:9], v[12:13]
	s_and_saveexec_b64 s[38:39], vcc
	s_cbranch_execz .LBB77_118
; %bb.111:
	s_load_dwordx2 s[2:3], s[18:19], 0x0
	s_waitcnt lgkmcnt(0)
	s_sub_u32 s2, s2, s30
	s_subb_u32 s3, s3, 0
	v_cmp_gt_i64_e32 vcc, s[2:3], v[4:5]
	s_and_b64 exec, exec, vcc
	s_cbranch_execz .LBB77_118
; %bb.112:
	v_cmp_gt_i64_e32 vcc, s[4:5], v[12:13]
	v_cmp_le_i64_e64 s[2:3], s[26:27], v[12:13]
	s_or_b64 s[2:3], vcc, s[2:3]
	v_lshlrev_b64 v[4:5], 1, v[8:9]
	s_and_saveexec_b64 s[40:41], s[2:3]
	s_xor_b64 s[2:3], exec, s[40:41]
	s_cbranch_execz .LBB77_116
; %bb.113:
	v_mov_b32_e32 v11, s23
	v_add_co_u32_e32 v4, vcc, s22, v4
	v_lshlrev_b64 v[8:9], 2, v[12:13]
	v_addc_co_u32_e32 v5, vcc, v11, v5, vcc
	v_mov_b32_e32 v10, s15
	global_load_ushort v11, v[4:5], off
	v_add_co_u32_e32 v4, vcc, s14, v8
	v_addc_co_u32_e32 v5, vcc, v10, v9, vcc
	global_load_dword v9, v[4:5], off
	ds_read_b32 v8, v18 offset:2048
	s_mov_b64 s[40:41], 0
	s_waitcnt vmcnt(1)
	v_lshlrev_b32_e32 v10, 16, v11
	s_waitcnt lgkmcnt(0)
	v_mul_f32_e32 v10, v8, v10
.LBB77_114:                             ; =>This Inner Loop Header: Depth=1
	s_waitcnt vmcnt(0)
	v_add_f32_e32 v8, v9, v10
	global_atomic_cmpswap v8, v[4:5], v[8:9], off glc
	s_waitcnt vmcnt(0)
	v_cmp_eq_u32_e32 vcc, v8, v9
	s_or_b64 s[40:41], vcc, s[40:41]
	v_mov_b32_e32 v9, v8
	s_andn2_b64 exec, exec, s[40:41]
	s_cbranch_execnz .LBB77_114
; %bb.115:
	s_or_b64 exec, exec, s[40:41]
                                        ; implicit-def: $vgpr12_vgpr13
                                        ; implicit-def: $vgpr4_vgpr5
.LBB77_116:
	s_andn2_saveexec_b64 s[2:3], s[2:3]
	s_cbranch_execz .LBB77_118
; %bb.117:
	v_mov_b32_e32 v8, s23
	v_add_co_u32_e32 v4, vcc, s22, v4
	v_addc_co_u32_e32 v5, vcc, v8, v5, vcc
	global_load_ushort v4, v[4:5], off
	ds_read_b32 v5, v18 offset:2048
	v_subrev_u32_e32 v8, s4, v12
	v_mov_b32_e32 v9, 0x1000
	v_lshl_add_u32 v8, v8, 2, v9
	s_waitcnt vmcnt(0)
	v_lshlrev_b32_e32 v4, 16, v4
	s_waitcnt lgkmcnt(0)
	v_mul_f32_e32 v4, v5, v4
	ds_add_f32 v8, v4
.LBB77_118:
	s_or_b64 exec, exec, s[38:39]
	s_and_b64 vcc, exec, s[0:1]
	v_pk_mov_b32 v[4:5], s[24:25], s[24:25] op_sel:[0,1]
	v_pk_mov_b32 v[8:9], s[36:37], s[36:37] op_sel:[0,1]
	s_cbranch_vccnz .LBB77_122
; %bb.119:
	s_mov_b64 s[2:3], 0
	v_pk_mov_b32 v[4:5], s[24:25], s[24:25] op_sel:[0,1]
	v_pk_mov_b32 v[8:9], s[36:37], s[36:37] op_sel:[0,1]
	v_mov_b32_e32 v10, s17
	v_mov_b32_e32 v11, s31
.LBB77_120:                             ; =>This Inner Loop Header: Depth=1
	v_add_co_u32_e32 v12, vcc, v8, v4
	v_addc_co_u32_e32 v13, vcc, v9, v5, vcc
	v_lshrrev_b32_e32 v14, 31, v13
	v_add_co_u32_e32 v12, vcc, v12, v14
	v_addc_co_u32_e32 v13, vcc, 0, v13, vcc
	v_ashrrev_i64 v[12:13], 1, v[12:13]
	v_lshlrev_b64 v[14:15], 3, v[12:13]
	v_add_co_u32_e32 v14, vcc, s16, v14
	v_addc_co_u32_e32 v15, vcc, v10, v15, vcc
	global_load_dwordx2 v[14:15], v[14:15], off
	s_waitcnt vmcnt(0)
	v_subrev_co_u32_e32 v14, vcc, s30, v14
	v_subb_co_u32_e32 v15, vcc, v15, v11, vcc
	v_cmp_gt_i64_e32 vcc, v[14:15], v[6:7]
	v_cndmask_b32_e32 v8, v8, v12, vcc
	v_cndmask_b32_e32 v9, v9, v13, vcc
	;; [unrolled: 1-line block ×3, first 2 shown]
	v_add_co_u32_e64 v12, s[0:1], -1, v8
	v_cndmask_b32_e32 v5, v13, v5, vcc
	v_addc_co_u32_e64 v13, s[0:1], -1, v9, s[0:1]
	v_cmp_ge_i64_e32 vcc, v[4:5], v[8:9]
	v_cmp_eq_u64_e64 s[0:1], v[4:5], v[12:13]
	s_or_b64 s[0:1], vcc, s[0:1]
	s_and_b64 s[0:1], exec, s[0:1]
	s_or_b64 s[2:3], s[0:1], s[2:3]
	s_andn2_b64 exec, exec, s[2:3]
	s_cbranch_execnz .LBB77_120
; %bb.121:
	s_or_b64 exec, exec, s[2:3]
.LBB77_122:
	v_lshlrev_b64 v[10:11], 3, v[8:9]
	v_mov_b32_e32 v12, s17
	global_load_dword v13, v[2:3], off offset:3072
	v_add_co_u32_e32 v2, vcc, s16, v10
	v_addc_co_u32_e32 v3, vcc, v12, v11, vcc
	global_load_dwordx2 v[10:11], v[2:3], off
	v_mov_b32_e32 v3, s31
	s_waitcnt vmcnt(1)
	v_subrev_u32_e32 v2, s30, v13
	s_waitcnt vmcnt(0)
	v_subrev_co_u32_e32 v10, vcc, s30, v10
	v_subb_co_u32_e32 v11, vcc, v11, v3, vcc
	v_cmp_gt_i64_e32 vcc, v[10:11], v[6:7]
	v_cndmask_b32_e32 v5, v9, v5, vcc
	v_cndmask_b32_e32 v4, v8, v4, vcc
	v_ashrrev_i32_e32 v3, 31, v2
	v_cmp_ne_u64_e32 vcc, v[4:5], v[2:3]
	s_and_saveexec_b64 s[2:3], vcc
	s_cbranch_execz .LBB77_130
; %bb.123:
	s_load_dwordx2 s[0:1], s[18:19], 0x0
	s_waitcnt lgkmcnt(0)
	s_sub_u32 s0, s0, s30
	s_subb_u32 s1, s1, 0
	v_cmp_gt_i64_e32 vcc, s[0:1], v[6:7]
	s_and_b64 exec, exec, vcc
	s_cbranch_execz .LBB77_130
; %bb.124:
	v_cmp_gt_i64_e32 vcc, s[4:5], v[2:3]
	v_cmp_le_i64_e64 s[0:1], s[26:27], v[2:3]
	s_or_b64 s[0:1], vcc, s[0:1]
	v_lshlrev_b64 v[4:5], 1, v[4:5]
	s_and_saveexec_b64 s[18:19], s[0:1]
	s_xor_b64 s[0:1], exec, s[18:19]
	s_cbranch_execz .LBB77_128
; %bb.125:
	v_mov_b32_e32 v7, s23
	v_add_co_u32_e32 v4, vcc, s22, v4
	v_lshlrev_b64 v[2:3], 2, v[2:3]
	v_addc_co_u32_e32 v5, vcc, v7, v5, vcc
	v_mov_b32_e32 v6, s15
	global_load_ushort v4, v[4:5], off
	v_add_co_u32_e32 v2, vcc, s14, v2
	v_addc_co_u32_e32 v3, vcc, v6, v3, vcc
	global_load_dword v5, v[2:3], off
	ds_read_b32 v6, v18 offset:3072
	s_mov_b64 s[18:19], 0
	s_waitcnt vmcnt(1)
	v_lshlrev_b32_e32 v4, 16, v4
	s_waitcnt lgkmcnt(0)
	v_mul_f32_e32 v6, v6, v4
.LBB77_126:                             ; =>This Inner Loop Header: Depth=1
	s_waitcnt vmcnt(0)
	v_add_f32_e32 v4, v5, v6
	global_atomic_cmpswap v4, v[2:3], v[4:5], off glc
	s_waitcnt vmcnt(0)
	v_cmp_eq_u32_e32 vcc, v4, v5
	s_or_b64 s[18:19], vcc, s[18:19]
	v_mov_b32_e32 v5, v4
	s_andn2_b64 exec, exec, s[18:19]
	s_cbranch_execnz .LBB77_126
; %bb.127:
	s_or_b64 exec, exec, s[18:19]
                                        ; implicit-def: $vgpr2_vgpr3
                                        ; implicit-def: $vgpr4_vgpr5
.LBB77_128:
	s_andn2_saveexec_b64 s[0:1], s[0:1]
	s_cbranch_execz .LBB77_130
; %bb.129:
	v_mov_b32_e32 v3, s23
	v_add_co_u32_e32 v4, vcc, s22, v4
	v_addc_co_u32_e32 v5, vcc, v3, v5, vcc
	global_load_ushort v3, v[4:5], off
	ds_read_b32 v4, v18 offset:3072
	v_subrev_u32_e32 v2, s4, v2
	v_mov_b32_e32 v5, 0x1000
	v_lshl_add_u32 v2, v2, 2, v5
	s_waitcnt vmcnt(0)
	v_lshlrev_b32_e32 v3, 16, v3
	s_waitcnt lgkmcnt(0)
	v_mul_f32_e32 v3, v4, v3
	ds_add_f32 v2, v3
.LBB77_130:
	s_or_b64 exec, exec, s[2:3]
.LBB77_131:
	s_or_b64 exec, exec, s[20:21]
	v_pk_mov_b32 v[2:3], s[6:7], s[6:7] op_sel:[0,1]
	v_cmp_lt_i64_e32 vcc, s[26:27], v[2:3]
	s_and_b64 s[0:1], vcc, exec
	s_cselect_b32 s18, s26, s6
	s_cselect_b32 s0, s27, s7
	s_sub_u32 s2, s18, s28
	s_subb_u32 s3, s0, s29
	v_cmp_gt_i64_e32 vcc, s[2:3], v[0:1]
	s_waitcnt lgkmcnt(0)
	s_barrier
	s_and_saveexec_b64 s[0:1], vcc
	s_cbranch_execz .LBB77_136
; %bb.132:
	s_lshl_b64 s[4:5], s[4:5], 2
	s_add_u32 s19, s14, s4
	s_addc_u32 s6, s15, s5
	s_mov_b64 s[4:5], 0
	v_mov_b32_e32 v8, s6
	v_mov_b32_e32 v9, 0x1000
	v_pk_mov_b32 v[2:3], v[0:1], v[0:1] op_sel:[0,1]
.LBB77_133:                             ; =>This Loop Header: Depth=1
                                        ;     Child Loop BB77_134 Depth 2
	v_lshlrev_b64 v[4:5], 2, v[2:3]
	v_add_co_u32_e32 v4, vcc, s19, v4
	v_addc_co_u32_e32 v5, vcc, v8, v5, vcc
	global_load_dword v7, v[4:5], off
	v_lshl_add_u32 v6, v2, 2, v9
	ds_read_b32 v10, v6
	s_mov_b64 s[6:7], 0
.LBB77_134:                             ;   Parent Loop BB77_133 Depth=1
                                        ; =>  This Inner Loop Header: Depth=2
	s_waitcnt vmcnt(0) lgkmcnt(0)
	v_add_f32_e32 v6, v7, v10
	global_atomic_cmpswap v6, v[4:5], v[6:7], off glc
	s_waitcnt vmcnt(0)
	v_cmp_eq_u32_e32 vcc, v6, v7
	s_or_b64 s[6:7], vcc, s[6:7]
	v_mov_b32_e32 v7, v6
	s_andn2_b64 exec, exec, s[6:7]
	s_cbranch_execnz .LBB77_134
; %bb.135:                              ;   in Loop: Header=BB77_133 Depth=1
	s_or_b64 exec, exec, s[6:7]
	v_add_co_u32_e32 v2, vcc, 0x100, v2
	v_addc_co_u32_e32 v3, vcc, 0, v3, vcc
	v_cmp_le_i64_e32 vcc, s[2:3], v[2:3]
	s_or_b64 s[4:5], vcc, s[4:5]
	s_andn2_b64 exec, exec, s[4:5]
	s_cbranch_execnz .LBB77_133
.LBB77_136:
	s_or_b64 exec, exec, s[0:1]
	s_add_i32 s0, s34, -1
	s_ashr_i32 s1, s0, 1
	s_or_b32 s0, s1, s0
	s_ashr_i32 s1, s0, 2
	s_or_b32 s0, s1, s0
	;; [unrolled: 2-line block ×5, first 2 shown]
	s_add_i32 s3, s3, 1
	s_ashr_i32 s20, s3, 1
	v_mov_b32_e32 v2, s25
	v_add_co_u32_e32 v6, vcc, s24, v0
	v_addc_co_u32_e32 v7, vcc, 0, v2, vcc
	s_cmp_gt_i32 s20, 1
	s_mov_b64 s[0:1], -1
	s_barrier
	s_cbranch_scc1 .LBB77_147
; %bb.137:
	v_cmp_gt_i64_e32 vcc, s[26:27], v[6:7]
	s_and_saveexec_b64 s[0:1], vcc
	s_cbranch_execz .LBB77_146
; %bb.138:
	s_sub_i32 s4, s18, s26
	s_lshl_b32 s4, s4, 2
	s_add_i32 s21, s4, 0x1000
	s_lshl_b32 s4, s8, 2
	s_sub_i32 s22, 0, s4
	s_mov_b64 s[4:5], 0
	v_mov_b32_e32 v12, s17
	v_mov_b32_e32 v13, s15
	;; [unrolled: 1-line block ×3, first 2 shown]
	v_pk_mov_b32 v[8:9], v[6:7], v[6:7] op_sel:[0,1]
.LBB77_139:                             ; =>This Loop Header: Depth=1
                                        ;     Child Loop BB77_141 Depth 2
                                        ;     Child Loop BB77_144 Depth 2
	v_lshlrev_b64 v[2:3], 3, v[8:9]
	v_add_co_u32_e32 v2, vcc, s16, v2
	v_addc_co_u32_e32 v3, vcc, v12, v3, vcc
	global_load_dwordx4 v[2:5], v[2:3], off
	v_mov_b32_e32 v15, 0
	s_waitcnt vmcnt(0)
	v_cmp_lt_i64_e32 vcc, v[2:3], v[4:5]
	s_and_saveexec_b64 s[6:7], vcc
	s_cbranch_execz .LBB77_143
; %bb.140:                              ;   in Loop: Header=BB77_139 Depth=1
	v_mov_b32_e32 v11, s9
	v_subrev_co_u32_e32 v4, vcc, s8, v4
	v_subb_co_u32_e32 v5, vcc, v5, v11, vcc
	v_subrev_co_u32_e32 v10, vcc, s8, v2
	v_subb_co_u32_e32 v11, vcc, v3, v11, vcc
	v_lshl_add_u32 v2, v2, 2, s22
	s_mov_b64 s[18:19], 0
	v_mov_b32_e32 v15, 0
.LBB77_141:                             ;   Parent Loop BB77_139 Depth=1
                                        ; =>  This Inner Loop Header: Depth=2
	ds_read_b32 v3, v2
	v_add_co_u32_e32 v10, vcc, 1, v10
	v_addc_co_u32_e32 v11, vcc, 0, v11, vcc
	v_cmp_ge_i64_e32 vcc, v[10:11], v[4:5]
	v_add_u32_e32 v2, 4, v2
	s_or_b64 s[18:19], vcc, s[18:19]
	s_waitcnt lgkmcnt(0)
	v_add_f32_e32 v15, v15, v3
	s_andn2_b64 exec, exec, s[18:19]
	s_cbranch_execnz .LBB77_141
; %bb.142:                              ;   in Loop: Header=BB77_139 Depth=1
	s_or_b64 exec, exec, s[18:19]
.LBB77_143:                             ;   in Loop: Header=BB77_139 Depth=1
	s_or_b64 exec, exec, s[6:7]
	v_lshlrev_b64 v[2:3], 2, v[8:9]
	v_add_co_u32_e32 v2, vcc, s14, v2
	v_addc_co_u32_e32 v3, vcc, v13, v3, vcc
	global_load_dword v5, v[2:3], off
	v_lshl_add_u32 v4, v8, 2, s21
	ds_read_b32 v4, v4
	s_mov_b64 s[6:7], 0
	s_waitcnt lgkmcnt(0)
	v_add_f32_e32 v10, v15, v4
.LBB77_144:                             ;   Parent Loop BB77_139 Depth=1
                                        ; =>  This Inner Loop Header: Depth=2
	s_waitcnt vmcnt(0)
	v_add_f32_e32 v4, v5, v10
	global_atomic_cmpswap v4, v[2:3], v[4:5], off glc
	s_waitcnt vmcnt(0)
	v_cmp_eq_u32_e32 vcc, v4, v5
	s_or_b64 s[6:7], vcc, s[6:7]
	v_mov_b32_e32 v5, v4
	s_andn2_b64 exec, exec, s[6:7]
	s_cbranch_execnz .LBB77_144
; %bb.145:                              ;   in Loop: Header=BB77_139 Depth=1
	s_or_b64 exec, exec, s[6:7]
	v_add_co_u32_e32 v8, vcc, s12, v8
	v_addc_co_u32_e32 v9, vcc, v9, v14, vcc
	v_cmp_le_i64_e32 vcc, s[26:27], v[8:9]
	s_or_b64 s[4:5], vcc, s[4:5]
	s_andn2_b64 exec, exec, s[4:5]
	s_cbranch_execnz .LBB77_139
.LBB77_146:
	s_or_b64 exec, exec, s[0:1]
	s_mov_b64 s[0:1], 0
.LBB77_147:
	s_andn2_b64 vcc, exec, s[0:1]
	s_cbranch_vccnz .LBB77_176
; %bb.148:
	v_cvt_f32_u32_e32 v14, s20
	s_sub_i32 s6, 0, s20
	v_mov_b32_e32 v11, 0
	v_mov_b32_e32 v4, s11
	v_rcp_iflag_f32_e32 v2, v14
	v_mov_b32_e32 v12, s9
	v_mul_f32_e32 v2, 0x4f7ffffe, v2
	v_cvt_u32_f32_e32 v2, v2
	v_mul_lo_u32 v3, s6, v2
	v_mul_hi_u32 v3, v2, v3
	v_add_u32_e32 v2, v2, v3
	v_mul_hi_u32 v2, v0, v2
	v_mul_lo_u32 v3, v2, s20
	v_sub_u32_e32 v3, v0, v3
	v_add_u32_e32 v5, 1, v2
	v_cmp_le_u32_e32 vcc, s20, v3
	v_cndmask_b32_e32 v2, v2, v5, vcc
	v_subrev_u32_e32 v5, s20, v3
	v_cndmask_b32_e32 v3, v3, v5, vcc
	v_add_u32_e32 v5, 1, v2
	v_cmp_le_u32_e32 vcc, s20, v3
	v_cndmask_b32_e32 v10, v2, v5, vcc
	v_lshlrev_b64 v[2:3], 3, v[10:11]
	v_add_co_u32_e32 v2, vcc, s10, v2
	v_addc_co_u32_e32 v3, vcc, v4, v3, vcc
	global_load_dwordx4 v[2:5], v[2:3], off
	s_waitcnt vmcnt(0)
	v_subrev_co_u32_e32 v8, vcc, s8, v2
	v_subb_co_u32_e32 v9, vcc, v3, v12, vcc
	v_subrev_co_u32_e32 v16, vcc, s8, v4
	v_subb_co_u32_e32 v17, vcc, v5, v12, vcc
	v_sub_co_u32_e32 v3, vcc, v16, v8
	v_subb_co_u32_e32 v13, vcc, v17, v9, vcc
	v_mov_b32_e32 v12, v11
	v_cmp_ne_u64_e32 vcc, 0, v[12:13]
                                        ; implicit-def: $vgpr4_vgpr5
	s_and_saveexec_b64 s[0:1], vcc
	s_xor_b64 s[4:5], exec, s[0:1]
	s_cbranch_execz .LBB77_150
; %bb.149:
	v_cvt_f32_ubyte0_e32 v4, 0
	v_madmk_f32 v4, v4, 0x4f800000, v14
	v_rcp_f32_e32 v4, v4
	s_sub_u32 s0, 0, s20
	s_subb_u32 s1, 0, 0
	v_mul_f32_e32 v4, 0x5f7ffffc, v4
	v_mul_f32_e32 v5, 0x2f800000, v4
	v_trunc_f32_e32 v5, v5
	v_madmk_f32 v4, v5, 0xcf800000, v4
	v_cvt_u32_f32_e32 v5, v5
	v_cvt_u32_f32_e32 v4, v4
	v_mul_lo_u32 v12, s0, v5
	v_mul_hi_u32 v15, s0, v4
	v_mul_lo_u32 v14, s1, v4
	v_add_u32_e32 v12, v15, v12
	v_add_u32_e32 v12, v12, v14
	v_mul_lo_u32 v19, s0, v4
	v_mul_lo_u32 v15, v4, v12
	v_mul_hi_u32 v20, v4, v19
	v_mul_hi_u32 v14, v4, v12
	v_add_co_u32_e32 v15, vcc, v20, v15
	v_addc_co_u32_e32 v14, vcc, 0, v14, vcc
	v_mul_hi_u32 v21, v5, v19
	v_mul_lo_u32 v19, v5, v19
	v_add_co_u32_e32 v15, vcc, v15, v19
	v_mul_hi_u32 v20, v5, v12
	v_addc_co_u32_e32 v14, vcc, v14, v21, vcc
	v_addc_co_u32_e32 v15, vcc, 0, v20, vcc
	v_mul_lo_u32 v12, v5, v12
	v_add_co_u32_e32 v12, vcc, v14, v12
	v_addc_co_u32_e32 v14, vcc, 0, v15, vcc
	v_add_co_u32_e32 v4, vcc, v4, v12
	v_addc_co_u32_e32 v5, vcc, v5, v14, vcc
	v_mul_lo_u32 v12, s0, v5
	v_mul_hi_u32 v14, s0, v4
	v_add_u32_e32 v12, v14, v12
	v_mul_lo_u32 v14, s1, v4
	v_add_u32_e32 v12, v12, v14
	v_mul_lo_u32 v15, s0, v4
	v_mul_hi_u32 v19, v5, v15
	v_mul_lo_u32 v20, v5, v15
	v_mul_lo_u32 v22, v4, v12
	v_mul_hi_u32 v15, v4, v15
	v_mul_hi_u32 v21, v4, v12
	v_add_co_u32_e32 v15, vcc, v15, v22
	v_addc_co_u32_e32 v21, vcc, 0, v21, vcc
	v_add_co_u32_e32 v15, vcc, v15, v20
	v_mul_hi_u32 v14, v5, v12
	v_addc_co_u32_e32 v15, vcc, v21, v19, vcc
	v_addc_co_u32_e32 v14, vcc, 0, v14, vcc
	v_mul_lo_u32 v12, v5, v12
	v_add_co_u32_e32 v12, vcc, v15, v12
	v_addc_co_u32_e32 v14, vcc, 0, v14, vcc
	v_add_co_u32_e32 v12, vcc, v4, v12
	v_addc_co_u32_e32 v14, vcc, v5, v14, vcc
	v_ashrrev_i32_e32 v15, 31, v13
	v_add_co_u32_e32 v3, vcc, v3, v15
	v_addc_co_u32_e32 v4, vcc, v13, v15, vcc
	v_xor_b32_e32 v3, v3, v15
	v_xor_b32_e32 v19, v4, v15
	v_mad_u64_u32 v[4:5], s[0:1], v3, v14, 0
	v_mul_hi_u32 v13, v3, v12
	v_add_co_u32_e32 v20, vcc, v13, v4
	v_addc_co_u32_e32 v21, vcc, 0, v5, vcc
	v_mad_u64_u32 v[12:13], s[0:1], v19, v12, 0
	v_add_co_u32_e32 v12, vcc, v20, v12
	v_mad_u64_u32 v[4:5], s[0:1], v19, v14, 0
	v_addc_co_u32_e32 v12, vcc, v21, v13, vcc
	v_addc_co_u32_e32 v5, vcc, 0, v5, vcc
	v_add_co_u32_e32 v14, vcc, v12, v4
	v_addc_co_u32_e32 v20, vcc, 0, v5, vcc
	v_mad_u64_u32 v[4:5], s[0:1], s20, v14, 0
	v_mov_b32_e32 v12, v5
	v_mad_u64_u32 v[12:13], s[0:1], s20, v20, v[12:13]
	v_sub_co_u32_e32 v3, vcc, v3, v4
	v_subb_co_u32_e32 v4, vcc, v19, v12, vcc
	v_subrev_co_u32_e32 v5, vcc, s20, v3
	v_subbrev_co_u32_e32 v12, vcc, 0, v4, vcc
	v_cmp_le_u32_e32 vcc, s20, v5
	v_cndmask_b32_e64 v5, 0, -1, vcc
	v_cmp_eq_u32_e32 vcc, 0, v12
	v_cndmask_b32_e32 v5, -1, v5, vcc
	v_add_co_u32_e32 v12, vcc, 2, v14
	v_addc_co_u32_e32 v13, vcc, 0, v20, vcc
	v_add_co_u32_e32 v19, vcc, 1, v14
	v_cmp_le_u32_e64 s[0:1], s20, v3
	v_addc_co_u32_e32 v21, vcc, 0, v20, vcc
	v_cndmask_b32_e64 v3, 0, -1, s[0:1]
	v_cmp_eq_u32_e64 s[0:1], 0, v4
	v_cmp_ne_u32_e32 vcc, 0, v5
	v_cndmask_b32_e64 v3, -1, v3, s[0:1]
	v_cmp_ne_u32_e64 s[0:1], 0, v3
	v_cndmask_b32_e32 v4, v19, v12, vcc
	v_cndmask_b32_e32 v5, v21, v13, vcc
	v_cndmask_b32_e64 v4, v14, v4, s[0:1]
	v_cndmask_b32_e64 v3, v20, v5, s[0:1]
	v_xor_b32_e32 v4, v4, v15
	v_xor_b32_e32 v3, v3, v15
	v_sub_co_u32_e32 v4, vcc, v4, v15
	v_subb_co_u32_e32 v5, vcc, v3, v15, vcc
                                        ; implicit-def: $vgpr3
.LBB77_150:
	s_andn2_saveexec_b64 s[0:1], s[4:5]
	s_cbranch_execz .LBB77_152
; %bb.151:
	v_cvt_f32_u32_e32 v4, s20
	v_rcp_iflag_f32_e32 v4, v4
	v_mul_f32_e32 v4, 0x4f7ffffe, v4
	v_cvt_u32_f32_e32 v4, v4
	v_mul_lo_u32 v5, s6, v4
	v_mul_hi_u32 v5, v4, v5
	v_add_u32_e32 v4, v4, v5
	v_mul_hi_u32 v4, v3, v4
	v_mul_lo_u32 v5, v4, s20
	v_sub_u32_e32 v3, v3, v5
	v_add_u32_e32 v12, 1, v4
	v_subrev_u32_e32 v5, s20, v3
	v_cmp_le_u32_e32 vcc, s20, v3
	v_cndmask_b32_e32 v3, v3, v5, vcc
	v_cndmask_b32_e32 v4, v4, v12, vcc
	v_add_u32_e32 v5, 1, v4
	v_cmp_le_u32_e32 vcc, s20, v3
	v_cndmask_b32_e32 v4, v4, v5, vcc
	v_mov_b32_e32 v5, 0
.LBB77_152:
	s_or_b64 exec, exec, s[0:1]
	v_cmp_gt_i64_e32 vcc, s[28:29], v[10:11]
	v_mov_b32_e32 v19, 0
	s_and_saveexec_b64 s[0:1], vcc
	s_cbranch_execz .LBB77_166
; %bb.153:
	s_add_i32 s4, s20, -1
	v_and_b32_e32 v10, s4, v0
	v_cmp_lt_i64_e32 vcc, 0, v[4:5]
	v_mov_b32_e32 v19, 0
	s_and_saveexec_b64 s[4:5], vcc
	s_cbranch_execz .LBB77_163
; %bb.154:
	v_cmp_lt_u64_e32 vcc, 3, v[4:5]
	v_pk_mov_b32 v[12:13], 0, 0
	v_mov_b32_e32 v19, 0
	s_and_saveexec_b64 s[6:7], vcc
	s_cbranch_execz .LBB77_158
; %bb.155:
	s_lshl_b32 s10, s8, 2
	s_lshl_b32 s11, s20, 3
	s_lshl_b32 s9, s20, 2
	v_lshlrev_b32_e32 v3, 2, v2
	s_sub_i32 s17, s11, s10
	s_mul_i32 s11, s20, 12
	v_and_b32_e32 v13, 0x7fffffff, v5
	v_and_b32_e32 v12, -4, v4
	s_sub_i32 s9, s9, s10
	v_lshl_add_u32 v3, v10, 2, v3
	s_lshl_b32 s16, s20, 4
	s_sub_i32 s18, s11, s10
	s_sub_i32 s19, 0, s10
	s_mov_b64 s[10:11], 0
	v_mov_b32_e32 v19, 0
	s_mov_b64 s[12:13], 0
.LBB77_156:                             ; =>This Inner Loop Header: Depth=1
	v_add_u32_e32 v11, s19, v3
	v_add_u32_e32 v14, s9, v3
	;; [unrolled: 1-line block ×4, first 2 shown]
	ds_read_b32 v11, v11
	ds_read_b32 v14, v14
	;; [unrolled: 1-line block ×4, first 2 shown]
	s_add_u32 s12, s12, 4
	s_waitcnt lgkmcnt(3)
	v_add_f32_e32 v11, v19, v11
	s_addc_u32 s13, s13, 0
	s_waitcnt lgkmcnt(2)
	v_add_f32_e32 v11, v11, v14
	v_cmp_eq_u64_e32 vcc, s[12:13], v[12:13]
	s_waitcnt lgkmcnt(1)
	v_add_f32_e32 v11, v11, v15
	v_add_u32_e32 v3, s16, v3
	s_or_b64 s[10:11], vcc, s[10:11]
	s_waitcnt lgkmcnt(0)
	v_add_f32_e32 v19, v11, v20
	s_andn2_b64 exec, exec, s[10:11]
	s_cbranch_execnz .LBB77_156
; %bb.157:
	s_or_b64 exec, exec, s[10:11]
.LBB77_158:
	s_or_b64 exec, exec, s[6:7]
	v_and_b32_e32 v14, 3, v4
	v_mov_b32_e32 v15, 0
	s_mov_b64 s[10:11], 0
	v_cmp_ne_u64_e32 vcc, 0, v[14:15]
	s_and_saveexec_b64 s[6:7], vcc
	s_cbranch_execz .LBB77_162
; %bb.159:
	v_mul_lo_u32 v3, s20, v12
	v_add3_u32 v2, v10, v3, v2
	v_subrev_u32_e32 v2, s8, v2
	v_lshlrev_b32_e32 v2, 2, v2
	s_lshl_b32 s8, s20, 2
.LBB77_160:                             ; =>This Inner Loop Header: Depth=1
	ds_read_b32 v3, v2
	v_add_co_u32_e32 v14, vcc, -1, v14
	v_addc_co_u32_e32 v15, vcc, -1, v15, vcc
	v_cmp_eq_u64_e32 vcc, 0, v[14:15]
	v_add_u32_e32 v2, s8, v2
	s_or_b64 s[10:11], vcc, s[10:11]
	s_waitcnt lgkmcnt(0)
	v_add_f32_e32 v19, v19, v3
	s_andn2_b64 exec, exec, s[10:11]
	s_cbranch_execnz .LBB77_160
; %bb.161:
	s_or_b64 exec, exec, s[10:11]
.LBB77_162:
	s_or_b64 exec, exec, s[6:7]
.LBB77_163:
	s_or_b64 exec, exec, s[4:5]
	v_mad_u64_u32 v[2:3], s[4:5], v4, s20, v[8:9]
	v_mov_b32_e32 v4, v3
	v_mad_u64_u32 v[4:5], s[4:5], v5, s20, v[4:5]
	v_mov_b32_e32 v3, v4
	v_sub_co_u32_e32 v4, vcc, v16, v2
	v_mov_b32_e32 v11, 0
	v_subb_co_u32_e32 v5, vcc, v17, v3, vcc
	v_cmp_gt_i64_e32 vcc, v[4:5], v[10:11]
	s_and_saveexec_b64 s[4:5], vcc
	s_cbranch_execz .LBB77_165
; %bb.164:
	v_add_lshl_u32 v2, v10, v2, 2
	ds_read_b32 v2, v2
	s_waitcnt lgkmcnt(0)
	v_add_f32_e32 v19, v19, v2
.LBB77_165:
	s_or_b64 exec, exec, s[4:5]
.LBB77_166:
	s_or_b64 exec, exec, s[0:1]
	v_cmp_gt_i64_e32 vcc, s[28:29], v[0:1]
	s_barrier
	ds_write_b32 v18, v19
	s_waitcnt lgkmcnt(0)
	s_barrier
	s_and_saveexec_b64 s[0:1], vcc
	s_cbranch_execz .LBB77_176
; %bb.167:
	s_cmp_lt_u32 s20, 8
	v_mul_lo_u32 v1, s20, v0
	s_cbranch_scc1 .LBB77_170
; %bb.168:
	s_and_b32 s0, s20, 0x7ffffff8
	v_lshlrev_b32_e32 v2, 2, v1
	s_mov_b32 s1, 0
	v_mov_b32_e32 v4, 0
.LBB77_169:                             ; =>This Inner Loop Header: Depth=1
	ds_read2_b32 v[8:9], v2 offset1:1
	ds_read2_b32 v[10:11], v2 offset0:2 offset1:3
	ds_read2_b32 v[12:13], v2 offset0:4 offset1:5
	;; [unrolled: 1-line block ×3, first 2 shown]
	s_add_i32 s1, s1, 8
	s_waitcnt lgkmcnt(3)
	v_add_f32_e32 v3, v4, v8
	v_add_f32_e32 v3, v3, v9
	s_waitcnt lgkmcnt(2)
	v_add_f32_e32 v3, v3, v10
	v_add_f32_e32 v3, v3, v11
	;; [unrolled: 3-line block ×3, first 2 shown]
	s_waitcnt lgkmcnt(0)
	v_add_f32_e32 v3, v3, v14
	v_add_u32_e32 v2, 32, v2
	s_cmp_eq_u32 s0, s1
	v_add_f32_e32 v4, v3, v15
	s_cbranch_scc0 .LBB77_169
	s_branch .LBB77_171
.LBB77_170:
	s_mov_b32 s0, 0
	v_mov_b32_e32 v4, 0
.LBB77_171:
	s_bfe_u32 s1, s3, 0x30001
	s_cmp_eq_u32 s1, 0
	s_cbranch_scc1 .LBB77_174
; %bb.172:
	v_add_lshl_u32 v1, s0, v1, 2
.LBB77_173:                             ; =>This Inner Loop Header: Depth=1
	ds_read_b32 v2, v1
	s_add_i32 s1, s1, -1
	v_add_u32_e32 v1, 4, v1
	s_cmp_lg_u32 s1, 0
	s_waitcnt lgkmcnt(0)
	v_add_f32_e32 v4, v4, v2
	s_cbranch_scc1 .LBB77_173
.LBB77_174:
	v_lshlrev_b64 v[2:3], 2, v[6:7]
	v_mov_b32_e32 v1, s15
	v_add_co_u32_e32 v2, vcc, s14, v2
	v_addc_co_u32_e32 v3, vcc, v1, v3, vcc
	global_load_dword v1, v[2:3], off
	s_lshl_b32 s0, s2, 2
	s_addk_i32 s0, 0x1000
	v_lshl_add_u32 v0, v0, 2, s0
	ds_read_b32 v0, v0
	s_mov_b64 s[0:1], 0
	s_waitcnt lgkmcnt(0)
	v_add_f32_e32 v4, v4, v0
.LBB77_175:                             ; =>This Inner Loop Header: Depth=1
	s_waitcnt vmcnt(0)
	v_add_f32_e32 v0, v1, v4
	global_atomic_cmpswap v0, v[2:3], v[0:1], off glc
	s_waitcnt vmcnt(0)
	v_cmp_eq_u32_e32 vcc, v0, v1
	s_or_b64 s[0:1], vcc, s[0:1]
	v_mov_b32_e32 v1, v0
	s_andn2_b64 exec, exec, s[0:1]
	s_cbranch_execnz .LBB77_175
.LBB77_176:
	s_endpgm
	.section	.rodata,"a",@progbits
	.p2align	6, 0x0
	.amdhsa_kernel _ZN9rocsparseL27csrmvn_symm_adaptive_kernelIli18rocsparse_bfloat16S1_ffEEvbT_S2_PKS2_NS_24const_host_device_scalarIT4_EES4_PKT0_PKT1_PKT2_S7_PT3_21rocsparse_index_base_b
		.amdhsa_group_segment_fixed_size 4096
		.amdhsa_private_segment_fixed_size 0
		.amdhsa_kernarg_size 352
		.amdhsa_user_sgpr_count 6
		.amdhsa_user_sgpr_private_segment_buffer 1
		.amdhsa_user_sgpr_dispatch_ptr 0
		.amdhsa_user_sgpr_queue_ptr 0
		.amdhsa_user_sgpr_kernarg_segment_ptr 1
		.amdhsa_user_sgpr_dispatch_id 0
		.amdhsa_user_sgpr_flat_scratch_init 0
		.amdhsa_user_sgpr_kernarg_preload_length 0
		.amdhsa_user_sgpr_kernarg_preload_offset 0
		.amdhsa_user_sgpr_private_segment_size 0
		.amdhsa_uses_dynamic_stack 0
		.amdhsa_system_sgpr_private_segment_wavefront_offset 0
		.amdhsa_system_sgpr_workgroup_id_x 1
		.amdhsa_system_sgpr_workgroup_id_y 0
		.amdhsa_system_sgpr_workgroup_id_z 0
		.amdhsa_system_sgpr_workgroup_info 0
		.amdhsa_system_vgpr_workitem_id 0
		.amdhsa_next_free_vgpr 24
		.amdhsa_next_free_sgpr 52
		.amdhsa_accum_offset 24
		.amdhsa_reserve_vcc 1
		.amdhsa_reserve_flat_scratch 0
		.amdhsa_float_round_mode_32 0
		.amdhsa_float_round_mode_16_64 0
		.amdhsa_float_denorm_mode_32 3
		.amdhsa_float_denorm_mode_16_64 3
		.amdhsa_dx10_clamp 1
		.amdhsa_ieee_mode 1
		.amdhsa_fp16_overflow 0
		.amdhsa_tg_split 0
		.amdhsa_exception_fp_ieee_invalid_op 0
		.amdhsa_exception_fp_denorm_src 0
		.amdhsa_exception_fp_ieee_div_zero 0
		.amdhsa_exception_fp_ieee_overflow 0
		.amdhsa_exception_fp_ieee_underflow 0
		.amdhsa_exception_fp_ieee_inexact 0
		.amdhsa_exception_int_div_zero 0
	.end_amdhsa_kernel
	.section	.text._ZN9rocsparseL27csrmvn_symm_adaptive_kernelIli18rocsparse_bfloat16S1_ffEEvbT_S2_PKS2_NS_24const_host_device_scalarIT4_EES4_PKT0_PKT1_PKT2_S7_PT3_21rocsparse_index_base_b,"axG",@progbits,_ZN9rocsparseL27csrmvn_symm_adaptive_kernelIli18rocsparse_bfloat16S1_ffEEvbT_S2_PKS2_NS_24const_host_device_scalarIT4_EES4_PKT0_PKT1_PKT2_S7_PT3_21rocsparse_index_base_b,comdat
.Lfunc_end77:
	.size	_ZN9rocsparseL27csrmvn_symm_adaptive_kernelIli18rocsparse_bfloat16S1_ffEEvbT_S2_PKS2_NS_24const_host_device_scalarIT4_EES4_PKT0_PKT1_PKT2_S7_PT3_21rocsparse_index_base_b, .Lfunc_end77-_ZN9rocsparseL27csrmvn_symm_adaptive_kernelIli18rocsparse_bfloat16S1_ffEEvbT_S2_PKS2_NS_24const_host_device_scalarIT4_EES4_PKT0_PKT1_PKT2_S7_PT3_21rocsparse_index_base_b
                                        ; -- End function
	.section	.AMDGPU.csdata,"",@progbits
; Kernel info:
; codeLenInByte = 8384
; NumSgprs: 56
; NumVgprs: 24
; NumAgprs: 0
; TotalNumVgprs: 24
; ScratchSize: 0
; MemoryBound: 0
; FloatMode: 240
; IeeeMode: 1
; LDSByteSize: 4096 bytes/workgroup (compile time only)
; SGPRBlocks: 6
; VGPRBlocks: 2
; NumSGPRsForWavesPerEU: 56
; NumVGPRsForWavesPerEU: 24
; AccumOffset: 24
; Occupancy: 8
; WaveLimiterHint : 1
; COMPUTE_PGM_RSRC2:SCRATCH_EN: 0
; COMPUTE_PGM_RSRC2:USER_SGPR: 6
; COMPUTE_PGM_RSRC2:TRAP_HANDLER: 0
; COMPUTE_PGM_RSRC2:TGID_X_EN: 1
; COMPUTE_PGM_RSRC2:TGID_Y_EN: 0
; COMPUTE_PGM_RSRC2:TGID_Z_EN: 0
; COMPUTE_PGM_RSRC2:TIDIG_COMP_CNT: 0
; COMPUTE_PGM_RSRC3_GFX90A:ACCUM_OFFSET: 5
; COMPUTE_PGM_RSRC3_GFX90A:TG_SPLIT: 0
	.section	.text._ZL33csrmvn_symm_large_adaptive_kernelIli18rocsparse_bfloat16S0_ffEvbT_PKS1_N9rocsparse24const_host_device_scalarIT4_EES3_PKT0_PKT1_PKT2_S7_PT3_21rocsparse_index_base_b,"axG",@progbits,_ZL33csrmvn_symm_large_adaptive_kernelIli18rocsparse_bfloat16S0_ffEvbT_PKS1_N9rocsparse24const_host_device_scalarIT4_EES3_PKT0_PKT1_PKT2_S7_PT3_21rocsparse_index_base_b,comdat
	.globl	_ZL33csrmvn_symm_large_adaptive_kernelIli18rocsparse_bfloat16S0_ffEvbT_PKS1_N9rocsparse24const_host_device_scalarIT4_EES3_PKT0_PKT1_PKT2_S7_PT3_21rocsparse_index_base_b ; -- Begin function _ZL33csrmvn_symm_large_adaptive_kernelIli18rocsparse_bfloat16S0_ffEvbT_PKS1_N9rocsparse24const_host_device_scalarIT4_EES3_PKT0_PKT1_PKT2_S7_PT3_21rocsparse_index_base_b
	.p2align	8
	.type	_ZL33csrmvn_symm_large_adaptive_kernelIli18rocsparse_bfloat16S0_ffEvbT_PKS1_N9rocsparse24const_host_device_scalarIT4_EES3_PKT0_PKT1_PKT2_S7_PT3_21rocsparse_index_base_b,@function
_ZL33csrmvn_symm_large_adaptive_kernelIli18rocsparse_bfloat16S0_ffEvbT_PKS1_N9rocsparse24const_host_device_scalarIT4_EES3_PKT0_PKT1_PKT2_S7_PT3_21rocsparse_index_base_b: ; @_ZL33csrmvn_symm_large_adaptive_kernelIli18rocsparse_bfloat16S0_ffEvbT_PKS1_N9rocsparse24const_host_device_scalarIT4_EES3_PKT0_PKT1_PKT2_S7_PT3_21rocsparse_index_base_b
; %bb.0:
	s_load_dwordx2 s[24:25], s[4:5], 0x50
	s_load_dwordx2 s[26:27], s[4:5], 0x18
	;; [unrolled: 1-line block ×3, first 2 shown]
	s_waitcnt lgkmcnt(0)
	s_bitcmp1_b32 s25, 0
	s_cselect_b64 s[8:9], -1, 0
	s_xor_b64 s[2:3], s[8:9], -1
	s_and_b64 vcc, exec, s[8:9]
	s_cbranch_vccnz .LBB78_2
; %bb.1:
	s_load_dword s26, s[26:27], 0x0
.LBB78_2:
	s_andn2_b64 vcc, exec, s[2:3]
	s_cbranch_vccnz .LBB78_4
; %bb.3:
	s_load_dword s0, s[0:1], 0x0
.LBB78_4:
	s_waitcnt lgkmcnt(0)
	v_cmp_neq_f32_e64 s[2:3], s26, 0
	v_cmp_neq_f32_e64 s[0:1], s0, 1.0
	s_or_b64 s[0:1], s[2:3], s[0:1]
	s_andn2_b64 vcc, exec, s[0:1]
	s_mov_b32 s25, 0
	s_cbranch_vccnz .LBB78_38
; %bb.5:
	s_load_dwordx2 s[0:1], s[4:5], 0x10
	s_ashr_i32 s7, s6, 31
	s_lshl_b64 s[2:3], s[6:7], 3
	v_lshlrev_b32_e32 v8, 2, v0
	v_mov_b32_e32 v1, 0
	s_waitcnt lgkmcnt(0)
	s_add_u32 s0, s0, s2
	s_addc_u32 s1, s1, s3
	ds_write2st64_b32 v8, v1, v1 offset1:4
	ds_write2st64_b32 v8, v1, v1 offset0:8 offset1:12
	s_waitcnt lgkmcnt(0)
	s_barrier
	s_load_dwordx4 s[20:23], s[0:1], 0x0
	s_load_dwordx8 s[12:19], s[4:5], 0x20
	s_load_dwordx2 s[28:29], s[4:5], 0x48
	v_subrev_co_u32_e64 v9, s[0:1], s24, v0
	s_waitcnt lgkmcnt(0)
	v_pk_mov_b32 v[2:3], s[22:23], s[22:23] op_sel:[0,1]
	v_cmp_lt_i64_e32 vcc, s[20:21], v[2:3]
	v_subb_co_u32_e64 v10, s[0:1], 0, 0, s[0:1]
	s_cbranch_vccnz .LBB78_7
; %bb.6:
	s_lshl_b64 s[0:1], s[20:21], 3
	s_add_u32 s0, s12, s0
	s_addc_u32 s1, s13, s1
	s_load_dwordx2 s[30:31], s[0:1], 0x0
	s_cbranch_execz .LBB78_8
	s_branch .LBB78_28
.LBB78_7:
                                        ; implicit-def: $sgpr30_sgpr31
.LBB78_8:
	s_lshl_b64 s[10:11], s[20:21], 3
	s_add_u32 s10, s12, s10
	s_addc_u32 s11, s13, s11
	s_waitcnt lgkmcnt(0)
	s_load_dwordx2 s[30:31], s[10:11], 0x0
	s_movk_i32 s27, 0x100
	s_add_u32 s33, s12, 8
	v_cmp_gt_u32_e64 s[0:1], s27, v0
	v_cmp_gt_u32_e64 s[2:3], 64, v0
	;; [unrolled: 1-line block ×4, first 2 shown]
	v_cmp_eq_u32_e64 s[8:9], 0, v0
	s_addc_u32 s44, s13, 0
	v_mov_b32_e32 v11, s19
	v_mov_b32_e32 v12, 0
	v_pk_mov_b32 v[0:1], s[22:23], s[22:23] op_sel:[0,1]
	s_waitcnt lgkmcnt(0)
	s_mov_b64 s[36:37], s[30:31]
	s_mov_b64 s[34:35], s[20:21]
	s_branch .LBB78_10
.LBB78_9:                               ;   in Loop: Header=BB78_10 Depth=1
	s_or_b64 exec, exec, s[10:11]
	s_add_u32 s34, s34, 1
	s_addc_u32 s35, s35, 0
	v_cmp_ge_i64_e32 vcc, s[34:35], v[0:1]
	s_cbranch_vccnz .LBB78_28
.LBB78_10:                              ; =>This Loop Header: Depth=1
                                        ;     Child Loop BB78_12 Depth 2
                                        ;     Child Loop BB78_27 Depth 2
	s_mov_b64 s[10:11], s[36:37]
	s_lshl_b64 s[36:37], s[34:35], 3
	s_add_u32 s36, s33, s36
	s_addc_u32 s37, s44, s37
	s_load_dwordx2 s[36:37], s[36:37], 0x0
	v_mov_b32_e32 v3, s11
	v_add_co_u32_e32 v2, vcc, s10, v9
	v_addc_co_u32_e32 v3, vcc, v3, v10, vcc
	s_waitcnt lgkmcnt(0)
	s_sub_u32 s38, s36, s24
	s_subb_u32 s39, s37, 0
	v_cmp_gt_i64_e32 vcc, s[38:39], v[2:3]
	v_mov_b32_e32 v13, 0
	s_and_saveexec_b64 s[40:41], vcc
	s_cbranch_execz .LBB78_14
; %bb.11:                               ;   in Loop: Header=BB78_10 Depth=1
	v_lshlrev_b64 v[4:5], 2, v[2:3]
	v_mov_b32_e32 v6, s15
	v_add_co_u32_e32 v4, vcc, s14, v4
	v_addc_co_u32_e32 v5, vcc, v6, v5, vcc
	v_lshlrev_b64 v[6:7], 1, v[2:3]
	v_mov_b32_e32 v13, s17
	v_add_co_u32_e32 v6, vcc, s16, v6
	v_addc_co_u32_e32 v7, vcc, v13, v7, vcc
	s_mov_b64 s[42:43], 0
	v_mov_b32_e32 v13, 0
.LBB78_12:                              ;   Parent Loop BB78_10 Depth=1
                                        ; =>  This Inner Loop Header: Depth=2
	global_load_dword v14, v[4:5], off
	global_load_ushort v16, v[6:7], off
	s_waitcnt vmcnt(1)
	v_subrev_u32_e32 v14, s24, v14
	v_ashrrev_i32_e32 v15, 31, v14
	v_lshlrev_b64 v[14:15], 1, v[14:15]
	v_add_co_u32_e32 v14, vcc, s18, v14
	v_addc_co_u32_e32 v15, vcc, v11, v15, vcc
	global_load_ushort v14, v[14:15], off
	v_add_co_u32_e32 v2, vcc, s27, v2
	v_addc_co_u32_e32 v3, vcc, 0, v3, vcc
	v_add_co_u32_e32 v4, vcc, 0x400, v4
	v_addc_co_u32_e32 v5, vcc, 0, v5, vcc
	v_add_co_u32_e32 v6, vcc, 0x200, v6
	v_cmp_le_i64_e64 s[10:11], s[38:39], v[2:3]
	s_waitcnt vmcnt(1)
	v_lshlrev_b32_e32 v15, 16, v16
	v_addc_co_u32_e32 v7, vcc, 0, v7, vcc
	s_or_b64 s[42:43], s[10:11], s[42:43]
	s_waitcnt vmcnt(0)
	v_lshlrev_b32_e32 v14, 16, v14
	v_fmac_f32_e32 v13, v15, v14
	s_andn2_b64 exec, exec, s[42:43]
	s_cbranch_execnz .LBB78_12
; %bb.13:                               ;   in Loop: Header=BB78_10 Depth=1
	s_or_b64 exec, exec, s[42:43]
.LBB78_14:                              ;   in Loop: Header=BB78_10 Depth=1
	s_or_b64 exec, exec, s[40:41]
	ds_write_b32 v8, v13
	s_waitcnt lgkmcnt(0)
	s_barrier
	s_and_saveexec_b64 s[10:11], s[0:1]
	s_cbranch_execz .LBB78_16
; %bb.15:                               ;   in Loop: Header=BB78_10 Depth=1
	ds_read2st64_b32 v[2:3], v8 offset1:4
	ds_read2st64_b32 v[4:5], v8 offset0:8 offset1:12
	s_waitcnt lgkmcnt(0)
	v_add_f32_e32 v3, v3, v4
	v_add_f32_e32 v3, v3, v5
	;; [unrolled: 1-line block ×3, first 2 shown]
	ds_write_b32 v8, v2
.LBB78_16:                              ;   in Loop: Header=BB78_10 Depth=1
	s_or_b64 exec, exec, s[10:11]
	s_waitcnt lgkmcnt(0)
	s_barrier
	s_and_saveexec_b64 s[10:11], s[2:3]
	s_cbranch_execz .LBB78_18
; %bb.17:                               ;   in Loop: Header=BB78_10 Depth=1
	ds_read2st64_b32 v[2:3], v8 offset1:1
	ds_read2st64_b32 v[4:5], v8 offset0:2 offset1:3
	s_waitcnt lgkmcnt(0)
	v_add_f32_e32 v3, v3, v4
	v_add_f32_e32 v3, v3, v5
	;; [unrolled: 1-line block ×3, first 2 shown]
	ds_write_b32 v8, v2
.LBB78_18:                              ;   in Loop: Header=BB78_10 Depth=1
	s_or_b64 exec, exec, s[10:11]
	s_waitcnt lgkmcnt(0)
	s_barrier
	s_and_saveexec_b64 s[10:11], s[4:5]
	s_cbranch_execz .LBB78_20
; %bb.19:                               ;   in Loop: Header=BB78_10 Depth=1
	ds_read2_b32 v[2:3], v8 offset1:16
	ds_read2_b32 v[4:5], v8 offset0:32 offset1:48
	s_waitcnt lgkmcnt(0)
	v_add_f32_e32 v3, v3, v4
	v_add_f32_e32 v3, v3, v5
	;; [unrolled: 1-line block ×3, first 2 shown]
	ds_write_b32 v8, v2
.LBB78_20:                              ;   in Loop: Header=BB78_10 Depth=1
	s_or_b64 exec, exec, s[10:11]
	s_waitcnt lgkmcnt(0)
	s_barrier
	s_and_saveexec_b64 s[10:11], s[6:7]
	s_cbranch_execz .LBB78_22
; %bb.21:                               ;   in Loop: Header=BB78_10 Depth=1
	ds_read2_b32 v[2:3], v8 offset1:4
	ds_read2_b32 v[4:5], v8 offset0:8 offset1:12
	s_waitcnt lgkmcnt(0)
	v_add_f32_e32 v3, v3, v4
	v_add_f32_e32 v3, v3, v5
	;; [unrolled: 1-line block ×3, first 2 shown]
	ds_write_b32 v8, v2
.LBB78_22:                              ;   in Loop: Header=BB78_10 Depth=1
	s_or_b64 exec, exec, s[10:11]
	s_waitcnt lgkmcnt(0)
	s_barrier
	s_and_saveexec_b64 s[10:11], s[8:9]
	s_cbranch_execz .LBB78_24
; %bb.23:                               ;   in Loop: Header=BB78_10 Depth=1
	ds_read2_b32 v[2:3], v12 offset0:1 offset1:2
	ds_read_b32 v4, v12 offset:12
	ds_read_b32 v5, v8
	s_waitcnt lgkmcnt(2)
	v_add_f32_e32 v2, v2, v3
	s_waitcnt lgkmcnt(1)
	v_add_f32_e32 v2, v2, v4
	;; [unrolled: 2-line block ×3, first 2 shown]
	ds_write_b32 v8, v2
.LBB78_24:                              ;   in Loop: Header=BB78_10 Depth=1
	s_or_b64 exec, exec, s[10:11]
	s_waitcnt lgkmcnt(0)
	s_barrier
	s_and_saveexec_b64 s[10:11], s[8:9]
	s_cbranch_execz .LBB78_9
; %bb.25:                               ;   in Loop: Header=BB78_10 Depth=1
	s_mov_b64 s[40:41], exec
	v_mbcnt_lo_u32_b32 v2, s40, 0
	v_mbcnt_hi_u32_b32 v2, s41, v2
	v_cmp_eq_u32_e32 vcc, 0, v2
	s_and_b64 s[38:39], exec, vcc
	s_mov_b64 exec, s[38:39]
	s_cbranch_execz .LBB78_9
; %bb.26:                               ;   in Loop: Header=BB78_10 Depth=1
	s_lshl_b64 s[38:39], s[34:35], 2
	s_add_u32 s38, s28, s38
	s_addc_u32 s39, s29, s39
	global_load_dword v3, v12, s[38:39]
	ds_read_b32 v2, v12
	s_bcnt1_i32_b64 s40, s[40:41]
	v_cvt_f32_ubyte0_e32 v4, s40
	s_mov_b64 s[40:41], 0
	s_waitcnt lgkmcnt(0)
	v_mul_f32_e32 v2, s26, v2
	v_mul_f32_e32 v4, v2, v4
.LBB78_27:                              ;   Parent Loop BB78_10 Depth=1
                                        ; =>  This Inner Loop Header: Depth=2
	s_waitcnt vmcnt(0)
	v_add_f32_e32 v2, v3, v4
	global_atomic_cmpswap v2, v12, v[2:3], s[38:39] glc
	s_waitcnt vmcnt(0)
	v_cmp_eq_u32_e32 vcc, v2, v3
	s_or_b64 s[40:41], vcc, s[40:41]
	v_mov_b32_e32 v3, v2
	s_andn2_b64 exec, exec, s[40:41]
	s_cbranch_execnz .LBB78_27
	s_branch .LBB78_9
.LBB78_28:
	s_lshl_b64 s[0:1], s[22:23], 3
	s_add_u32 s0, s12, s0
	s_addc_u32 s1, s13, s1
	s_load_dwordx2 s[0:1], s[0:1], 0x0
	s_waitcnt lgkmcnt(0)
	v_mov_b32_e32 v1, s31
	v_add_co_u32_e32 v0, vcc, s30, v9
	v_addc_co_u32_e32 v1, vcc, v1, v10, vcc
	s_sub_u32 s4, s0, s24
	s_subb_u32 s5, s1, 0
	v_cmp_gt_i64_e32 vcc, s[4:5], v[0:1]
	s_and_saveexec_b64 s[0:1], vcc
	s_cbranch_execz .LBB78_38
; %bb.29:
	s_add_u32 s6, s22, -1
	s_addc_u32 s7, s23, -1
	s_add_u32 s0, s22, -2
	s_addc_u32 s1, s23, -1
	v_pk_mov_b32 v[2:3], s[20:21], s[20:21] op_sel:[0,1]
	s_cmp_lg_u64 s[0:1], s[20:21]
	v_cmp_gt_i64_e32 vcc, s[6:7], v[2:3]
	s_cselect_b64 s[0:1], -1, 0
	s_and_b64 s[0:1], vcc, s[0:1]
	v_cndmask_b32_e64 v2, 0, 1, s[0:1]
	s_mov_b64 s[8:9], 0
	v_cmp_ne_u32_e64 s[0:1], 1, v2
	v_mov_b32_e32 v8, s13
	v_mov_b32_e32 v9, s25
	;; [unrolled: 1-line block ×3, first 2 shown]
	s_branch .LBB78_31
.LBB78_30:                              ;   in Loop: Header=BB78_31 Depth=1
	s_or_b64 exec, exec, s[2:3]
	v_add_co_u32_e32 v0, vcc, 0x100, v0
	v_addc_co_u32_e32 v1, vcc, 0, v1, vcc
	v_cmp_le_i64_e32 vcc, s[4:5], v[0:1]
	s_or_b64 s[8:9], vcc, s[8:9]
	s_andn2_b64 exec, exec, s[8:9]
	s_cbranch_execz .LBB78_38
.LBB78_31:                              ; =>This Loop Header: Depth=1
                                        ;     Child Loop BB78_33 Depth 2
                                        ;     Child Loop BB78_37 Depth 2
	s_and_b64 vcc, exec, s[0:1]
	v_pk_mov_b32 v[2:3], s[20:21], s[20:21] op_sel:[0,1]
	v_pk_mov_b32 v[4:5], s[6:7], s[6:7] op_sel:[0,1]
	s_cbranch_vccnz .LBB78_35
; %bb.32:                               ;   in Loop: Header=BB78_31 Depth=1
	s_mov_b64 s[10:11], 0
	v_pk_mov_b32 v[2:3], s[20:21], s[20:21] op_sel:[0,1]
	v_pk_mov_b32 v[4:5], s[6:7], s[6:7] op_sel:[0,1]
.LBB78_33:                              ;   Parent Loop BB78_31 Depth=1
                                        ; =>  This Inner Loop Header: Depth=2
	v_add_co_u32_e32 v6, vcc, v4, v2
	v_addc_co_u32_e32 v7, vcc, v5, v3, vcc
	v_lshrrev_b32_e32 v12, 31, v7
	v_add_co_u32_e32 v6, vcc, v6, v12
	v_addc_co_u32_e32 v7, vcc, 0, v7, vcc
	v_ashrrev_i64 v[6:7], 1, v[6:7]
	v_lshlrev_b64 v[12:13], 3, v[6:7]
	v_mov_b32_e32 v11, s13
	v_add_co_u32_e32 v12, vcc, s12, v12
	v_addc_co_u32_e32 v13, vcc, v11, v13, vcc
	global_load_dwordx2 v[12:13], v[12:13], off
	v_mov_b32_e32 v11, s25
	s_waitcnt vmcnt(0)
	v_subrev_co_u32_e32 v12, vcc, s24, v12
	v_subb_co_u32_e32 v13, vcc, v13, v11, vcc
	v_cmp_gt_i64_e32 vcc, v[12:13], v[0:1]
	v_cndmask_b32_e32 v4, v4, v6, vcc
	v_cndmask_b32_e32 v5, v5, v7, vcc
	;; [unrolled: 1-line block ×3, first 2 shown]
	v_add_co_u32_e64 v6, s[2:3], -1, v4
	v_cndmask_b32_e32 v3, v7, v3, vcc
	v_addc_co_u32_e64 v7, s[2:3], -1, v5, s[2:3]
	v_cmp_ge_i64_e32 vcc, v[2:3], v[4:5]
	v_cmp_eq_u64_e64 s[2:3], v[2:3], v[6:7]
	s_or_b64 s[2:3], vcc, s[2:3]
	s_and_b64 s[2:3], exec, s[2:3]
	s_or_b64 s[10:11], s[2:3], s[10:11]
	s_andn2_b64 exec, exec, s[10:11]
	s_cbranch_execnz .LBB78_33
; %bb.34:                               ;   in Loop: Header=BB78_31 Depth=1
	s_or_b64 exec, exec, s[10:11]
.LBB78_35:                              ;   in Loop: Header=BB78_31 Depth=1
	v_lshlrev_b64 v[6:7], 3, v[4:5]
	v_add_co_u32_e32 v6, vcc, s12, v6
	v_addc_co_u32_e32 v7, vcc, v8, v7, vcc
	v_lshlrev_b64 v[12:13], 2, v[0:1]
	global_load_dwordx2 v[6:7], v[6:7], off
	v_add_co_u32_e32 v12, vcc, s14, v12
	v_addc_co_u32_e32 v13, vcc, v10, v13, vcc
	global_load_dword v11, v[12:13], off
	s_waitcnt vmcnt(1)
	v_subrev_co_u32_e32 v12, vcc, s24, v6
	v_subb_co_u32_e32 v13, vcc, v7, v9, vcc
	v_cmp_gt_i64_e32 vcc, v[12:13], v[0:1]
	s_waitcnt vmcnt(0)
	v_subrev_u32_e32 v6, s24, v11
	v_cndmask_b32_e32 v3, v5, v3, vcc
	v_cndmask_b32_e32 v2, v4, v2, vcc
	v_ashrrev_i32_e32 v7, 31, v6
	v_cmp_ne_u64_e32 vcc, v[2:3], v[6:7]
	s_and_saveexec_b64 s[2:3], vcc
	s_cbranch_execz .LBB78_30
; %bb.36:                               ;   in Loop: Header=BB78_31 Depth=1
	v_lshlrev_b64 v[4:5], 2, v[6:7]
	v_lshlrev_b64 v[6:7], 1, v[0:1]
	v_mov_b32_e32 v12, s17
	v_add_co_u32_e32 v6, vcc, s16, v6
	v_addc_co_u32_e32 v7, vcc, v12, v7, vcc
	v_lshlrev_b64 v[2:3], 1, v[2:3]
	global_load_ushort v6, v[6:7], off
	v_mov_b32_e32 v7, s19
	v_add_co_u32_e32 v2, vcc, s18, v2
	v_addc_co_u32_e32 v3, vcc, v7, v3, vcc
	v_mov_b32_e32 v11, s29
	global_load_ushort v7, v[2:3], off
	v_add_co_u32_e32 v2, vcc, s28, v4
	v_addc_co_u32_e32 v3, vcc, v11, v5, vcc
	global_load_dword v5, v[2:3], off
	s_mov_b64 s[10:11], 0
	s_waitcnt vmcnt(2)
	v_lshlrev_b32_e32 v4, 16, v6
	v_mul_f32_e32 v4, s26, v4
	s_waitcnt vmcnt(1)
	v_lshlrev_b32_e32 v6, 16, v7
	v_mul_f32_e32 v6, v4, v6
.LBB78_37:                              ;   Parent Loop BB78_31 Depth=1
                                        ; =>  This Inner Loop Header: Depth=2
	s_waitcnt vmcnt(0)
	v_add_f32_e32 v4, v5, v6
	global_atomic_cmpswap v4, v[2:3], v[4:5], off glc
	s_waitcnt vmcnt(0)
	v_cmp_eq_u32_e32 vcc, v4, v5
	s_or_b64 s[10:11], vcc, s[10:11]
	v_mov_b32_e32 v5, v4
	s_andn2_b64 exec, exec, s[10:11]
	s_cbranch_execnz .LBB78_37
	s_branch .LBB78_30
.LBB78_38:
	s_endpgm
	.section	.rodata,"a",@progbits
	.p2align	6, 0x0
	.amdhsa_kernel _ZL33csrmvn_symm_large_adaptive_kernelIli18rocsparse_bfloat16S0_ffEvbT_PKS1_N9rocsparse24const_host_device_scalarIT4_EES3_PKT0_PKT1_PKT2_S7_PT3_21rocsparse_index_base_b
		.amdhsa_group_segment_fixed_size 4096
		.amdhsa_private_segment_fixed_size 0
		.amdhsa_kernarg_size 88
		.amdhsa_user_sgpr_count 6
		.amdhsa_user_sgpr_private_segment_buffer 1
		.amdhsa_user_sgpr_dispatch_ptr 0
		.amdhsa_user_sgpr_queue_ptr 0
		.amdhsa_user_sgpr_kernarg_segment_ptr 1
		.amdhsa_user_sgpr_dispatch_id 0
		.amdhsa_user_sgpr_flat_scratch_init 0
		.amdhsa_user_sgpr_kernarg_preload_length 0
		.amdhsa_user_sgpr_kernarg_preload_offset 0
		.amdhsa_user_sgpr_private_segment_size 0
		.amdhsa_uses_dynamic_stack 0
		.amdhsa_system_sgpr_private_segment_wavefront_offset 0
		.amdhsa_system_sgpr_workgroup_id_x 1
		.amdhsa_system_sgpr_workgroup_id_y 0
		.amdhsa_system_sgpr_workgroup_id_z 0
		.amdhsa_system_sgpr_workgroup_info 0
		.amdhsa_system_vgpr_workitem_id 0
		.amdhsa_next_free_vgpr 17
		.amdhsa_next_free_sgpr 45
		.amdhsa_accum_offset 20
		.amdhsa_reserve_vcc 1
		.amdhsa_reserve_flat_scratch 0
		.amdhsa_float_round_mode_32 0
		.amdhsa_float_round_mode_16_64 0
		.amdhsa_float_denorm_mode_32 3
		.amdhsa_float_denorm_mode_16_64 3
		.amdhsa_dx10_clamp 1
		.amdhsa_ieee_mode 1
		.amdhsa_fp16_overflow 0
		.amdhsa_tg_split 0
		.amdhsa_exception_fp_ieee_invalid_op 0
		.amdhsa_exception_fp_denorm_src 0
		.amdhsa_exception_fp_ieee_div_zero 0
		.amdhsa_exception_fp_ieee_overflow 0
		.amdhsa_exception_fp_ieee_underflow 0
		.amdhsa_exception_fp_ieee_inexact 0
		.amdhsa_exception_int_div_zero 0
	.end_amdhsa_kernel
	.section	.text._ZL33csrmvn_symm_large_adaptive_kernelIli18rocsparse_bfloat16S0_ffEvbT_PKS1_N9rocsparse24const_host_device_scalarIT4_EES3_PKT0_PKT1_PKT2_S7_PT3_21rocsparse_index_base_b,"axG",@progbits,_ZL33csrmvn_symm_large_adaptive_kernelIli18rocsparse_bfloat16S0_ffEvbT_PKS1_N9rocsparse24const_host_device_scalarIT4_EES3_PKT0_PKT1_PKT2_S7_PT3_21rocsparse_index_base_b,comdat
.Lfunc_end78:
	.size	_ZL33csrmvn_symm_large_adaptive_kernelIli18rocsparse_bfloat16S0_ffEvbT_PKS1_N9rocsparse24const_host_device_scalarIT4_EES3_PKT0_PKT1_PKT2_S7_PT3_21rocsparse_index_base_b, .Lfunc_end78-_ZL33csrmvn_symm_large_adaptive_kernelIli18rocsparse_bfloat16S0_ffEvbT_PKS1_N9rocsparse24const_host_device_scalarIT4_EES3_PKT0_PKT1_PKT2_S7_PT3_21rocsparse_index_base_b
                                        ; -- End function
	.section	.AMDGPU.csdata,"",@progbits
; Kernel info:
; codeLenInByte = 1708
; NumSgprs: 49
; NumVgprs: 17
; NumAgprs: 0
; TotalNumVgprs: 17
; ScratchSize: 0
; MemoryBound: 0
; FloatMode: 240
; IeeeMode: 1
; LDSByteSize: 4096 bytes/workgroup (compile time only)
; SGPRBlocks: 6
; VGPRBlocks: 2
; NumSGPRsForWavesPerEU: 49
; NumVGPRsForWavesPerEU: 17
; AccumOffset: 20
; Occupancy: 8
; WaveLimiterHint : 1
; COMPUTE_PGM_RSRC2:SCRATCH_EN: 0
; COMPUTE_PGM_RSRC2:USER_SGPR: 6
; COMPUTE_PGM_RSRC2:TRAP_HANDLER: 0
; COMPUTE_PGM_RSRC2:TGID_X_EN: 1
; COMPUTE_PGM_RSRC2:TGID_Y_EN: 0
; COMPUTE_PGM_RSRC2:TGID_Z_EN: 0
; COMPUTE_PGM_RSRC2:TIDIG_COMP_CNT: 0
; COMPUTE_PGM_RSRC3_GFX90A:ACCUM_OFFSET: 4
; COMPUTE_PGM_RSRC3_GFX90A:TG_SPLIT: 0
	.section	.text._ZN9rocsparseL22csrmvn_adaptive_kernelIll18rocsparse_bfloat16S1_ffEEvbT_PKS2_PjPKT0_NS_24const_host_device_scalarIT4_EES4_S8_PKT1_PKT2_SB_PT3_21rocsparse_index_base_b,"axG",@progbits,_ZN9rocsparseL22csrmvn_adaptive_kernelIll18rocsparse_bfloat16S1_ffEEvbT_PKS2_PjPKT0_NS_24const_host_device_scalarIT4_EES4_S8_PKT1_PKT2_SB_PT3_21rocsparse_index_base_b,comdat
	.globl	_ZN9rocsparseL22csrmvn_adaptive_kernelIll18rocsparse_bfloat16S1_ffEEvbT_PKS2_PjPKT0_NS_24const_host_device_scalarIT4_EES4_S8_PKT1_PKT2_SB_PT3_21rocsparse_index_base_b ; -- Begin function _ZN9rocsparseL22csrmvn_adaptive_kernelIll18rocsparse_bfloat16S1_ffEEvbT_PKS2_PjPKT0_NS_24const_host_device_scalarIT4_EES4_S8_PKT1_PKT2_SB_PT3_21rocsparse_index_base_b
	.p2align	8
	.type	_ZN9rocsparseL22csrmvn_adaptive_kernelIll18rocsparse_bfloat16S1_ffEEvbT_PKS2_PjPKT0_NS_24const_host_device_scalarIT4_EES4_S8_PKT1_PKT2_SB_PT3_21rocsparse_index_base_b,@function
_ZN9rocsparseL22csrmvn_adaptive_kernelIll18rocsparse_bfloat16S1_ffEEvbT_PKS2_PjPKT0_NS_24const_host_device_scalarIT4_EES4_S8_PKT1_PKT2_SB_PT3_21rocsparse_index_base_b: ; @_ZN9rocsparseL22csrmvn_adaptive_kernelIll18rocsparse_bfloat16S1_ffEEvbT_PKS2_PjPKT0_NS_24const_host_device_scalarIT4_EES4_S8_PKT1_PKT2_SB_PT3_21rocsparse_index_base_b
; %bb.0:
	s_load_dwordx2 s[50:51], s[4:5], 0x60
	s_load_dwordx2 s[48:49], s[4:5], 0x28
	;; [unrolled: 1-line block ×3, first 2 shown]
	s_waitcnt lgkmcnt(0)
	s_bitcmp1_b32 s51, 0
	s_cselect_b64 s[2:3], -1, 0
	s_xor_b64 s[0:1], s[2:3], -1
	s_and_b64 vcc, exec, s[2:3]
	s_cbranch_vccnz .LBB79_2
; %bb.1:
	s_load_dword s48, s[48:49], 0x0
.LBB79_2:
	s_andn2_b64 vcc, exec, s[0:1]
	s_cbranch_vccnz .LBB79_4
; %bb.3:
	s_load_dword s34, s[34:35], 0x0
.LBB79_4:
	s_waitcnt lgkmcnt(0)
	v_cmp_neq_f32_e64 s[0:1], s48, 0
	v_cmp_neq_f32_e64 s[2:3], s34, 1.0
	s_or_b64 s[0:1], s[0:1], s[2:3]
	s_andn2_b64 vcc, exec, s[0:1]
	s_cbranch_vccnz .LBB79_116
; %bb.5:
	s_load_dwordx2 s[0:1], s[4:5], 0x10
	s_load_dwordx2 s[2:3], s[4:5], 0x20
	s_ashr_i32 s7, s6, 31
	s_lshl_b64 s[8:9], s[6:7], 3
	s_waitcnt lgkmcnt(0)
	s_add_u32 s0, s0, s8
	s_addc_u32 s1, s1, s9
	s_load_dwordx4 s[36:39], s[0:1], 0x0
	s_load_dwordx2 s[40:41], s[4:5], 0x58
	s_load_dwordx8 s[24:31], s[4:5], 0x30
	s_waitcnt lgkmcnt(0)
	s_sub_u32 s0, s38, s36
	s_subb_u32 s1, s39, s37
	s_add_u32 s2, s2, s8
	s_addc_u32 s3, s3, s9
	s_lshl_b64 s[8:9], s[36:37], 3
	s_add_u32 s46, s24, s8
	s_addc_u32 s47, s25, s9
	s_load_dwordx2 s[42:43], s[2:3], 0x0
	s_load_dwordx2 s[44:45], s[46:47], 0x0
	v_cmp_lt_i64_e64 s[8:9], s[0:1], 2
	s_mov_b64 s[2:3], -1
	s_and_b64 vcc, exec, s[8:9]
	s_cbranch_vccz .LBB79_72
; %bb.6:
	s_cmp_lg_u64 s[0:1], 1
	s_cselect_b64 s[0:1], -1, 0
	s_waitcnt lgkmcnt(0)
	s_cmp_lg_u64 s[42:43], 0
	s_cselect_b64 s[2:3], -1, 0
	s_or_b64 s[2:3], s[0:1], s[2:3]
	s_mov_b64 s[0:1], -1
	s_and_b64 vcc, exec, s[2:3]
	s_cbranch_vccnz .LBB79_35
; %bb.7:
	v_pk_mov_b32 v[2:3], s[36:37], s[36:37] op_sel:[0,1]
	v_cmp_le_i64_e32 vcc, s[38:39], v[2:3]
	s_cbranch_vccnz .LBB79_34
; %bb.8:
	s_mov_b32 s20, 0
	v_subrev_co_u32_e32 v1, vcc, s50, v0
	v_subb_co_u32_e64 v10, s[0:1], 0, 0, vcc
	v_mov_b32_e32 v12, s20
	v_cmp_neq_f32_e64 s[20:21], s34, 0
	s_movk_i32 s0, 0x80
	s_add_u32 s33, s24, 8
	v_cndmask_b32_e64 v4, 0, 1, s[20:21]
	v_lshlrev_b32_e32 v11, 2, v0
	v_cmp_gt_u32_e64 s[0:1], s0, v0
	v_cmp_gt_u32_e64 s[2:3], 64, v0
	v_cmp_gt_u32_e64 s[8:9], 32, v0
	v_cmp_gt_u32_e64 s[10:11], 16, v0
	v_cmp_gt_u32_e64 s[12:13], 8, v0
	v_cmp_gt_u32_e64 s[14:15], 4, v0
	v_cmp_gt_u32_e64 s[16:17], 2, v0
	v_cmp_eq_u32_e64 s[18:19], 0, v0
	s_addc_u32 s35, s25, 0
	v_mov_b32_e32 v13, s31
	s_movk_i32 s49, 0x100
	v_mov_b32_e32 v14, 0
	v_pk_mov_b32 v[2:3], s[38:39], s[38:39] op_sel:[0,1]
	v_cmp_ne_u32_e64 s[20:21], 1, v4
	s_mov_b64 s[54:55], s[44:45]
	s_mov_b64 s[52:53], s[36:37]
	s_branch .LBB79_11
.LBB79_9:                               ;   in Loop: Header=BB79_11 Depth=1
	s_lshl_b64 s[56:57], s[52:53], 2
	s_add_u32 s56, s40, s56
	s_addc_u32 s57, s41, s57
	s_waitcnt lgkmcnt(0)
	global_store_dword v14, v4, s[56:57]
.LBB79_10:                              ;   in Loop: Header=BB79_11 Depth=1
	s_or_b64 exec, exec, s[22:23]
	s_add_u32 s52, s52, 1
	s_addc_u32 s53, s53, 0
	v_cmp_ge_i64_e32 vcc, s[52:53], v[2:3]
	s_cbranch_vccnz .LBB79_34
.LBB79_11:                              ; =>This Loop Header: Depth=1
                                        ;     Child Loop BB79_13 Depth 2
	s_mov_b64 s[22:23], s[54:55]
	s_lshl_b64 s[54:55], s[52:53], 3
	s_add_u32 s54, s33, s54
	s_addc_u32 s55, s35, s55
	s_load_dwordx2 s[54:55], s[54:55], 0x0
	v_mov_b32_e32 v5, s23
	v_add_co_u32_e32 v4, vcc, s22, v1
	v_addc_co_u32_e32 v5, vcc, v5, v10, vcc
	s_waitcnt lgkmcnt(0)
	s_sub_u32 s56, s54, s50
	s_subb_u32 s57, s55, 0
	v_cmp_gt_i64_e32 vcc, s[56:57], v[4:5]
	v_mov_b32_e32 v15, 0
	s_and_saveexec_b64 s[58:59], vcc
	s_cbranch_execz .LBB79_15
; %bb.12:                               ;   in Loop: Header=BB79_11 Depth=1
	v_lshlrev_b64 v[6:7], 1, v[4:5]
	v_mov_b32_e32 v8, s29
	v_add_co_u32_e32 v6, vcc, s28, v6
	v_addc_co_u32_e32 v7, vcc, v8, v7, vcc
	v_lshlrev_b64 v[8:9], 3, v[4:5]
	v_mov_b32_e32 v15, s27
	v_add_co_u32_e32 v8, vcc, s26, v8
	v_addc_co_u32_e32 v9, vcc, v15, v9, vcc
	s_mov_b64 s[60:61], 0
	v_mov_b32_e32 v15, 0
.LBB79_13:                              ;   Parent Loop BB79_11 Depth=1
                                        ; =>  This Inner Loop Header: Depth=2
	global_load_dwordx2 v[16:17], v[8:9], off
	global_load_ushort v18, v[6:7], off
	s_waitcnt vmcnt(1)
	v_subrev_co_u32_e32 v16, vcc, s50, v16
	v_subb_co_u32_e32 v17, vcc, v17, v12, vcc
	v_lshlrev_b64 v[16:17], 1, v[16:17]
	v_add_co_u32_e32 v16, vcc, s30, v16
	v_addc_co_u32_e32 v17, vcc, v13, v17, vcc
	global_load_ushort v16, v[16:17], off
	v_add_co_u32_e32 v4, vcc, s49, v4
	v_addc_co_u32_e32 v5, vcc, 0, v5, vcc
	v_add_co_u32_e32 v6, vcc, 0x200, v6
	v_addc_co_u32_e32 v7, vcc, 0, v7, vcc
	s_waitcnt vmcnt(1)
	v_lshlrev_b32_e32 v17, 16, v18
	v_add_co_u32_e32 v8, vcc, 0x800, v8
	v_cmp_le_i64_e64 s[22:23], s[56:57], v[4:5]
	v_mul_f32_e32 v17, s48, v17
	v_addc_co_u32_e32 v9, vcc, 0, v9, vcc
	s_or_b64 s[60:61], s[22:23], s[60:61]
	s_waitcnt vmcnt(0)
	v_lshlrev_b32_e32 v16, 16, v16
	v_fmac_f32_e32 v15, v17, v16
	s_andn2_b64 exec, exec, s[60:61]
	s_cbranch_execnz .LBB79_13
; %bb.14:                               ;   in Loop: Header=BB79_11 Depth=1
	s_or_b64 exec, exec, s[60:61]
.LBB79_15:                              ;   in Loop: Header=BB79_11 Depth=1
	s_or_b64 exec, exec, s[58:59]
	ds_write_b32 v11, v15
	s_waitcnt lgkmcnt(0)
	s_barrier
	s_and_saveexec_b64 s[22:23], s[0:1]
	s_cbranch_execz .LBB79_17
; %bb.16:                               ;   in Loop: Header=BB79_11 Depth=1
	ds_read2st64_b32 v[4:5], v11 offset1:2
	s_waitcnt lgkmcnt(0)
	v_add_f32_e32 v4, v4, v5
	ds_write_b32 v11, v4
.LBB79_17:                              ;   in Loop: Header=BB79_11 Depth=1
	s_or_b64 exec, exec, s[22:23]
	s_waitcnt lgkmcnt(0)
	s_barrier
	s_and_saveexec_b64 s[22:23], s[2:3]
	s_cbranch_execz .LBB79_19
; %bb.18:                               ;   in Loop: Header=BB79_11 Depth=1
	ds_read2st64_b32 v[4:5], v11 offset1:1
	s_waitcnt lgkmcnt(0)
	v_add_f32_e32 v4, v4, v5
	ds_write_b32 v11, v4
.LBB79_19:                              ;   in Loop: Header=BB79_11 Depth=1
	s_or_b64 exec, exec, s[22:23]
	s_waitcnt lgkmcnt(0)
	s_barrier
	s_and_saveexec_b64 s[22:23], s[8:9]
	s_cbranch_execz .LBB79_21
; %bb.20:                               ;   in Loop: Header=BB79_11 Depth=1
	ds_read2_b32 v[4:5], v11 offset1:32
	s_waitcnt lgkmcnt(0)
	v_add_f32_e32 v4, v4, v5
	ds_write_b32 v11, v4
.LBB79_21:                              ;   in Loop: Header=BB79_11 Depth=1
	s_or_b64 exec, exec, s[22:23]
	s_waitcnt lgkmcnt(0)
	s_barrier
	s_and_saveexec_b64 s[22:23], s[10:11]
	s_cbranch_execz .LBB79_23
; %bb.22:                               ;   in Loop: Header=BB79_11 Depth=1
	ds_read2_b32 v[4:5], v11 offset1:16
	s_waitcnt lgkmcnt(0)
	v_add_f32_e32 v4, v4, v5
	ds_write_b32 v11, v4
.LBB79_23:                              ;   in Loop: Header=BB79_11 Depth=1
	;; [unrolled: 11-line block ×5, first 2 shown]
	s_or_b64 exec, exec, s[22:23]
	s_waitcnt lgkmcnt(0)
	s_barrier
	s_and_saveexec_b64 s[22:23], s[18:19]
	s_cbranch_execz .LBB79_31
; %bb.30:                               ;   in Loop: Header=BB79_11 Depth=1
	ds_read_b64 v[4:5], v14
	s_waitcnt lgkmcnt(0)
	v_add_f32_e32 v4, v4, v5
	ds_write_b32 v14, v4
.LBB79_31:                              ;   in Loop: Header=BB79_11 Depth=1
	s_or_b64 exec, exec, s[22:23]
	s_waitcnt lgkmcnt(0)
	s_barrier
	s_and_saveexec_b64 s[22:23], s[18:19]
	s_cbranch_execz .LBB79_10
; %bb.32:                               ;   in Loop: Header=BB79_11 Depth=1
	ds_read_b32 v4, v14
	s_and_b64 vcc, exec, s[20:21]
	s_cbranch_vccnz .LBB79_9
; %bb.33:                               ;   in Loop: Header=BB79_11 Depth=1
	s_lshl_b64 s[56:57], s[52:53], 2
	s_add_u32 s56, s40, s56
	s_addc_u32 s57, s41, s57
	global_load_dword v5, v14, s[56:57]
	s_waitcnt vmcnt(0) lgkmcnt(0)
	v_fmac_f32_e32 v4, s34, v5
	s_branch .LBB79_9
.LBB79_34:
	s_mov_b64 s[0:1], 0
.LBB79_35:
	s_andn2_b64 vcc, exec, s[0:1]
	s_cbranch_vccnz .LBB79_71
; %bb.36:
	s_load_dwordx2 s[8:9], s[4:5], 0x18
	s_sub_u32 s10, s6, s42
	s_subb_u32 s11, s7, s43
	s_lshl_b64 s[0:1], s[6:7], 2
	s_mov_b32 s21, 0
	s_waitcnt lgkmcnt(0)
	s_add_u32 s6, s8, s0
	s_addc_u32 s7, s9, s1
	s_load_dword s20, s[6:7], 0x0
	s_cmp_eq_u64 s[42:43], 0
	s_cselect_b64 s[2:3], -1, 0
	s_cmp_lg_u64 s[42:43], 0
	v_cmp_eq_u32_e64 s[0:1], 0, v0
	s_cselect_b64 s[12:13], -1, 0
	s_and_b64 s[14:15], s[0:1], s[2:3]
	v_mov_b32_e32 v1, 0
	s_and_saveexec_b64 s[2:3], s[14:15]
	s_cbranch_execz .LBB79_40
; %bb.37:
	s_lshl_b64 s[16:17], s[36:37], 2
	s_add_u32 s16, s40, s16
	s_addc_u32 s17, s41, s17
	s_load_dword s18, s[16:17], 0x0
	s_mov_b64 s[14:15], exec
	v_mbcnt_lo_u32_b32 v2, s14, 0
	v_mbcnt_hi_u32_b32 v2, s15, v2
	v_add_f32_e64 v1, s34, -1.0
	v_cmp_eq_u32_e32 vcc, 0, v2
	s_waitcnt vmcnt(0) expcnt(0) lgkmcnt(0)
	s_and_saveexec_b64 s[16:17], vcc
	s_cbranch_execz .LBB79_39
; %bb.38:
	s_lshl_b64 s[22:23], s[10:11], 2
	s_add_u32 s22, s8, s22
	s_addc_u32 s23, s9, s23
	s_bcnt1_i32_b64 s14, s[14:15]
	s_and_b32 s14, s14, 1
	v_mov_b32_e32 v2, 0
	v_mov_b32_e32 v3, s14
	global_atomic_xor v2, v3, s[22:23]
.LBB79_39:
	s_or_b64 exec, exec, s[16:17]
	v_mul_f32_e32 v1, s18, v1
.LBB79_40:
	s_or_b64 exec, exec, s[2:3]
	s_mul_i32 s2, s43, 0xc00
	s_mul_hi_u32 s3, s42, 0xc00
	s_add_i32 s14, s3, s2
	s_load_dwordx2 s[2:3], s[46:47], 0x8
	s_sub_u32 s16, s44, s50
	s_mul_i32 s15, s42, 0xc00
	s_subb_u32 s17, s45, 0
	s_add_u32 s16, s16, s15
	s_addc_u32 s17, s17, s14
	s_waitcnt lgkmcnt(0)
	s_sub_u32 s2, s2, s50
	v_mov_b32_e32 v3, s17
	v_add_co_u32_e32 v2, vcc, s16, v0
	s_subb_u32 s3, s3, 0
	v_addc_co_u32_e32 v3, vcc, 0, v3, vcc
	v_cmp_gt_i64_e32 vcc, s[2:3], v[2:3]
	s_and_saveexec_b64 s[14:15], vcc
	s_cbranch_execz .LBB79_44
; %bb.41:
	s_add_u32 s16, s16, 0xc00
	s_addc_u32 s17, s17, 0
	v_pk_mov_b32 v[4:5], s[2:3], s[2:3] op_sel:[0,1]
	v_cmp_lt_i64_e32 vcc, s[16:17], v[4:5]
	v_lshlrev_b64 v[4:5], 1, v[2:3]
	s_and_b64 s[18:19], vcc, exec
	v_mov_b32_e32 v6, s29
	v_add_co_u32_e32 v4, vcc, s28, v4
	v_addc_co_u32_e32 v5, vcc, v6, v5, vcc
	v_lshlrev_b64 v[6:7], 3, v[2:3]
	v_mov_b32_e32 v8, s27
	v_add_co_u32_e32 v6, vcc, s26, v6
	s_cselect_b32 s17, s17, s3
	s_cselect_b32 s16, s16, s2
	v_addc_co_u32_e32 v7, vcc, v8, v7, vcc
	s_mov_b64 s[18:19], 0
	v_mov_b32_e32 v8, s21
	v_mov_b32_e32 v9, s31
	s_movk_i32 s21, 0x100
.LBB79_42:                              ; =>This Inner Loop Header: Depth=1
	global_load_dwordx2 v[10:11], v[6:7], off
	global_load_ushort v12, v[4:5], off
	s_waitcnt vmcnt(1)
	v_subrev_co_u32_e32 v10, vcc, s50, v10
	v_subb_co_u32_e32 v11, vcc, v11, v8, vcc
	v_lshlrev_b64 v[10:11], 1, v[10:11]
	v_add_co_u32_e32 v10, vcc, s30, v10
	v_addc_co_u32_e32 v11, vcc, v9, v11, vcc
	global_load_ushort v10, v[10:11], off
	v_add_co_u32_e32 v2, vcc, s21, v2
	v_addc_co_u32_e32 v3, vcc, 0, v3, vcc
	v_add_co_u32_e32 v4, vcc, 0x200, v4
	v_addc_co_u32_e32 v5, vcc, 0, v5, vcc
	s_waitcnt vmcnt(1)
	v_lshlrev_b32_e32 v11, 16, v12
	v_add_co_u32_e32 v6, vcc, 0x800, v6
	v_cmp_le_i64_e64 s[2:3], s[16:17], v[2:3]
	v_mul_f32_e32 v11, s48, v11
	v_addc_co_u32_e32 v7, vcc, 0, v7, vcc
	s_or_b64 s[18:19], s[2:3], s[18:19]
	s_waitcnt vmcnt(0)
	v_lshlrev_b32_e32 v10, 16, v10
	v_fmac_f32_e32 v1, v11, v10
	s_andn2_b64 exec, exec, s[18:19]
	s_cbranch_execnz .LBB79_42
; %bb.43:
	s_or_b64 exec, exec, s[18:19]
.LBB79_44:
	s_or_b64 exec, exec, s[14:15]
	s_movk_i32 s2, 0x80
	v_lshlrev_b32_e32 v2, 2, v0
	v_cmp_gt_u32_e32 vcc, s2, v0
	ds_write_b32 v2, v1
	s_waitcnt lgkmcnt(0)
	s_barrier
	s_and_saveexec_b64 s[2:3], vcc
	s_cbranch_execz .LBB79_46
; %bb.45:
	ds_read2st64_b32 v[4:5], v2 offset1:2
	s_waitcnt lgkmcnt(0)
	v_add_f32_e32 v1, v4, v5
	ds_write_b32 v2, v1
.LBB79_46:
	s_or_b64 exec, exec, s[2:3]
	v_cmp_gt_u32_e32 vcc, 64, v0
	s_waitcnt lgkmcnt(0)
	s_barrier
	s_and_saveexec_b64 s[2:3], vcc
	s_cbranch_execz .LBB79_48
; %bb.47:
	ds_read2st64_b32 v[4:5], v2 offset1:1
	s_waitcnt lgkmcnt(0)
	v_add_f32_e32 v1, v4, v5
	ds_write_b32 v2, v1
.LBB79_48:
	s_or_b64 exec, exec, s[2:3]
	v_cmp_gt_u32_e32 vcc, 32, v0
	s_waitcnt lgkmcnt(0)
	s_barrier
	s_and_saveexec_b64 s[2:3], vcc
	s_cbranch_execz .LBB79_50
; %bb.49:
	ds_read2_b32 v[4:5], v2 offset1:32
	s_waitcnt lgkmcnt(0)
	v_add_f32_e32 v1, v4, v5
	ds_write_b32 v2, v1
.LBB79_50:
	s_or_b64 exec, exec, s[2:3]
	v_cmp_gt_u32_e32 vcc, 16, v0
	s_waitcnt lgkmcnt(0)
	s_barrier
	s_and_saveexec_b64 s[2:3], vcc
	s_cbranch_execz .LBB79_52
; %bb.51:
	ds_read2_b32 v[4:5], v2 offset1:16
	s_waitcnt lgkmcnt(0)
	v_add_f32_e32 v1, v4, v5
	ds_write_b32 v2, v1
.LBB79_52:
	;; [unrolled: 12-line block ×5, first 2 shown]
	s_or_b64 exec, exec, s[2:3]
	s_waitcnt lgkmcnt(0)
	s_barrier
	s_and_saveexec_b64 s[2:3], s[0:1]
	s_cbranch_execz .LBB79_60
; %bb.59:
	v_mov_b32_e32 v1, 0
	ds_read_b64 v[2:3], v1
	s_waitcnt lgkmcnt(0)
	v_add_f32_e32 v2, v2, v3
	ds_write_b32 v1, v2
.LBB79_60:
	s_or_b64 exec, exec, s[2:3]
	s_waitcnt lgkmcnt(0)
	s_barrier
	s_and_saveexec_b64 s[2:3], s[0:1]
	s_cbranch_execz .LBB79_70
; %bb.61:
	s_andn2_b64 vcc, exec, s[12:13]
	s_cbranch_vccnz .LBB79_67
; %bb.62:
	s_lshl_b64 s[0:1], s[10:11], 2
	s_add_u32 s0, s8, s0
	s_addc_u32 s1, s9, s1
	v_mov_b32_e32 v1, 0
	s_branch .LBB79_64
.LBB79_63:                              ;   in Loop: Header=BB79_64 Depth=1
	s_or_b64 exec, exec, s[8:9]
	s_waitcnt vmcnt(0)
	v_readfirstlane_b32 s8, v2
	s_cmp_eq_u32 s8, s20
	s_cbranch_scc0 .LBB79_66
.LBB79_64:                              ; =>This Inner Loop Header: Depth=1
	v_mbcnt_lo_u32_b32 v2, exec_lo, 0
	v_mbcnt_hi_u32_b32 v2, exec_hi, v2
	v_cmp_eq_u32_e32 vcc, 0, v2
                                        ; implicit-def: $vgpr2
	s_and_saveexec_b64 s[8:9], vcc
	s_cbranch_execz .LBB79_63
; %bb.65:                               ;   in Loop: Header=BB79_64 Depth=1
	global_load_dword v2, v1, s[0:1] glc
	s_branch .LBB79_63
.LBB79_66:
	v_mov_b32_e32 v1, 0
	global_load_dword v2, v1, s[6:7]
	s_waitcnt vmcnt(0)
	v_xor_b32_e32 v2, 1, v2
	global_store_dword v1, v2, s[6:7]
.LBB79_67:
	s_mov_b64 s[6:7], exec
	v_mbcnt_lo_u32_b32 v1, s6, 0
	v_mbcnt_hi_u32_b32 v1, s7, v1
	v_cmp_eq_u32_e32 vcc, 0, v1
	s_and_b64 s[0:1], exec, vcc
	s_mov_b64 exec, s[0:1]
	s_cbranch_execz .LBB79_70
; %bb.68:
	s_lshl_b64 s[0:1], s[36:37], 2
	s_add_u32 s0, s40, s0
	s_addc_u32 s1, s41, s1
	v_mov_b32_e32 v1, 0
	global_load_dword v3, v1, s[0:1]
	ds_read_b32 v2, v1
	s_bcnt1_i32_b64 s6, s[6:7]
	v_cvt_f32_ubyte0_e32 v4, s6
	s_mov_b64 s[6:7], 0
	s_waitcnt lgkmcnt(0)
	v_mul_f32_e32 v4, v2, v4
.LBB79_69:                              ; =>This Inner Loop Header: Depth=1
	s_waitcnt vmcnt(0)
	v_add_f32_e32 v2, v3, v4
	global_atomic_cmpswap v2, v1, v[2:3], s[0:1] glc
	s_waitcnt vmcnt(0)
	v_cmp_eq_u32_e32 vcc, v2, v3
	s_or_b64 s[6:7], vcc, s[6:7]
	v_mov_b32_e32 v3, v2
	s_andn2_b64 exec, exec, s[6:7]
	s_cbranch_execnz .LBB79_69
.LBB79_70:
	s_or_b64 exec, exec, s[2:3]
.LBB79_71:
	s_mov_b64 s[2:3], 0
.LBB79_72:
	s_andn2_b64 vcc, exec, s[2:3]
	s_cbranch_vccnz .LBB79_116
; %bb.73:
	s_load_dwordx2 s[0:1], s[4:5], 0x8
	v_subrev_co_u32_e32 v1, vcc, s50, v0
	v_subb_co_u32_e64 v3, s[2:3], 0, 0, vcc
	s_waitcnt lgkmcnt(0)
	v_mov_b32_e32 v4, s45
	v_add_co_u32_e32 v2, vcc, s44, v1
	v_addc_co_u32_e32 v3, vcc, v4, v3, vcc
	v_add_co_u32_e32 v4, vcc, 0x300, v2
	v_addc_co_u32_e32 v5, vcc, 0, v3, vcc
	s_mov_b32 s10, 0
	v_cmp_le_i64_e32 vcc, s[0:1], v[4:5]
	s_and_saveexec_b64 s[0:1], vcc
	s_xor_b64 s[2:3], exec, s[0:1]
	s_cbranch_execz .LBB79_78
; %bb.74:
	s_lshl_b64 s[0:1], s[38:39], 3
	s_add_u32 s0, s24, s0
	s_addc_u32 s1, s25, s1
	s_load_dwordx2 s[0:1], s[0:1], 0x0
	s_waitcnt lgkmcnt(0)
	s_sub_u32 s4, s0, s50
	s_subb_u32 s5, s1, 0
	v_cmp_gt_i64_e32 vcc, s[4:5], v[2:3]
	s_and_saveexec_b64 s[6:7], vcc
	s_cbranch_execz .LBB79_77
; %bb.75:
	v_lshlrev_b64 v[4:5], 1, v[2:3]
	v_mov_b32_e32 v6, s29
	v_add_co_u32_e32 v4, vcc, s28, v4
	v_addc_co_u32_e32 v5, vcc, v6, v5, vcc
	v_lshlrev_b64 v[6:7], 3, v[2:3]
	v_mov_b32_e32 v8, s27
	v_add_co_u32_e32 v6, vcc, s26, v6
	v_lshlrev_b32_e32 v1, 2, v0
	v_addc_co_u32_e32 v7, vcc, v8, v7, vcc
	s_mov_b64 s[8:9], 0
	v_mov_b32_e32 v8, s10
	v_mov_b32_e32 v9, s31
	s_movk_i32 s11, 0x100
.LBB79_76:                              ; =>This Inner Loop Header: Depth=1
	global_load_dwordx2 v[10:11], v[6:7], off
	global_load_ushort v12, v[4:5], off
	s_waitcnt vmcnt(1)
	v_subrev_co_u32_e32 v10, vcc, s50, v10
	v_subb_co_u32_e32 v11, vcc, v11, v8, vcc
	v_lshlrev_b64 v[10:11], 1, v[10:11]
	v_add_co_u32_e32 v10, vcc, s30, v10
	v_addc_co_u32_e32 v11, vcc, v9, v11, vcc
	global_load_ushort v10, v[10:11], off
	v_add_co_u32_e32 v2, vcc, s11, v2
	v_addc_co_u32_e32 v3, vcc, 0, v3, vcc
	v_add_co_u32_e32 v4, vcc, 0x200, v4
	s_waitcnt vmcnt(1)
	v_lshlrev_b32_e32 v11, 16, v12
	v_addc_co_u32_e32 v5, vcc, 0, v5, vcc
	v_mul_f32_e32 v11, s48, v11
	v_add_co_u32_e32 v6, vcc, 0x800, v6
	v_cmp_le_i64_e64 s[0:1], s[4:5], v[2:3]
	v_addc_co_u32_e32 v7, vcc, 0, v7, vcc
	s_or_b64 s[8:9], s[0:1], s[8:9]
	s_waitcnt vmcnt(0)
	v_lshlrev_b32_e32 v10, 16, v10
	v_mul_f32_e32 v10, v11, v10
	ds_write_b32 v1, v10
	v_add_u32_e32 v1, 0x400, v1
	s_andn2_b64 exec, exec, s[8:9]
	s_cbranch_execnz .LBB79_76
.LBB79_77:
	s_or_b64 exec, exec, s[6:7]
                                        ; implicit-def: $vgpr2_vgpr3
.LBB79_78:
	s_or_saveexec_b64 s[0:1], s[2:3]
	v_lshlrev_b32_e32 v10, 2, v0
	s_xor_b64 exec, exec, s[0:1]
	s_cbranch_execz .LBB79_80
; %bb.79:
	v_lshlrev_b64 v[4:5], 3, v[2:3]
	v_mov_b32_e32 v1, s27
	v_add_co_u32_e32 v4, vcc, s26, v4
	v_addc_co_u32_e32 v5, vcc, v1, v5, vcc
	global_load_dwordx2 v[6:7], v[4:5], off
	global_load_dwordx2 v[8:9], v[4:5], off offset:2048
	s_movk_i32 s2, 0x1000
	v_add_co_u32_e32 v4, vcc, s2, v4
	v_addc_co_u32_e32 v5, vcc, 0, v5, vcc
	global_load_dwordx2 v[12:13], v[4:5], off
	global_load_dwordx2 v[14:15], v[4:5], off offset:2048
	v_lshlrev_b64 v[2:3], 1, v[2:3]
	v_mov_b32_e32 v1, s29
	v_add_co_u32_e32 v2, vcc, s28, v2
	v_addc_co_u32_e32 v3, vcc, v1, v3, vcc
	v_mov_b32_e32 v11, s10
	global_load_ushort v1, v[2:3], off
	global_load_ushort v17, v[2:3], off offset:512
	global_load_ushort v18, v[2:3], off offset:1024
	;; [unrolled: 1-line block ×3, first 2 shown]
	v_mov_b32_e32 v16, s31
	s_waitcnt vmcnt(7)
	v_subrev_co_u32_e32 v2, vcc, s50, v6
	v_subb_co_u32_e32 v3, vcc, v7, v11, vcc
	s_waitcnt vmcnt(6)
	v_subrev_co_u32_e32 v4, vcc, s50, v8
	v_subb_co_u32_e32 v5, vcc, v9, v11, vcc
	;; [unrolled: 3-line block ×3, first 2 shown]
	s_waitcnt vmcnt(4)
	v_subrev_co_u32_e32 v8, vcc, s50, v14
	v_lshlrev_b64 v[2:3], 1, v[2:3]
	v_subb_co_u32_e32 v9, vcc, v15, v11, vcc
	v_add_co_u32_e32 v2, vcc, s30, v2
	v_lshlrev_b64 v[4:5], 1, v[4:5]
	v_addc_co_u32_e32 v3, vcc, v16, v3, vcc
	v_add_co_u32_e32 v4, vcc, s30, v4
	v_addc_co_u32_e32 v5, vcc, v16, v5, vcc
	v_lshlrev_b64 v[6:7], 1, v[6:7]
	global_load_ushort v11, v[2:3], off
	global_load_ushort v12, v[4:5], off
	v_add_co_u32_e32 v2, vcc, s30, v6
	v_lshlrev_b64 v[8:9], 1, v[8:9]
	v_addc_co_u32_e32 v3, vcc, v16, v7, vcc
	v_add_co_u32_e32 v4, vcc, s30, v8
	v_addc_co_u32_e32 v5, vcc, v16, v9, vcc
	global_load_ushort v6, v[2:3], off
	global_load_ushort v7, v[4:5], off
	s_waitcnt vmcnt(7)
	v_lshlrev_b32_e32 v1, 16, v1
	s_waitcnt vmcnt(6)
	v_lshlrev_b32_e32 v2, 16, v17
	;; [unrolled: 2-line block ×4, first 2 shown]
	v_mul_f32_e32 v1, s48, v1
	v_mul_f32_e32 v2, s48, v2
	;; [unrolled: 1-line block ×4, first 2 shown]
	s_waitcnt vmcnt(3)
	v_lshlrev_b32_e32 v5, 16, v11
	s_waitcnt vmcnt(2)
	v_lshlrev_b32_e32 v8, 16, v12
	v_mul_f32_e32 v1, v1, v5
	v_mul_f32_e32 v2, v2, v8
	ds_write2st64_b32 v10, v1, v2 offset1:4
	s_waitcnt vmcnt(1)
	v_lshlrev_b32_e32 v5, 16, v6
	s_waitcnt vmcnt(0)
	v_lshlrev_b32_e32 v6, 16, v7
	v_mul_f32_e32 v1, v3, v5
	v_mul_f32_e32 v2, v4, v6
	ds_write2st64_b32 v10, v1, v2 offset0:8 offset1:12
.LBB79_80:
	s_or_b64 exec, exec, s[0:1]
	v_cmp_lt_i64_e64 s[2:3], s[42:43], 2
	s_mov_b64 s[0:1], -1
	s_and_b64 vcc, exec, s[2:3]
	s_waitcnt lgkmcnt(0)
	s_barrier
	s_cbranch_vccz .LBB79_91
; %bb.81:
	v_mov_b32_e32 v1, s37
	v_add_co_u32_e32 v6, vcc, s36, v0
	v_addc_co_u32_e32 v7, vcc, 0, v1, vcc
	v_cmp_gt_i64_e32 vcc, s[38:39], v[6:7]
	s_and_saveexec_b64 s[0:1], vcc
	s_cbranch_execz .LBB79_90
; %bb.82:
	s_lshl_b32 s4, s44, 2
	v_cmp_neq_f32_e64 s[2:3], s34, 0
	s_sub_i32 s10, 0, s4
	s_mov_b64 s[4:5], 0
	v_mov_b32_e32 v1, s25
	v_mov_b32_e32 v11, s41
	s_branch .LBB79_84
.LBB79_83:                              ;   in Loop: Header=BB79_84 Depth=1
	v_add_co_u32_e32 v2, vcc, s40, v2
	v_addc_co_u32_e32 v3, vcc, v11, v3, vcc
	v_add_co_u32_e32 v6, vcc, 0x100, v6
	v_addc_co_u32_e32 v7, vcc, 0, v7, vcc
	v_cmp_le_i64_e32 vcc, s[38:39], v[6:7]
	s_or_b64 s[4:5], vcc, s[4:5]
	global_store_dword v[2:3], v12, off
	s_andn2_b64 exec, exec, s[4:5]
	s_cbranch_execz .LBB79_90
.LBB79_84:                              ; =>This Loop Header: Depth=1
                                        ;     Child Loop BB79_86 Depth 2
	v_lshlrev_b64 v[2:3], 3, v[6:7]
	v_add_co_u32_e32 v2, vcc, s24, v2
	v_addc_co_u32_e32 v3, vcc, v1, v3, vcc
	global_load_dwordx4 v[2:5], v[2:3], off
	v_mov_b32_e32 v12, 0
	s_waitcnt vmcnt(0)
	v_cmp_lt_i64_e32 vcc, v[2:3], v[4:5]
	s_and_saveexec_b64 s[6:7], vcc
	s_cbranch_execz .LBB79_88
; %bb.85:                               ;   in Loop: Header=BB79_84 Depth=1
	v_mov_b32_e32 v9, s45
	v_subrev_co_u32_e32 v4, vcc, s44, v4
	v_subb_co_u32_e32 v5, vcc, v5, v9, vcc
	v_subrev_co_u32_e32 v8, vcc, s44, v2
	v_subb_co_u32_e32 v9, vcc, v3, v9, vcc
	v_lshl_add_u32 v2, v2, 2, s10
	s_mov_b64 s[8:9], 0
	v_mov_b32_e32 v12, 0
.LBB79_86:                              ;   Parent Loop BB79_84 Depth=1
                                        ; =>  This Inner Loop Header: Depth=2
	ds_read_b32 v3, v2
	v_add_co_u32_e32 v8, vcc, 1, v8
	v_addc_co_u32_e32 v9, vcc, 0, v9, vcc
	v_cmp_ge_i64_e32 vcc, v[8:9], v[4:5]
	v_add_u32_e32 v2, 4, v2
	s_or_b64 s[8:9], vcc, s[8:9]
	s_waitcnt lgkmcnt(0)
	v_add_f32_e32 v12, v12, v3
	s_andn2_b64 exec, exec, s[8:9]
	s_cbranch_execnz .LBB79_86
; %bb.87:                               ;   in Loop: Header=BB79_84 Depth=1
	s_or_b64 exec, exec, s[8:9]
.LBB79_88:                              ;   in Loop: Header=BB79_84 Depth=1
	s_or_b64 exec, exec, s[6:7]
	s_and_b64 vcc, exec, s[2:3]
	v_lshlrev_b64 v[2:3], 2, v[6:7]
	s_cbranch_vccz .LBB79_83
; %bb.89:                               ;   in Loop: Header=BB79_84 Depth=1
	v_mov_b32_e32 v5, s41
	v_add_co_u32_e32 v4, vcc, s40, v2
	v_addc_co_u32_e32 v5, vcc, v5, v3, vcc
	global_load_dword v4, v[4:5], off
	s_waitcnt vmcnt(0)
	v_fmac_f32_e32 v12, s34, v4
	s_branch .LBB79_83
.LBB79_90:
	s_or_b64 exec, exec, s[0:1]
	s_mov_b64 s[0:1], 0
.LBB79_91:
	s_andn2_b64 vcc, exec, s[0:1]
	s_cbranch_vccnz .LBB79_116
; %bb.92:
	s_flbit_i32_b32 s0, s42
	s_min_u32 s0, s0, 32
	s_sub_i32 s0, 31, s0
	v_lshrrev_b32_e32 v4, s0, v0
	v_mov_b32_e32 v1, s37
	v_add_co_u32_e32 v2, vcc, s36, v4
	v_addc_co_u32_e32 v3, vcc, 0, v1, vcc
	s_add_i32 s0, s42, -1
	v_mov_b32_e32 v8, 0
	v_and_b32_e64 v1, s0, 0
	v_and_b32_e32 v0, s0, v0
	v_cmp_le_i64_e64 s[0:1], s[38:39], v[2:3]
	v_cmp_gt_i64_e32 vcc, s[38:39], v[2:3]
	s_and_saveexec_b64 s[2:3], vcc
	s_cbranch_execz .LBB79_98
; %bb.93:
	v_lshlrev_b32_e32 v4, 3, v4
	global_load_dwordx4 v[6:9], v4, s[46:47]
	v_mov_b32_e32 v5, s45
	v_subrev_co_u32_e32 v11, vcc, s44, v0
	v_subb_co_u32_e32 v12, vcc, v1, v5, vcc
	s_waitcnt vmcnt(0)
	v_subrev_co_u32_e32 v4, vcc, s44, v8
	v_subb_co_u32_e32 v5, vcc, v9, v5, vcc
	v_add_co_u32_e32 v6, vcc, v6, v11
	v_addc_co_u32_e32 v7, vcc, v7, v12, vcc
	v_cmp_lt_i64_e32 vcc, v[6:7], v[4:5]
	v_mov_b32_e32 v8, 0
	s_and_saveexec_b64 s[4:5], vcc
	s_cbranch_execz .LBB79_97
; %bb.94:
	v_lshlrev_b32_e32 v9, 2, v6
	s_lshl_b32 s8, s42, 2
	s_mov_b64 s[6:7], 0
	v_mov_b32_e32 v8, 0
	v_mov_b32_e32 v11, s43
.LBB79_95:                              ; =>This Inner Loop Header: Depth=1
	ds_read_b32 v12, v9
	v_add_co_u32_e32 v6, vcc, s42, v6
	v_addc_co_u32_e32 v7, vcc, v7, v11, vcc
	v_cmp_ge_i64_e32 vcc, v[6:7], v[4:5]
	v_add_u32_e32 v9, s8, v9
	s_or_b64 s[6:7], vcc, s[6:7]
	s_waitcnt lgkmcnt(0)
	v_add_f32_e32 v8, v8, v12
	s_andn2_b64 exec, exec, s[6:7]
	s_cbranch_execnz .LBB79_95
; %bb.96:
	s_or_b64 exec, exec, s[6:7]
.LBB79_97:
	s_or_b64 exec, exec, s[4:5]
.LBB79_98:
	s_or_b64 exec, exec, s[2:3]
	v_mov_b32_e32 v4, 0x81
	v_mov_b32_e32 v5, 0
	v_cmp_lt_i64_e32 vcc, s[42:43], v[4:5]
	s_and_b64 vcc, exec, vcc
	s_barrier
	ds_write_b32 v10, v8
	s_waitcnt lgkmcnt(0)
	s_barrier
	s_cbranch_vccnz .LBB79_100
; %bb.99:
	ds_read_b32 v4, v10 offset:512
	s_waitcnt lgkmcnt(0)
	s_barrier
	v_add_f32_e32 v8, v8, v4
	ds_write_b32 v10, v8
.LBB79_100:
	v_mov_b32_e32 v4, 0x41
	v_mov_b32_e32 v5, 0
	v_cmp_lt_i64_e32 vcc, s[42:43], v[4:5]
	s_waitcnt lgkmcnt(0)
	s_barrier
	s_cbranch_vccnz .LBB79_102
; %bb.101:
	ds_read_b32 v4, v10 offset:256
	s_waitcnt lgkmcnt(0)
	s_barrier
	v_add_f32_e32 v8, v8, v4
	ds_write_b32 v10, v8
.LBB79_102:
	v_cmp_lt_i64_e64 s[2:3], s[42:43], 33
	s_and_b64 vcc, exec, s[2:3]
	s_waitcnt lgkmcnt(0)
	s_barrier
	s_cbranch_vccnz .LBB79_104
; %bb.103:
	ds_read_b32 v4, v10 offset:128
	s_waitcnt lgkmcnt(0)
	s_barrier
	v_add_f32_e32 v8, v8, v4
	ds_write_b32 v10, v8
.LBB79_104:
	v_cmp_lt_i64_e64 s[2:3], s[42:43], 17
	s_and_b64 vcc, exec, s[2:3]
	s_waitcnt lgkmcnt(0)
	s_barrier
	s_cbranch_vccnz .LBB79_106
; %bb.105:
	ds_read_b32 v4, v10 offset:64
	s_waitcnt lgkmcnt(0)
	s_barrier
	v_add_f32_e32 v8, v8, v4
	ds_write_b32 v10, v8
.LBB79_106:
	v_cmp_lt_i64_e64 s[2:3], s[42:43], 9
	s_and_b64 vcc, exec, s[2:3]
	s_waitcnt lgkmcnt(0)
	s_barrier
	s_cbranch_vccnz .LBB79_108
; %bb.107:
	ds_read_b32 v4, v10 offset:32
	s_waitcnt lgkmcnt(0)
	s_barrier
	v_add_f32_e32 v8, v8, v4
	ds_write_b32 v10, v8
.LBB79_108:
	v_cmp_lt_i64_e64 s[2:3], s[42:43], 5
	s_and_b64 vcc, exec, s[2:3]
	s_waitcnt lgkmcnt(0)
	s_barrier
	s_cbranch_vccnz .LBB79_110
; %bb.109:
	ds_read_b32 v4, v10 offset:16
	s_waitcnt lgkmcnt(0)
	s_barrier
	v_add_f32_e32 v8, v8, v4
	ds_write_b32 v10, v8
.LBB79_110:
	s_cmp_eq_u64 s[42:43], 2
	s_waitcnt lgkmcnt(0)
	s_barrier
	s_cbranch_scc1 .LBB79_112
; %bb.111:
	ds_read_b32 v4, v10 offset:8
	s_waitcnt lgkmcnt(0)
	s_barrier
	v_add_f32_e32 v8, v8, v4
	ds_write_b32 v10, v8
.LBB79_112:
	s_waitcnt lgkmcnt(0)
	s_barrier
	ds_read_b32 v4, v10 offset:4
	v_cmp_eq_u64_e32 vcc, 0, v[0:1]
	s_xor_b64 s[0:1], s[0:1], -1
	s_and_b64 s[0:1], vcc, s[0:1]
	s_waitcnt lgkmcnt(0)
	v_add_f32_e32 v4, v8, v4
	s_barrier
	ds_write_b32 v10, v4
	s_and_saveexec_b64 s[2:3], s[0:1]
	s_cbranch_execz .LBB79_116
; %bb.113:
	v_cmp_eq_f32_e64 s[0:1], s34, 0
	s_and_b64 vcc, exec, s[0:1]
	v_lshlrev_b64 v[0:1], 2, v[2:3]
	s_cbranch_vccnz .LBB79_115
; %bb.114:
	v_mov_b32_e32 v3, s41
	v_add_co_u32_e32 v2, vcc, s40, v0
	v_addc_co_u32_e32 v3, vcc, v3, v1, vcc
	global_load_dword v2, v[2:3], off
	s_waitcnt vmcnt(0)
	v_fmac_f32_e32 v4, s34, v2
.LBB79_115:
	v_mov_b32_e32 v2, s41
	v_add_co_u32_e32 v0, vcc, s40, v0
	v_addc_co_u32_e32 v1, vcc, v2, v1, vcc
	global_store_dword v[0:1], v4, off
.LBB79_116:
	s_endpgm
	.section	.rodata,"a",@progbits
	.p2align	6, 0x0
	.amdhsa_kernel _ZN9rocsparseL22csrmvn_adaptive_kernelIll18rocsparse_bfloat16S1_ffEEvbT_PKS2_PjPKT0_NS_24const_host_device_scalarIT4_EES4_S8_PKT1_PKT2_SB_PT3_21rocsparse_index_base_b
		.amdhsa_group_segment_fixed_size 4096
		.amdhsa_private_segment_fixed_size 0
		.amdhsa_kernarg_size 104
		.amdhsa_user_sgpr_count 6
		.amdhsa_user_sgpr_private_segment_buffer 1
		.amdhsa_user_sgpr_dispatch_ptr 0
		.amdhsa_user_sgpr_queue_ptr 0
		.amdhsa_user_sgpr_kernarg_segment_ptr 1
		.amdhsa_user_sgpr_dispatch_id 0
		.amdhsa_user_sgpr_flat_scratch_init 0
		.amdhsa_user_sgpr_kernarg_preload_length 0
		.amdhsa_user_sgpr_kernarg_preload_offset 0
		.amdhsa_user_sgpr_private_segment_size 0
		.amdhsa_uses_dynamic_stack 0
		.amdhsa_system_sgpr_private_segment_wavefront_offset 0
		.amdhsa_system_sgpr_workgroup_id_x 1
		.amdhsa_system_sgpr_workgroup_id_y 0
		.amdhsa_system_sgpr_workgroup_id_z 0
		.amdhsa_system_sgpr_workgroup_info 0
		.amdhsa_system_vgpr_workitem_id 0
		.amdhsa_next_free_vgpr 20
		.amdhsa_next_free_sgpr 62
		.amdhsa_accum_offset 20
		.amdhsa_reserve_vcc 1
		.amdhsa_reserve_flat_scratch 0
		.amdhsa_float_round_mode_32 0
		.amdhsa_float_round_mode_16_64 0
		.amdhsa_float_denorm_mode_32 3
		.amdhsa_float_denorm_mode_16_64 3
		.amdhsa_dx10_clamp 1
		.amdhsa_ieee_mode 1
		.amdhsa_fp16_overflow 0
		.amdhsa_tg_split 0
		.amdhsa_exception_fp_ieee_invalid_op 0
		.amdhsa_exception_fp_denorm_src 0
		.amdhsa_exception_fp_ieee_div_zero 0
		.amdhsa_exception_fp_ieee_overflow 0
		.amdhsa_exception_fp_ieee_underflow 0
		.amdhsa_exception_fp_ieee_inexact 0
		.amdhsa_exception_int_div_zero 0
	.end_amdhsa_kernel
	.section	.text._ZN9rocsparseL22csrmvn_adaptive_kernelIll18rocsparse_bfloat16S1_ffEEvbT_PKS2_PjPKT0_NS_24const_host_device_scalarIT4_EES4_S8_PKT1_PKT2_SB_PT3_21rocsparse_index_base_b,"axG",@progbits,_ZN9rocsparseL22csrmvn_adaptive_kernelIll18rocsparse_bfloat16S1_ffEEvbT_PKS2_PjPKT0_NS_24const_host_device_scalarIT4_EES4_S8_PKT1_PKT2_SB_PT3_21rocsparse_index_base_b,comdat
.Lfunc_end79:
	.size	_ZN9rocsparseL22csrmvn_adaptive_kernelIll18rocsparse_bfloat16S1_ffEEvbT_PKS2_PjPKT0_NS_24const_host_device_scalarIT4_EES4_S8_PKT1_PKT2_SB_PT3_21rocsparse_index_base_b, .Lfunc_end79-_ZN9rocsparseL22csrmvn_adaptive_kernelIll18rocsparse_bfloat16S1_ffEEvbT_PKS2_PjPKT0_NS_24const_host_device_scalarIT4_EES4_S8_PKT1_PKT2_SB_PT3_21rocsparse_index_base_b
                                        ; -- End function
	.section	.AMDGPU.csdata,"",@progbits
; Kernel info:
; codeLenInByte = 4116
; NumSgprs: 66
; NumVgprs: 20
; NumAgprs: 0
; TotalNumVgprs: 20
; ScratchSize: 0
; MemoryBound: 0
; FloatMode: 240
; IeeeMode: 1
; LDSByteSize: 4096 bytes/workgroup (compile time only)
; SGPRBlocks: 8
; VGPRBlocks: 2
; NumSGPRsForWavesPerEU: 66
; NumVGPRsForWavesPerEU: 20
; AccumOffset: 20
; Occupancy: 8
; WaveLimiterHint : 1
; COMPUTE_PGM_RSRC2:SCRATCH_EN: 0
; COMPUTE_PGM_RSRC2:USER_SGPR: 6
; COMPUTE_PGM_RSRC2:TRAP_HANDLER: 0
; COMPUTE_PGM_RSRC2:TGID_X_EN: 1
; COMPUTE_PGM_RSRC2:TGID_Y_EN: 0
; COMPUTE_PGM_RSRC2:TGID_Z_EN: 0
; COMPUTE_PGM_RSRC2:TIDIG_COMP_CNT: 0
; COMPUTE_PGM_RSRC3_GFX90A:ACCUM_OFFSET: 4
; COMPUTE_PGM_RSRC3_GFX90A:TG_SPLIT: 0
	.section	.text._ZN9rocsparseL27csrmvn_symm_adaptive_kernelIll18rocsparse_bfloat16S1_ffEEvbT_S2_PKS2_NS_24const_host_device_scalarIT4_EES4_PKT0_PKT1_PKT2_S7_PT3_21rocsparse_index_base_b,"axG",@progbits,_ZN9rocsparseL27csrmvn_symm_adaptive_kernelIll18rocsparse_bfloat16S1_ffEEvbT_S2_PKS2_NS_24const_host_device_scalarIT4_EES4_PKT0_PKT1_PKT2_S7_PT3_21rocsparse_index_base_b,comdat
	.globl	_ZN9rocsparseL27csrmvn_symm_adaptive_kernelIll18rocsparse_bfloat16S1_ffEEvbT_S2_PKS2_NS_24const_host_device_scalarIT4_EES4_PKT0_PKT1_PKT2_S7_PT3_21rocsparse_index_base_b ; -- Begin function _ZN9rocsparseL27csrmvn_symm_adaptive_kernelIll18rocsparse_bfloat16S1_ffEEvbT_S2_PKS2_NS_24const_host_device_scalarIT4_EES4_PKT0_PKT1_PKT2_S7_PT3_21rocsparse_index_base_b
	.p2align	8
	.type	_ZN9rocsparseL27csrmvn_symm_adaptive_kernelIll18rocsparse_bfloat16S1_ffEEvbT_S2_PKS2_NS_24const_host_device_scalarIT4_EES4_PKT0_PKT1_PKT2_S7_PT3_21rocsparse_index_base_b,@function
_ZN9rocsparseL27csrmvn_symm_adaptive_kernelIll18rocsparse_bfloat16S1_ffEEvbT_S2_PKS2_NS_24const_host_device_scalarIT4_EES4_PKT0_PKT1_PKT2_S7_PT3_21rocsparse_index_base_b: ; @_ZN9rocsparseL27csrmvn_symm_adaptive_kernelIll18rocsparse_bfloat16S1_ffEEvbT_S2_PKS2_NS_24const_host_device_scalarIT4_EES4_PKT0_PKT1_PKT2_S7_PT3_21rocsparse_index_base_b
; %bb.0:
	s_load_dwordx2 s[30:31], s[4:5], 0x58
	s_load_dwordx2 s[36:37], s[4:5], 0x20
	;; [unrolled: 1-line block ×3, first 2 shown]
	s_waitcnt lgkmcnt(0)
	s_bitcmp1_b32 s31, 0
	s_cselect_b64 s[8:9], -1, 0
	s_xor_b64 s[2:3], s[8:9], -1
	s_and_b64 vcc, exec, s[8:9]
	s_cbranch_vccnz .LBB80_2
; %bb.1:
	s_load_dword s36, s[36:37], 0x0
.LBB80_2:
	s_andn2_b64 vcc, exec, s[2:3]
	s_cbranch_vccnz .LBB80_4
; %bb.3:
	s_load_dword s0, s[0:1], 0x0
.LBB80_4:
	s_waitcnt lgkmcnt(0)
	v_cmp_neq_f32_e64 s[2:3], s36, 0
	v_cmp_neq_f32_e64 s[0:1], s0, 1.0
	s_or_b64 s[0:1], s[2:3], s[0:1]
	s_andn2_b64 vcc, exec, s[0:1]
	s_cbranch_vccnz .LBB80_176
; %bb.5:
	s_load_dwordx2 s[0:1], s[4:5], 0x18
	s_ashr_i32 s7, s6, 31
	s_lshl_b64 s[2:3], s[6:7], 3
	v_lshlrev_b32_e32 v18, 2, v0
	v_mov_b32_e32 v1, 0
	s_waitcnt lgkmcnt(0)
	s_add_u32 s0, s0, s2
	s_addc_u32 s1, s1, s3
	ds_write2st64_b32 v18, v1, v1 offset1:4
	ds_write2st64_b32 v18, v1, v1 offset0:8 offset1:12
	s_waitcnt lgkmcnt(0)
	s_barrier
	s_load_dwordx4 s[24:27], s[0:1], 0x0
	s_load_dwordx8 s[16:23], s[4:5], 0x28
	s_load_dwordx2 s[14:15], s[4:5], 0x50
	s_mov_b64 s[0:1], -1
	s_waitcnt lgkmcnt(0)
	s_sub_u32 s28, s26, s24
	s_subb_u32 s29, s27, s25
	v_cmp_gt_i64_e64 s[2:3], s[28:29], 2
	s_and_b64 vcc, exec, s[2:3]
	s_cbranch_vccnz .LBB80_40
; %bb.6:
	v_pk_mov_b32 v[2:3], s[24:25], s[24:25] op_sel:[0,1]
	v_cmp_gt_i64_e32 vcc, s[26:27], v[2:3]
	v_subrev_co_u32_e64 v1, s[0:1], s30, v0
	s_mov_b32 s31, 0
	v_subb_co_u32_e64 v10, s[0:1], 0, 0, s[0:1]
	s_cbranch_vccnz .LBB80_8
; %bb.7:
	s_lshl_b64 s[0:1], s[24:25], 3
	s_add_u32 s0, s16, s0
	s_addc_u32 s1, s17, s1
	s_load_dwordx2 s[34:35], s[0:1], 0x0
	s_cbranch_execz .LBB80_9
	s_branch .LBB80_29
.LBB80_8:
                                        ; implicit-def: $sgpr34_sgpr35
.LBB80_9:
	s_lshl_b64 s[12:13], s[24:25], 3
	s_add_u32 s12, s16, s12
	s_addc_u32 s13, s17, s13
	s_waitcnt lgkmcnt(0)
	s_load_dwordx2 s[34:35], s[12:13], 0x0
	s_movk_i32 s33, 0x100
	s_add_u32 s37, s16, 8
	v_cmp_gt_u32_e64 s[0:1], s33, v0
	v_cmp_gt_u32_e64 s[2:3], 64, v0
	;; [unrolled: 1-line block ×4, first 2 shown]
	v_cmp_eq_u32_e64 s[10:11], 0, v0
	s_addc_u32 s48, s17, 0
	v_mov_b32_e32 v11, s31
	v_mov_b32_e32 v12, s23
	;; [unrolled: 1-line block ×3, first 2 shown]
	v_pk_mov_b32 v[2:3], s[26:27], s[26:27] op_sel:[0,1]
	s_waitcnt lgkmcnt(0)
	s_mov_b64 s[40:41], s[34:35]
	s_mov_b64 s[38:39], s[24:25]
	s_branch .LBB80_11
.LBB80_10:                              ;   in Loop: Header=BB80_11 Depth=1
	s_or_b64 exec, exec, s[12:13]
	s_add_u32 s38, s38, 1
	s_addc_u32 s39, s39, 0
	v_cmp_ge_i64_e32 vcc, s[38:39], v[2:3]
	s_cbranch_vccnz .LBB80_29
.LBB80_11:                              ; =>This Loop Header: Depth=1
                                        ;     Child Loop BB80_13 Depth 2
                                        ;     Child Loop BB80_28 Depth 2
	s_mov_b64 s[12:13], s[40:41]
	s_lshl_b64 s[40:41], s[38:39], 3
	s_add_u32 s40, s37, s40
	s_addc_u32 s41, s48, s41
	s_load_dwordx2 s[40:41], s[40:41], 0x0
	v_mov_b32_e32 v5, s13
	v_add_co_u32_e32 v4, vcc, s12, v1
	v_addc_co_u32_e32 v5, vcc, v5, v10, vcc
	s_waitcnt lgkmcnt(0)
	s_sub_u32 s42, s40, s30
	s_subb_u32 s43, s41, 0
	v_cmp_gt_i64_e32 vcc, s[42:43], v[4:5]
	v_mov_b32_e32 v14, 0
	s_and_saveexec_b64 s[44:45], vcc
	s_cbranch_execz .LBB80_15
; %bb.12:                               ;   in Loop: Header=BB80_11 Depth=1
	v_lshlrev_b64 v[6:7], 3, v[4:5]
	v_mov_b32_e32 v8, s19
	v_add_co_u32_e32 v6, vcc, s18, v6
	v_addc_co_u32_e32 v7, vcc, v8, v7, vcc
	v_lshlrev_b64 v[8:9], 1, v[4:5]
	v_mov_b32_e32 v14, s21
	v_add_co_u32_e32 v8, vcc, s20, v8
	v_addc_co_u32_e32 v9, vcc, v14, v9, vcc
	s_mov_b64 s[46:47], 0
	v_mov_b32_e32 v14, 0
.LBB80_13:                              ;   Parent Loop BB80_11 Depth=1
                                        ; =>  This Inner Loop Header: Depth=2
	global_load_dwordx2 v[16:17], v[6:7], off
	global_load_ushort v15, v[8:9], off
	s_waitcnt vmcnt(1)
	v_subrev_co_u32_e32 v16, vcc, s30, v16
	v_subb_co_u32_e32 v17, vcc, v17, v11, vcc
	v_lshlrev_b64 v[16:17], 1, v[16:17]
	v_add_co_u32_e32 v16, vcc, s22, v16
	v_addc_co_u32_e32 v17, vcc, v12, v17, vcc
	global_load_ushort v16, v[16:17], off
	v_add_co_u32_e32 v4, vcc, s33, v4
	v_addc_co_u32_e32 v5, vcc, 0, v5, vcc
	v_add_co_u32_e32 v6, vcc, 0x800, v6
	v_addc_co_u32_e32 v7, vcc, 0, v7, vcc
	v_add_co_u32_e32 v8, vcc, 0x200, v8
	v_cmp_le_i64_e64 s[12:13], s[42:43], v[4:5]
	s_waitcnt vmcnt(1)
	v_lshlrev_b32_e32 v15, 16, v15
	v_addc_co_u32_e32 v9, vcc, 0, v9, vcc
	s_or_b64 s[46:47], s[12:13], s[46:47]
	s_waitcnt vmcnt(0)
	v_lshlrev_b32_e32 v16, 16, v16
	v_fmac_f32_e32 v14, v15, v16
	s_andn2_b64 exec, exec, s[46:47]
	s_cbranch_execnz .LBB80_13
; %bb.14:                               ;   in Loop: Header=BB80_11 Depth=1
	s_or_b64 exec, exec, s[46:47]
.LBB80_15:                              ;   in Loop: Header=BB80_11 Depth=1
	s_or_b64 exec, exec, s[44:45]
	ds_write_b32 v18, v14
	s_waitcnt lgkmcnt(0)
	s_barrier
	s_and_saveexec_b64 s[12:13], s[0:1]
	s_cbranch_execz .LBB80_17
; %bb.16:                               ;   in Loop: Header=BB80_11 Depth=1
	ds_read2st64_b32 v[4:5], v18 offset1:4
	ds_read2st64_b32 v[6:7], v18 offset0:8 offset1:12
	s_waitcnt lgkmcnt(0)
	v_add_f32_e32 v5, v5, v6
	v_add_f32_e32 v5, v5, v7
	;; [unrolled: 1-line block ×3, first 2 shown]
	ds_write_b32 v18, v4
.LBB80_17:                              ;   in Loop: Header=BB80_11 Depth=1
	s_or_b64 exec, exec, s[12:13]
	s_waitcnt lgkmcnt(0)
	s_barrier
	s_and_saveexec_b64 s[12:13], s[2:3]
	s_cbranch_execz .LBB80_19
; %bb.18:                               ;   in Loop: Header=BB80_11 Depth=1
	ds_read2st64_b32 v[4:5], v18 offset1:1
	ds_read2st64_b32 v[6:7], v18 offset0:2 offset1:3
	s_waitcnt lgkmcnt(0)
	v_add_f32_e32 v5, v5, v6
	v_add_f32_e32 v5, v5, v7
	;; [unrolled: 1-line block ×3, first 2 shown]
	ds_write_b32 v18, v4
.LBB80_19:                              ;   in Loop: Header=BB80_11 Depth=1
	s_or_b64 exec, exec, s[12:13]
	s_waitcnt lgkmcnt(0)
	s_barrier
	s_and_saveexec_b64 s[12:13], s[6:7]
	s_cbranch_execz .LBB80_21
; %bb.20:                               ;   in Loop: Header=BB80_11 Depth=1
	ds_read2_b32 v[4:5], v18 offset1:16
	ds_read2_b32 v[6:7], v18 offset0:32 offset1:48
	s_waitcnt lgkmcnt(0)
	v_add_f32_e32 v5, v5, v6
	v_add_f32_e32 v5, v5, v7
	;; [unrolled: 1-line block ×3, first 2 shown]
	ds_write_b32 v18, v4
.LBB80_21:                              ;   in Loop: Header=BB80_11 Depth=1
	s_or_b64 exec, exec, s[12:13]
	s_waitcnt lgkmcnt(0)
	s_barrier
	s_and_saveexec_b64 s[12:13], s[8:9]
	s_cbranch_execz .LBB80_23
; %bb.22:                               ;   in Loop: Header=BB80_11 Depth=1
	ds_read2_b32 v[4:5], v18 offset1:4
	ds_read2_b32 v[6:7], v18 offset0:8 offset1:12
	s_waitcnt lgkmcnt(0)
	v_add_f32_e32 v5, v5, v6
	v_add_f32_e32 v5, v5, v7
	;; [unrolled: 1-line block ×3, first 2 shown]
	ds_write_b32 v18, v4
.LBB80_23:                              ;   in Loop: Header=BB80_11 Depth=1
	s_or_b64 exec, exec, s[12:13]
	s_waitcnt lgkmcnt(0)
	s_barrier
	s_and_saveexec_b64 s[12:13], s[10:11]
	s_cbranch_execz .LBB80_25
; %bb.24:                               ;   in Loop: Header=BB80_11 Depth=1
	ds_read2_b32 v[4:5], v13 offset0:1 offset1:2
	ds_read_b32 v6, v13 offset:12
	ds_read_b32 v7, v18
	s_waitcnt lgkmcnt(2)
	v_add_f32_e32 v4, v4, v5
	s_waitcnt lgkmcnt(1)
	v_add_f32_e32 v4, v4, v6
	s_waitcnt lgkmcnt(0)
	v_add_f32_e32 v4, v7, v4
	ds_write_b32 v18, v4
.LBB80_25:                              ;   in Loop: Header=BB80_11 Depth=1
	s_or_b64 exec, exec, s[12:13]
	s_waitcnt lgkmcnt(0)
	s_barrier
	s_and_saveexec_b64 s[12:13], s[10:11]
	s_cbranch_execz .LBB80_10
; %bb.26:                               ;   in Loop: Header=BB80_11 Depth=1
	s_mov_b64 s[44:45], exec
	v_mbcnt_lo_u32_b32 v4, s44, 0
	v_mbcnt_hi_u32_b32 v4, s45, v4
	v_cmp_eq_u32_e32 vcc, 0, v4
	s_and_b64 s[42:43], exec, vcc
	s_mov_b64 exec, s[42:43]
	s_cbranch_execz .LBB80_10
; %bb.27:                               ;   in Loop: Header=BB80_11 Depth=1
	s_lshl_b64 s[42:43], s[38:39], 2
	s_add_u32 s42, s14, s42
	s_addc_u32 s43, s15, s43
	global_load_dword v5, v13, s[42:43]
	ds_read_b32 v4, v13
	s_bcnt1_i32_b64 s44, s[44:45]
	v_cvt_f32_ubyte0_e32 v6, s44
	s_mov_b64 s[44:45], 0
	s_waitcnt lgkmcnt(0)
	v_mul_f32_e32 v4, s36, v4
	v_mul_f32_e32 v6, v4, v6
.LBB80_28:                              ;   Parent Loop BB80_11 Depth=1
                                        ; =>  This Inner Loop Header: Depth=2
	s_waitcnt vmcnt(0)
	v_add_f32_e32 v4, v5, v6
	global_atomic_cmpswap v4, v13, v[4:5], s[42:43] glc
	s_waitcnt vmcnt(0)
	v_cmp_eq_u32_e32 vcc, v4, v5
	s_or_b64 s[44:45], vcc, s[44:45]
	v_mov_b32_e32 v5, v4
	s_andn2_b64 exec, exec, s[44:45]
	s_cbranch_execnz .LBB80_28
	s_branch .LBB80_10
.LBB80_29:
	s_lshl_b64 s[0:1], s[26:27], 3
	s_add_u32 s0, s16, s0
	s_addc_u32 s1, s17, s1
	s_load_dwordx2 s[0:1], s[0:1], 0x0
	s_waitcnt lgkmcnt(0)
	v_mov_b32_e32 v3, s35
	v_add_co_u32_e32 v2, vcc, s34, v1
	v_addc_co_u32_e32 v3, vcc, v3, v10, vcc
	s_sub_u32 s6, s0, s30
	s_subb_u32 s7, s1, 0
	v_cmp_gt_i64_e32 vcc, s[6:7], v[2:3]
	s_and_saveexec_b64 s[8:9], vcc
	s_cbranch_execz .LBB80_39
; %bb.30:
	s_add_u32 s10, s26, -1
	s_addc_u32 s11, s27, -1
	s_add_u32 s0, s26, -2
	s_addc_u32 s1, s27, -1
	v_pk_mov_b32 v[4:5], s[24:25], s[24:25] op_sel:[0,1]
	s_cmp_lg_u64 s[0:1], s[24:25]
	v_cmp_gt_i64_e32 vcc, s[10:11], v[4:5]
	s_cselect_b64 s[0:1], -1, 0
	s_and_b64 s[0:1], vcc, s[0:1]
	v_cndmask_b32_e64 v1, 0, 1, s[0:1]
	s_mov_b64 s[12:13], 0
	v_cmp_ne_u32_e64 s[0:1], 1, v1
	v_mov_b32_e32 v1, s17
	v_mov_b32_e32 v8, s31
	;; [unrolled: 1-line block ×3, first 2 shown]
	s_branch .LBB80_32
.LBB80_31:                              ;   in Loop: Header=BB80_32 Depth=1
	s_or_b64 exec, exec, s[2:3]
	v_add_co_u32_e32 v2, vcc, 0x100, v2
	v_addc_co_u32_e32 v3, vcc, 0, v3, vcc
	v_cmp_le_i64_e32 vcc, s[6:7], v[2:3]
	s_or_b64 s[12:13], vcc, s[12:13]
	s_andn2_b64 exec, exec, s[12:13]
	s_cbranch_execz .LBB80_39
.LBB80_32:                              ; =>This Loop Header: Depth=1
                                        ;     Child Loop BB80_34 Depth 2
                                        ;     Child Loop BB80_38 Depth 2
	s_and_b64 vcc, exec, s[0:1]
	v_pk_mov_b32 v[4:5], s[24:25], s[24:25] op_sel:[0,1]
	v_pk_mov_b32 v[6:7], s[10:11], s[10:11] op_sel:[0,1]
	s_cbranch_vccnz .LBB80_36
; %bb.33:                               ;   in Loop: Header=BB80_32 Depth=1
	s_mov_b64 s[34:35], 0
	v_pk_mov_b32 v[4:5], s[24:25], s[24:25] op_sel:[0,1]
	v_pk_mov_b32 v[6:7], s[10:11], s[10:11] op_sel:[0,1]
.LBB80_34:                              ;   Parent Loop BB80_32 Depth=1
                                        ; =>  This Inner Loop Header: Depth=2
	v_add_co_u32_e32 v10, vcc, v6, v4
	v_addc_co_u32_e32 v11, vcc, v7, v5, vcc
	v_lshrrev_b32_e32 v12, 31, v11
	v_add_co_u32_e32 v10, vcc, v10, v12
	v_addc_co_u32_e32 v11, vcc, 0, v11, vcc
	v_ashrrev_i64 v[10:11], 1, v[10:11]
	v_lshlrev_b64 v[12:13], 3, v[10:11]
	v_mov_b32_e32 v14, s17
	v_add_co_u32_e32 v12, vcc, s16, v12
	v_addc_co_u32_e32 v13, vcc, v14, v13, vcc
	global_load_dwordx2 v[12:13], v[12:13], off
	v_mov_b32_e32 v14, s31
	s_waitcnt vmcnt(0)
	v_subrev_co_u32_e32 v12, vcc, s30, v12
	v_subb_co_u32_e32 v13, vcc, v13, v14, vcc
	v_cmp_gt_i64_e32 vcc, v[12:13], v[2:3]
	v_cndmask_b32_e32 v6, v6, v10, vcc
	v_cndmask_b32_e32 v7, v7, v11, vcc
	;; [unrolled: 1-line block ×3, first 2 shown]
	v_add_co_u32_e64 v10, s[2:3], -1, v6
	v_cndmask_b32_e32 v5, v11, v5, vcc
	v_addc_co_u32_e64 v11, s[2:3], -1, v7, s[2:3]
	v_cmp_ge_i64_e32 vcc, v[4:5], v[6:7]
	v_cmp_eq_u64_e64 s[2:3], v[4:5], v[10:11]
	s_or_b64 s[2:3], vcc, s[2:3]
	s_and_b64 s[2:3], exec, s[2:3]
	s_or_b64 s[34:35], s[2:3], s[34:35]
	s_andn2_b64 exec, exec, s[34:35]
	s_cbranch_execnz .LBB80_34
; %bb.35:                               ;   in Loop: Header=BB80_32 Depth=1
	s_or_b64 exec, exec, s[34:35]
.LBB80_36:                              ;   in Loop: Header=BB80_32 Depth=1
	v_lshlrev_b64 v[10:11], 3, v[6:7]
	v_add_co_u32_e32 v10, vcc, s16, v10
	v_addc_co_u32_e32 v11, vcc, v1, v11, vcc
	global_load_dwordx2 v[10:11], v[10:11], off
	v_lshlrev_b64 v[12:13], 3, v[2:3]
	v_add_co_u32_e32 v12, vcc, s18, v12
	v_addc_co_u32_e32 v13, vcc, v9, v13, vcc
	global_load_dwordx2 v[12:13], v[12:13], off
	s_waitcnt vmcnt(1)
	v_subrev_co_u32_e32 v10, vcc, s30, v10
	v_subb_co_u32_e32 v11, vcc, v11, v8, vcc
	v_cmp_gt_i64_e32 vcc, v[10:11], v[2:3]
	v_cndmask_b32_e32 v5, v7, v5, vcc
	v_cndmask_b32_e32 v4, v6, v4, vcc
	s_waitcnt vmcnt(0)
	v_subrev_co_u32_e32 v6, vcc, s30, v12
	v_subb_co_u32_e32 v7, vcc, v13, v8, vcc
	v_cmp_ne_u64_e32 vcc, v[6:7], v[4:5]
	s_and_saveexec_b64 s[2:3], vcc
	s_cbranch_execz .LBB80_31
; %bb.37:                               ;   in Loop: Header=BB80_32 Depth=1
	v_lshlrev_b64 v[10:11], 1, v[2:3]
	v_mov_b32_e32 v13, s21
	v_add_co_u32_e32 v10, vcc, s20, v10
	v_addc_co_u32_e32 v11, vcc, v13, v11, vcc
	v_lshlrev_b64 v[4:5], 1, v[4:5]
	global_load_ushort v10, v[10:11], off
	v_mov_b32_e32 v11, s23
	v_add_co_u32_e32 v4, vcc, s22, v4
	v_lshlrev_b64 v[6:7], 2, v[6:7]
	v_addc_co_u32_e32 v5, vcc, v11, v5, vcc
	v_mov_b32_e32 v12, s15
	global_load_ushort v11, v[4:5], off
	v_add_co_u32_e32 v4, vcc, s14, v6
	v_addc_co_u32_e32 v5, vcc, v12, v7, vcc
	global_load_dword v7, v[4:5], off
	s_mov_b64 s[34:35], 0
	s_waitcnt vmcnt(2)
	v_lshlrev_b32_e32 v6, 16, v10
	v_mul_f32_e32 v6, s36, v6
	s_waitcnt vmcnt(1)
	v_lshlrev_b32_e32 v10, 16, v11
	v_mul_f32_e32 v10, v6, v10
.LBB80_38:                              ;   Parent Loop BB80_32 Depth=1
                                        ; =>  This Inner Loop Header: Depth=2
	s_waitcnt vmcnt(0)
	v_add_f32_e32 v6, v7, v10
	global_atomic_cmpswap v6, v[4:5], v[6:7], off glc
	s_waitcnt vmcnt(0)
	v_cmp_eq_u32_e32 vcc, v6, v7
	s_or_b64 s[34:35], vcc, s[34:35]
	v_mov_b32_e32 v7, v6
	s_andn2_b64 exec, exec, s[34:35]
	s_cbranch_execnz .LBB80_38
	s_branch .LBB80_31
.LBB80_39:
	s_or_b64 exec, exec, s[8:9]
	s_mov_b64 s[0:1], 0
.LBB80_40:
	s_and_b64 vcc, exec, s[0:1]
	s_cbranch_vccz .LBB80_176
; %bb.41:
	s_load_dword s0, s[4:5], 0x6c
	s_mov_b32 s31, 0
	v_pk_mov_b32 v[2:3], s[28:29], s[28:29] op_sel:[0,1]
	s_mov_b32 s13, s31
	s_mov_b64 s[34:35], 0
	s_waitcnt lgkmcnt(0)
	s_and_b32 s12, s0, 0xffff
	v_cmp_lt_u64_e32 vcc, s[12:13], v[2:3]
	s_cbranch_vccnz .LBB80_43
; %bb.42:
	v_cvt_f32_u32_e32 v1, s28
	s_sub_i32 s0, 0, s28
	v_rcp_iflag_f32_e32 v1, v1
	v_mul_f32_e32 v1, 0x4f7ffffe, v1
	v_cvt_u32_f32_e32 v1, v1
	v_readfirstlane_b32 s1, v1
	s_mul_i32 s0, s0, s1
	s_mul_hi_u32 s0, s1, s0
	s_add_i32 s1, s1, s0
	s_mul_hi_u32 s0, s12, s1
	s_mul_i32 s2, s0, s28
	s_sub_i32 s2, s12, s2
	s_add_i32 s1, s0, 1
	s_sub_i32 s3, s2, s28
	s_cmp_ge_u32 s2, s28
	s_cselect_b32 s0, s1, s0
	s_cselect_b32 s2, s3, s2
	s_add_i32 s1, s0, 1
	s_cmp_ge_u32 s2, s28
	s_cselect_b32 s34, s1, s0
.LBB80_43:
	s_lshl_b64 s[0:1], s[24:25], 3
	s_add_u32 s10, s16, s0
	s_addc_u32 s11, s17, s1
	s_load_dwordx2 s[8:9], s[10:11], 0x0
	v_subrev_co_u32_e32 v2, vcc, s30, v0
	s_load_dwordx4 s[4:7], s[4:5], 0x8
	v_subb_co_u32_e64 v3, s[0:1], 0, 0, vcc
	s_waitcnt lgkmcnt(0)
	v_mov_b32_e32 v4, s9
	v_add_co_u32_e32 v8, vcc, s8, v2
	v_addc_co_u32_e32 v9, vcc, v4, v3, vcc
	v_add_co_u32_e32 v6, vcc, 0x300, v8
	v_addc_co_u32_e32 v7, vcc, 0, v9, vcc
	v_mov_b32_e32 v1, 0
	v_cmp_le_i64_e64 s[0:1], s[4:5], v[6:7]
	s_and_saveexec_b64 s[2:3], s[0:1]
	s_xor_b64 s[4:5], exec, s[2:3]
	s_cbranch_execnz .LBB80_46
; %bb.44:
	s_andn2_saveexec_b64 s[2:3], s[4:5]
	s_cbranch_execnz .LBB80_57
.LBB80_45:
	s_or_b64 exec, exec, s[2:3]
	v_cmp_gt_i64_e32 vcc, s[6:7], v[0:1]
	s_and_saveexec_b64 s[4:5], vcc
	s_cbranch_execnz .LBB80_58
	s_branch .LBB80_65
.LBB80_46:
	s_lshl_b64 s[2:3], s[26:27], 3
	s_add_u32 s2, s16, s2
	s_addc_u32 s3, s17, s3
	s_load_dwordx2 s[2:3], s[2:3], 0x0
	s_waitcnt lgkmcnt(0)
	s_sub_u32 s38, s2, s8
	s_subb_u32 s39, s3, s9
	v_cmp_gt_i64_e32 vcc, s[38:39], v[0:1]
	s_and_saveexec_b64 s[40:41], vcc
	s_cbranch_execz .LBB80_56
; %bb.47:
	s_not_b64 s[42:43], s[8:9]
	s_add_u32 s2, s2, s42
	s_addc_u32 s3, s3, s43
	v_mov_b32_e32 v2, s3
	v_sub_co_u32_e32 v4, vcc, s2, v0
	v_subbrev_co_u32_e32 v5, vcc, 0, v2, vcc
	s_mov_b64 s[2:3], 0xff
	v_cmp_lt_u64_e32 vcc, s[2:3], v[4:5]
	s_mov_b64 s[2:3], 0
                                        ; implicit-def: $vgpr12_vgpr13
                                        ; implicit-def: $vgpr2_vgpr3
	s_and_saveexec_b64 s[42:43], vcc
	s_xor_b64 s[42:43], exec, s[42:43]
	s_cbranch_execnz .LBB80_50
; %bb.48:
	s_andn2_saveexec_b64 s[42:43], s[42:43]
	s_cbranch_execnz .LBB80_53
.LBB80_49:
	s_or_b64 exec, exec, s[42:43]
	s_and_b64 exec, exec, s[2:3]
	s_cbranch_execnz .LBB80_54
	s_branch .LBB80_56
.LBB80_50:
	v_lshrrev_b64 v[2:3], 8, v[4:5]
	v_add_co_u32_e32 v4, vcc, 1, v2
	v_addc_co_u32_e32 v5, vcc, 0, v3, vcc
	v_lshlrev_b64 v[2:3], 1, v[8:9]
	v_mov_b32_e32 v14, s21
	v_add_co_u32_e32 v15, vcc, s20, v2
	v_addc_co_u32_e32 v16, vcc, v3, v14, vcc
	s_movk_i32 s2, 0x200
	v_and_b32_e32 v10, -2, v4
	v_mov_b32_e32 v11, v5
	v_add_co_u32_e32 v14, vcc, s2, v15
	s_mov_b32 s37, s36
	v_mov_b32_e32 v12, v0
	v_mov_b32_e32 v13, v0
	v_addc_co_u32_e32 v15, vcc, 0, v16, vcc
	s_mov_b64 s[46:47], 0x100
	s_mov_b64 s[44:45], 0
	v_pk_mov_b32 v[16:17], v[10:11], v[10:11] op_sel:[0,1]
	s_mov_b64 s[48:49], 0
.LBB80_51:                              ; =>This Inner Loop Header: Depth=1
	global_load_ushort v19, v[14:15], off
	global_load_ushort v20, v[14:15], off offset:-512
	v_add_lshl_u32 v22, v12, s48, 2
	s_add_u32 s48, s48, 0x200
	v_add_co_u32_e32 v14, vcc, 0x400, v14
	v_add_co_u32_e64 v16, s[2:3], -2, v16
	s_addc_u32 s49, s49, 0
	v_add_lshl_u32 v23, v13, s46, 2
	v_addc_co_u32_e64 v17, s[2:3], -1, v17, s[2:3]
	v_addc_co_u32_e32 v15, vcc, 0, v15, vcc
	s_add_u32 s46, s46, 0x200
	v_cmp_eq_u64_e32 vcc, 0, v[16:17]
	s_addc_u32 s47, s47, 0
	s_or_b64 s[44:45], vcc, s[44:45]
	s_waitcnt vmcnt(1)
	v_lshlrev_b32_e32 v21, 16, v19
	s_waitcnt vmcnt(0)
	v_lshlrev_b32_e32 v20, 16, v20
	v_pk_mul_f32 v[20:21], s[36:37], v[20:21]
	ds_write_b32 v22, v20
	ds_write_b32 v23, v21
	s_andn2_b64 exec, exec, s[44:45]
	s_cbranch_execnz .LBB80_51
; %bb.52:
	s_or_b64 exec, exec, s[44:45]
	v_cmp_ne_u64_e32 vcc, v[4:5], v[10:11]
	v_lshlrev_b64 v[12:13], 8, v[10:11]
	s_and_b64 s[2:3], vcc, exec
	s_andn2_saveexec_b64 s[42:43], s[42:43]
	s_cbranch_execz .LBB80_49
.LBB80_53:
	v_lshlrev_b64 v[2:3], 1, v[8:9]
	v_pk_mov_b32 v[12:13], 0, 0
	s_or_b64 s[2:3], s[2:3], exec
	s_or_b64 exec, exec, s[42:43]
	s_and_b64 exec, exec, s[2:3]
	s_cbranch_execz .LBB80_56
.LBB80_54:
	v_lshlrev_b64 v[4:5], 1, v[12:13]
	v_add_co_u32_e32 v2, vcc, v4, v2
	v_addc_co_u32_e32 v3, vcc, v5, v3, vcc
	v_mov_b32_e32 v4, s21
	v_add_co_u32_e32 v2, vcc, s20, v2
	v_addc_co_u32_e32 v3, vcc, v4, v3, vcc
	v_add_co_u32_e32 v4, vcc, v12, v0
	v_lshlrev_b32_e32 v10, 2, v12
	v_addc_co_u32_e32 v5, vcc, 0, v13, vcc
	v_lshl_add_u32 v10, v0, 2, v10
	s_mov_b64 s[2:3], 0
.LBB80_55:                              ; =>This Inner Loop Header: Depth=1
	global_load_ushort v11, v[2:3], off
	v_add_co_u32_e32 v2, vcc, 0x200, v2
	v_addc_co_u32_e32 v3, vcc, 0, v3, vcc
	v_add_co_u32_e32 v4, vcc, 0x100, v4
	v_addc_co_u32_e32 v5, vcc, 0, v5, vcc
	v_cmp_le_i64_e32 vcc, s[38:39], v[4:5]
	s_or_b64 s[2:3], vcc, s[2:3]
	s_waitcnt vmcnt(0)
	v_lshlrev_b32_e32 v11, 16, v11
	v_mul_f32_e32 v11, s36, v11
	ds_write_b32 v10, v11
	v_add_u32_e32 v10, 0x400, v10
	s_andn2_b64 exec, exec, s[2:3]
	s_cbranch_execnz .LBB80_55
.LBB80_56:
	s_or_b64 exec, exec, s[40:41]
	s_andn2_saveexec_b64 s[2:3], s[4:5]
	s_cbranch_execz .LBB80_45
.LBB80_57:
	v_lshlrev_b64 v[2:3], 1, v[8:9]
	v_mov_b32_e32 v4, s21
	v_add_co_u32_e32 v2, vcc, s20, v2
	v_addc_co_u32_e32 v3, vcc, v4, v3, vcc
	global_load_ushort v4, v[2:3], off
	global_load_ushort v5, v[2:3], off offset:512
	global_load_ushort v10, v[2:3], off offset:1024
	;; [unrolled: 1-line block ×3, first 2 shown]
	s_waitcnt vmcnt(3)
	v_lshlrev_b32_e32 v2, 16, v4
	s_waitcnt vmcnt(2)
	v_lshlrev_b32_e32 v3, 16, v5
	;; [unrolled: 2-line block ×4, first 2 shown]
	v_mul_f32_e32 v2, s36, v2
	v_mul_f32_e32 v3, s36, v3
	;; [unrolled: 1-line block ×4, first 2 shown]
	ds_write2st64_b32 v18, v2, v3 offset1:4
	ds_write2st64_b32 v18, v4, v5 offset0:8 offset1:12
	s_or_b64 exec, exec, s[2:3]
	v_cmp_gt_i64_e32 vcc, s[6:7], v[0:1]
	s_and_saveexec_b64 s[4:5], vcc
	s_cbranch_execz .LBB80_65
.LBB80_58:
	v_not_b32_e32 v3, v0
	v_not_b32_e32 v2, 0
	v_mov_b32_e32 v5, s7
	v_add_co_u32_e32 v4, vcc, s6, v3
	v_addc_co_u32_e32 v5, vcc, v2, v5, vcc
	s_mov_b64 s[2:3], 0x2ff
	v_cmp_lt_u64_e32 vcc, s[2:3], v[4:5]
	s_mov_b64 s[2:3], -1
	v_pk_mov_b32 v[2:3], v[0:1], v[0:1] op_sel:[0,1]
	s_and_saveexec_b64 s[20:21], vcc
	s_cbranch_execz .LBB80_62
; %bb.59:
	v_lshrrev_b64 v[2:3], 8, v[4:5]
	v_add_co_u32_e32 v10, vcc, 1, v2
	v_addc_co_u32_e32 v11, vcc, 0, v3, vcc
	v_or_b32_e32 v2, 0x100, v0
	v_mov_b32_e32 v3, v1
	v_and_b32_e32 v12, -4, v10
	v_mov_b32_e32 v13, v11
	v_pk_mov_b32 v[4:5], v[2:3], v[2:3] op_sel:[0,1]
	s_mov_b64 s[36:37], 0
	v_mov_b32_e32 v16, 0x1000
	v_mov_b32_e32 v17, 0
	v_pk_mov_b32 v[14:15], v[12:13], v[12:13] op_sel:[0,1]
	v_pk_mov_b32 v[2:3], v[0:1], v[0:1] op_sel:[0,1]
.LBB80_60:                              ; =>This Inner Loop Header: Depth=1
	v_lshl_add_u32 v20, v4, 2, v16
	v_add_co_u32_e32 v4, vcc, 0x400, v4
	v_add_co_u32_e64 v14, s[2:3], -4, v14
	v_addc_co_u32_e32 v5, vcc, 0, v5, vcc
	v_addc_co_u32_e64 v15, s[2:3], -1, v15, s[2:3]
	v_lshl_add_u32 v19, v2, 2, v16
	v_add_co_u32_e32 v2, vcc, 0x400, v2
	v_cmp_eq_u64_e64 s[2:3], 0, v[14:15]
	s_or_b64 s[36:37], s[2:3], s[36:37]
	v_addc_co_u32_e32 v3, vcc, 0, v3, vcc
	ds_write_b32 v19, v17
	ds_write_b32 v20, v17
	ds_write_b32 v19, v17 offset:2048
	ds_write_b32 v20, v17 offset:2048
	s_andn2_b64 exec, exec, s[36:37]
	s_cbranch_execnz .LBB80_60
; %bb.61:
	s_or_b64 exec, exec, s[36:37]
	v_lshlrev_b64 v[2:3], 8, v[12:13]
	v_cmp_ne_u64_e32 vcc, v[10:11], v[12:13]
	v_or_b32_e32 v3, 0, v3
	v_or_b32_e32 v2, v2, v0
	s_orn2_b64 s[2:3], vcc, exec
.LBB80_62:
	s_or_b64 exec, exec, s[20:21]
	s_and_b64 exec, exec, s[2:3]
	s_cbranch_execz .LBB80_65
; %bb.63:
	v_mov_b32_e32 v4, 0x1000
	v_lshl_add_u32 v4, v2, 2, v4
	s_mov_b64 s[2:3], 0
	v_mov_b32_e32 v5, 0
.LBB80_64:                              ; =>This Inner Loop Header: Depth=1
	v_add_co_u32_e32 v2, vcc, 0x100, v2
	v_addc_co_u32_e32 v3, vcc, 0, v3, vcc
	v_cmp_le_i64_e32 vcc, s[6:7], v[2:3]
	ds_write_b32 v4, v5
	s_or_b64 s[2:3], vcc, s[2:3]
	v_add_u32_e32 v4, 0x400, v4
	s_andn2_b64 exec, exec, s[2:3]
	s_cbranch_execnz .LBB80_64
.LBB80_65:
	s_or_b64 exec, exec, s[4:5]
	s_sub_u32 s4, s26, s6
	v_pk_mov_b32 v[2:3], s[6:7], s[6:7] op_sel:[0,1]
	s_subb_u32 s5, s27, s7
	v_cmp_ge_i64_e32 vcc, s[26:27], v[2:3]
	s_and_b64 s[2:3], vcc, exec
	s_cselect_b32 s5, s5, 0
	s_cselect_b32 s4, s4, 0
	s_waitcnt lgkmcnt(0)
	s_barrier
	s_and_saveexec_b64 s[2:3], s[0:1]
	s_xor_b64 s[20:21], exec, s[2:3]
	s_cbranch_execz .LBB80_81
; %bb.66:
	s_lshl_b64 s[0:1], s[26:27], 3
	s_add_u32 s0, s16, s0
	s_addc_u32 s1, s17, s1
	s_load_dwordx2 s[0:1], s[0:1], 0x0
	s_waitcnt lgkmcnt(0)
	s_sub_u32 s36, s0, s8
	s_subb_u32 s37, s1, s9
	v_cmp_gt_i64_e32 vcc, s[36:37], v[0:1]
	s_and_saveexec_b64 s[38:39], vcc
	s_cbranch_execz .LBB80_80
; %bb.67:
	s_add_u32 s40, s26, -1
	s_addc_u32 s41, s27, -1
	s_add_u32 s2, s26, -2
	s_addc_u32 s3, s27, -1
	v_pk_mov_b32 v[2:3], s[24:25], s[24:25] op_sel:[0,1]
	s_cmp_lg_u64 s[2:3], s[24:25]
	v_cmp_gt_i64_e32 vcc, s[40:41], v[2:3]
	s_cselect_b64 s[2:3], -1, 0
	s_and_b64 s[2:3], vcc, s[2:3]
	s_sub_u32 s42, s0, s30
	v_cndmask_b32_e64 v2, 0, 1, s[2:3]
	s_subb_u32 s43, s1, 0
	s_mov_b64 s[44:45], 0
	v_cmp_ne_u32_e64 s[0:1], 1, v2
	v_mov_b32_e32 v12, s17
	v_mov_b32_e32 v13, s31
	;; [unrolled: 1-line block ×4, first 2 shown]
	s_mov_b64 s[46:47], 0
	s_branch .LBB80_69
.LBB80_68:                              ;   in Loop: Header=BB80_69 Depth=1
	s_or_b64 exec, exec, s[48:49]
	s_add_u32 s46, s46, 0x100
	s_addc_u32 s47, s47, 0
	v_mov_b32_e32 v3, s47
	v_add_co_u32_e32 v2, vcc, s46, v0
	v_addc_co_u32_e32 v3, vcc, 0, v3, vcc
	v_cmp_le_i64_e32 vcc, s[36:37], v[2:3]
	s_or_b64 s[44:45], vcc, s[44:45]
	s_andn2_b64 exec, exec, s[44:45]
	s_cbranch_execz .LBB80_80
.LBB80_69:                              ; =>This Loop Header: Depth=1
                                        ;     Child Loop BB80_71 Depth 2
                                        ;     Child Loop BB80_76 Depth 2
	v_mov_b32_e32 v3, s47
	v_add_co_u32_e32 v2, vcc, s46, v8
	v_addc_co_u32_e32 v3, vcc, v3, v9, vcc
	s_and_b64 vcc, exec, s[0:1]
	v_pk_mov_b32 v[4:5], s[24:25], s[24:25] op_sel:[0,1]
	v_pk_mov_b32 v[6:7], s[40:41], s[40:41] op_sel:[0,1]
	s_cbranch_vccnz .LBB80_73
; %bb.70:                               ;   in Loop: Header=BB80_69 Depth=1
	s_mov_b64 s[48:49], 0
	v_pk_mov_b32 v[4:5], s[24:25], s[24:25] op_sel:[0,1]
	v_pk_mov_b32 v[6:7], s[40:41], s[40:41] op_sel:[0,1]
.LBB80_71:                              ;   Parent Loop BB80_69 Depth=1
                                        ; =>  This Inner Loop Header: Depth=2
	v_add_co_u32_e32 v10, vcc, v6, v4
	v_addc_co_u32_e32 v11, vcc, v7, v5, vcc
	v_lshrrev_b32_e32 v16, 31, v11
	v_add_co_u32_e32 v10, vcc, v10, v16
	v_addc_co_u32_e32 v11, vcc, 0, v11, vcc
	v_ashrrev_i64 v[10:11], 1, v[10:11]
	v_lshlrev_b64 v[16:17], 3, v[10:11]
	v_mov_b32_e32 v19, s17
	v_add_co_u32_e32 v16, vcc, s16, v16
	v_addc_co_u32_e32 v17, vcc, v19, v17, vcc
	global_load_dwordx2 v[16:17], v[16:17], off
	v_mov_b32_e32 v19, s31
	s_waitcnt vmcnt(0)
	v_subrev_co_u32_e32 v16, vcc, s30, v16
	v_subb_co_u32_e32 v17, vcc, v17, v19, vcc
	v_cmp_gt_i64_e32 vcc, v[16:17], v[2:3]
	v_cndmask_b32_e32 v6, v6, v10, vcc
	v_cndmask_b32_e32 v7, v7, v11, vcc
	;; [unrolled: 1-line block ×3, first 2 shown]
	v_add_co_u32_e64 v10, s[2:3], -1, v6
	v_cndmask_b32_e32 v5, v11, v5, vcc
	v_addc_co_u32_e64 v11, s[2:3], -1, v7, s[2:3]
	v_cmp_ge_i64_e32 vcc, v[4:5], v[6:7]
	v_cmp_eq_u64_e64 s[2:3], v[4:5], v[10:11]
	s_or_b64 s[2:3], vcc, s[2:3]
	s_and_b64 s[2:3], exec, s[2:3]
	s_or_b64 s[48:49], s[2:3], s[48:49]
	s_andn2_b64 exec, exec, s[48:49]
	s_cbranch_execnz .LBB80_71
; %bb.72:                               ;   in Loop: Header=BB80_69 Depth=1
	s_or_b64 exec, exec, s[48:49]
.LBB80_73:                              ;   in Loop: Header=BB80_69 Depth=1
	v_lshlrev_b64 v[10:11], 3, v[6:7]
	v_add_co_u32_e32 v10, vcc, s16, v10
	v_addc_co_u32_e32 v11, vcc, v12, v11, vcc
	v_lshlrev_b64 v[16:17], 3, v[2:3]
	global_load_dwordx2 v[10:11], v[10:11], off
	v_add_co_u32_e32 v16, vcc, s18, v16
	v_addc_co_u32_e32 v17, vcc, v14, v17, vcc
	global_load_dwordx2 v[16:17], v[16:17], off
	v_cmp_gt_i64_e64 s[2:3], s[42:43], v[2:3]
	s_waitcnt vmcnt(1)
	v_subrev_co_u32_e32 v20, vcc, s30, v10
	v_subb_co_u32_e32 v21, vcc, v11, v13, vcc
	s_waitcnt vmcnt(0)
	v_subrev_co_u32_e32 v10, vcc, s30, v16
	v_subb_co_u32_e32 v11, vcc, v17, v13, vcc
	v_cmp_gt_i64_e32 vcc, v[20:21], v[2:3]
	v_cndmask_b32_e32 v5, v7, v5, vcc
	v_cndmask_b32_e32 v4, v6, v4, vcc
	v_cmp_ne_u64_e32 vcc, v[10:11], v[4:5]
	s_and_b64 s[2:3], vcc, s[2:3]
	s_and_saveexec_b64 s[48:49], s[2:3]
	s_cbranch_execz .LBB80_68
; %bb.74:                               ;   in Loop: Header=BB80_69 Depth=1
	v_add_co_u32_e32 v6, vcc, s46, v0
	v_cmp_gt_i64_e32 vcc, s[4:5], v[10:11]
	v_cmp_le_i64_e64 s[2:3], s[26:27], v[10:11]
	s_or_b64 s[2:3], vcc, s[2:3]
	v_lshlrev_b64 v[2:3], 1, v[4:5]
	v_lshlrev_b32_e32 v4, 2, v6
	s_and_saveexec_b64 s[50:51], s[2:3]
	s_xor_b64 s[2:3], exec, s[50:51]
	s_cbranch_execz .LBB80_78
; %bb.75:                               ;   in Loop: Header=BB80_69 Depth=1
	v_lshlrev_b64 v[6:7], 2, v[10:11]
	v_mov_b32_e32 v10, s23
	v_add_co_u32_e32 v2, vcc, s22, v2
	v_addc_co_u32_e32 v3, vcc, v10, v3, vcc
	v_mov_b32_e32 v5, s15
	global_load_ushort v10, v[2:3], off
	v_add_co_u32_e32 v2, vcc, s14, v6
	v_addc_co_u32_e32 v3, vcc, v5, v7, vcc
	global_load_dword v5, v[2:3], off
	ds_read_b32 v4, v4
	s_mov_b64 s[50:51], 0
	s_waitcnt vmcnt(1)
	v_lshlrev_b32_e32 v6, 16, v10
	s_waitcnt lgkmcnt(0)
	v_mul_f32_e32 v6, v4, v6
.LBB80_76:                              ;   Parent Loop BB80_69 Depth=1
                                        ; =>  This Inner Loop Header: Depth=2
	s_waitcnt vmcnt(0)
	v_add_f32_e32 v4, v5, v6
	global_atomic_cmpswap v4, v[2:3], v[4:5], off glc
	s_waitcnt vmcnt(0)
	v_cmp_eq_u32_e32 vcc, v4, v5
	s_or_b64 s[50:51], vcc, s[50:51]
	v_mov_b32_e32 v5, v4
	s_andn2_b64 exec, exec, s[50:51]
	s_cbranch_execnz .LBB80_76
; %bb.77:                               ;   in Loop: Header=BB80_69 Depth=1
	s_or_b64 exec, exec, s[50:51]
                                        ; implicit-def: $vgpr10
                                        ; implicit-def: $vgpr4
                                        ; implicit-def: $vgpr2_vgpr3
.LBB80_78:                              ;   in Loop: Header=BB80_69 Depth=1
	s_andn2_saveexec_b64 s[2:3], s[2:3]
	s_cbranch_execz .LBB80_68
; %bb.79:                               ;   in Loop: Header=BB80_69 Depth=1
	v_mov_b32_e32 v5, s23
	v_add_co_u32_e32 v2, vcc, s22, v2
	v_addc_co_u32_e32 v3, vcc, v5, v3, vcc
	global_load_ushort v2, v[2:3], off
	ds_read_b32 v3, v4
	v_subrev_u32_e32 v4, s4, v10
	v_lshl_add_u32 v4, v4, 2, v15
	s_waitcnt vmcnt(0)
	v_lshlrev_b32_e32 v2, 16, v2
	s_waitcnt lgkmcnt(0)
	v_mul_f32_e32 v2, v3, v2
	ds_add_f32 v4, v2
	s_branch .LBB80_68
.LBB80_80:
	s_or_b64 exec, exec, s[38:39]
                                        ; implicit-def: $vgpr6_vgpr7
                                        ; implicit-def: $vgpr8
.LBB80_81:
	s_andn2_saveexec_b64 s[20:21], s[20:21]
	s_cbranch_execz .LBB80_131
; %bb.82:
	s_add_u32 s36, s26, -1
	s_addc_u32 s37, s27, -1
	s_add_u32 s0, s26, -2
	s_addc_u32 s1, s27, -1
	v_pk_mov_b32 v[4:5], s[24:25], s[24:25] op_sel:[0,1]
	s_cmp_eq_u64 s[0:1], s[24:25]
	v_cmp_le_i64_e32 vcc, s[36:37], v[4:5]
	s_cselect_b64 s[0:1], -1, 0
	s_or_b64 s[2:3], vcc, s[0:1]
	s_and_b64 vcc, exec, s[2:3]
	v_pk_mov_b32 v[10:11], s[36:37], s[36:37] op_sel:[0,1]
	s_cbranch_vccnz .LBB80_86
; %bb.83:
	s_mov_b64 s[38:39], 0
	v_pk_mov_b32 v[4:5], s[24:25], s[24:25] op_sel:[0,1]
	v_pk_mov_b32 v[10:11], s[36:37], s[36:37] op_sel:[0,1]
	v_mov_b32_e32 v2, s17
	v_mov_b32_e32 v3, s31
.LBB80_84:                              ; =>This Inner Loop Header: Depth=1
	v_add_co_u32_e32 v12, vcc, v10, v4
	v_addc_co_u32_e32 v13, vcc, v11, v5, vcc
	v_lshrrev_b32_e32 v14, 31, v13
	v_add_co_u32_e32 v12, vcc, v12, v14
	v_addc_co_u32_e32 v13, vcc, 0, v13, vcc
	v_ashrrev_i64 v[12:13], 1, v[12:13]
	v_lshlrev_b64 v[14:15], 3, v[12:13]
	v_add_co_u32_e32 v14, vcc, s16, v14
	v_addc_co_u32_e32 v15, vcc, v2, v15, vcc
	global_load_dwordx2 v[14:15], v[14:15], off
	s_waitcnt vmcnt(0)
	v_subrev_co_u32_e32 v14, vcc, s30, v14
	v_subb_co_u32_e32 v15, vcc, v15, v3, vcc
	v_cmp_gt_i64_e32 vcc, v[14:15], v[8:9]
	v_cndmask_b32_e32 v10, v10, v12, vcc
	v_cndmask_b32_e32 v11, v11, v13, vcc
	;; [unrolled: 1-line block ×3, first 2 shown]
	v_add_co_u32_e64 v12, s[0:1], -1, v10
	v_cndmask_b32_e32 v5, v13, v5, vcc
	v_addc_co_u32_e64 v13, s[0:1], -1, v11, s[0:1]
	v_cmp_ge_i64_e32 vcc, v[4:5], v[10:11]
	v_cmp_eq_u64_e64 s[0:1], v[4:5], v[12:13]
	s_or_b64 s[0:1], vcc, s[0:1]
	s_and_b64 s[0:1], exec, s[0:1]
	s_or_b64 s[38:39], s[0:1], s[38:39]
	s_andn2_b64 exec, exec, s[38:39]
	s_cbranch_execnz .LBB80_84
; %bb.85:
	s_or_b64 exec, exec, s[38:39]
.LBB80_86:
	v_lshlrev_b64 v[2:3], 3, v[10:11]
	v_mov_b32_e32 v12, s17
	v_add_co_u32_e32 v2, vcc, s16, v2
	v_addc_co_u32_e32 v3, vcc, v12, v3, vcc
	global_load_dwordx2 v[12:13], v[2:3], off
	v_lshlrev_b64 v[2:3], 3, v[8:9]
	v_mov_b32_e32 v14, s19
	v_add_co_u32_e32 v2, vcc, s18, v2
	v_addc_co_u32_e32 v3, vcc, v14, v3, vcc
	global_load_dwordx2 v[14:15], v[2:3], off
	v_mov_b32_e32 v16, s31
	s_xor_b64 s[2:3], s[2:3], -1
	s_lshl_b64 s[0:1], s[26:27], 3
	s_add_u32 s18, s16, s0
	s_addc_u32 s19, s17, s1
	s_waitcnt vmcnt(1)
	v_subrev_co_u32_e32 v12, vcc, s30, v12
	v_subb_co_u32_e32 v13, vcc, v13, v16, vcc
	v_cmp_gt_i64_e32 vcc, v[12:13], v[8:9]
	v_cndmask_b32_e32 v11, v11, v5, vcc
	v_cndmask_b32_e32 v10, v10, v4, vcc
	s_waitcnt vmcnt(0)
	v_subrev_co_u32_e32 v4, vcc, s30, v14
	v_subb_co_u32_e32 v5, vcc, v15, v16, vcc
	v_cmp_ne_u64_e32 vcc, v[4:5], v[10:11]
	s_and_saveexec_b64 s[38:39], vcc
	s_cbranch_execz .LBB80_94
; %bb.87:
	s_load_dwordx2 s[0:1], s[18:19], 0x0
	s_waitcnt lgkmcnt(0)
	s_sub_u32 s0, s0, s30
	s_subb_u32 s1, s1, 0
	v_cmp_gt_i64_e32 vcc, s[0:1], v[8:9]
	s_and_b64 exec, exec, vcc
	s_cbranch_execz .LBB80_94
; %bb.88:
	v_cmp_gt_i64_e32 vcc, s[4:5], v[4:5]
	v_cmp_le_i64_e64 s[0:1], s[26:27], v[4:5]
	s_or_b64 s[0:1], vcc, s[0:1]
	v_lshlrev_b64 v[10:11], 1, v[10:11]
	s_and_saveexec_b64 s[40:41], s[0:1]
	s_xor_b64 s[0:1], exec, s[40:41]
	s_cbranch_execz .LBB80_92
; %bb.89:
	v_mov_b32_e32 v13, s23
	v_add_co_u32_e32 v10, vcc, s22, v10
	v_lshlrev_b64 v[4:5], 2, v[4:5]
	v_addc_co_u32_e32 v11, vcc, v13, v11, vcc
	v_mov_b32_e32 v12, s15
	global_load_ushort v10, v[10:11], off
	v_add_co_u32_e32 v4, vcc, s14, v4
	v_addc_co_u32_e32 v5, vcc, v12, v5, vcc
	global_load_dword v11, v[4:5], off
	ds_read_b32 v12, v18
	s_mov_b64 s[40:41], 0
	s_waitcnt vmcnt(1)
	v_lshlrev_b32_e32 v10, 16, v10
	s_waitcnt lgkmcnt(0)
	v_mul_f32_e32 v12, v12, v10
.LBB80_90:                              ; =>This Inner Loop Header: Depth=1
	s_waitcnt vmcnt(0)
	v_add_f32_e32 v10, v11, v12
	global_atomic_cmpswap v10, v[4:5], v[10:11], off glc
	s_waitcnt vmcnt(0)
	v_cmp_eq_u32_e32 vcc, v10, v11
	s_or_b64 s[40:41], vcc, s[40:41]
	v_mov_b32_e32 v11, v10
	s_andn2_b64 exec, exec, s[40:41]
	s_cbranch_execnz .LBB80_90
; %bb.91:
	s_or_b64 exec, exec, s[40:41]
                                        ; implicit-def: $vgpr4
                                        ; implicit-def: $vgpr10_vgpr11
.LBB80_92:
	s_andn2_saveexec_b64 s[0:1], s[0:1]
	s_cbranch_execz .LBB80_94
; %bb.93:
	v_mov_b32_e32 v5, s23
	v_add_co_u32_e32 v10, vcc, s22, v10
	v_addc_co_u32_e32 v11, vcc, v5, v11, vcc
	global_load_ushort v5, v[10:11], off
	ds_read_b32 v10, v18
	v_subrev_u32_e32 v4, s4, v4
	v_mov_b32_e32 v11, 0x1000
	v_lshl_add_u32 v4, v4, 2, v11
	s_waitcnt vmcnt(0)
	v_lshlrev_b32_e32 v5, 16, v5
	s_waitcnt lgkmcnt(0)
	v_mul_f32_e32 v5, v10, v5
	ds_add_f32 v4, v5
.LBB80_94:
	s_or_b64 exec, exec, s[38:39]
	v_add_co_u32_e32 v4, vcc, 0x100, v8
	v_addc_co_u32_e32 v5, vcc, 0, v9, vcc
	v_cndmask_b32_e64 v10, 0, 1, s[2:3]
	v_cmp_ne_u32_e64 s[0:1], 1, v10
	s_andn2_b64 vcc, exec, s[2:3]
	v_pk_mov_b32 v[10:11], s[24:25], s[24:25] op_sel:[0,1]
	v_pk_mov_b32 v[12:13], s[36:37], s[36:37] op_sel:[0,1]
	s_cbranch_vccnz .LBB80_98
; %bb.95:
	s_mov_b64 s[38:39], 0
	v_pk_mov_b32 v[10:11], s[24:25], s[24:25] op_sel:[0,1]
	v_pk_mov_b32 v[12:13], s[36:37], s[36:37] op_sel:[0,1]
	v_mov_b32_e32 v14, s17
	v_mov_b32_e32 v15, s31
.LBB80_96:                              ; =>This Inner Loop Header: Depth=1
	v_add_co_u32_e32 v16, vcc, v12, v10
	v_addc_co_u32_e32 v17, vcc, v13, v11, vcc
	v_lshrrev_b32_e32 v19, 31, v17
	v_add_co_u32_e32 v16, vcc, v16, v19
	v_addc_co_u32_e32 v17, vcc, 0, v17, vcc
	v_ashrrev_i64 v[16:17], 1, v[16:17]
	v_lshlrev_b64 v[20:21], 3, v[16:17]
	v_add_co_u32_e32 v20, vcc, s16, v20
	v_addc_co_u32_e32 v21, vcc, v14, v21, vcc
	global_load_dwordx2 v[20:21], v[20:21], off
	s_waitcnt vmcnt(0)
	v_subrev_co_u32_e32 v20, vcc, s30, v20
	v_subb_co_u32_e32 v21, vcc, v21, v15, vcc
	v_cmp_gt_i64_e32 vcc, v[20:21], v[4:5]
	v_cndmask_b32_e32 v12, v12, v16, vcc
	v_cndmask_b32_e32 v13, v13, v17, vcc
	v_cndmask_b32_e32 v10, v16, v10, vcc
	v_add_co_u32_e64 v16, s[2:3], -1, v12
	v_cndmask_b32_e32 v11, v17, v11, vcc
	v_addc_co_u32_e64 v17, s[2:3], -1, v13, s[2:3]
	v_cmp_ge_i64_e32 vcc, v[10:11], v[12:13]
	v_cmp_eq_u64_e64 s[2:3], v[10:11], v[16:17]
	s_or_b64 s[2:3], vcc, s[2:3]
	s_and_b64 s[2:3], exec, s[2:3]
	s_or_b64 s[38:39], s[2:3], s[38:39]
	s_andn2_b64 exec, exec, s[38:39]
	s_cbranch_execnz .LBB80_96
; %bb.97:
	s_or_b64 exec, exec, s[38:39]
.LBB80_98:
	v_lshlrev_b64 v[14:15], 3, v[12:13]
	v_mov_b32_e32 v16, s17
	v_add_co_u32_e32 v14, vcc, s16, v14
	v_addc_co_u32_e32 v15, vcc, v16, v15, vcc
	global_load_dwordx2 v[16:17], v[14:15], off
	global_load_dwordx2 v[20:21], v[2:3], off offset:2048
	v_mov_b32_e32 v19, s31
	s_waitcnt vmcnt(1)
	v_subrev_co_u32_e32 v14, vcc, s30, v16
	v_subb_co_u32_e32 v15, vcc, v17, v19, vcc
	v_cmp_gt_i64_e32 vcc, v[14:15], v[4:5]
	v_cndmask_b32_e32 v13, v13, v11, vcc
	v_cndmask_b32_e32 v12, v12, v10, vcc
	s_waitcnt vmcnt(0)
	v_subrev_co_u32_e32 v10, vcc, s30, v20
	v_subb_co_u32_e32 v11, vcc, v21, v19, vcc
	v_cmp_ne_u64_e32 vcc, v[10:11], v[12:13]
	s_and_saveexec_b64 s[38:39], vcc
	s_cbranch_execz .LBB80_106
; %bb.99:
	s_load_dwordx2 s[2:3], s[18:19], 0x0
	s_waitcnt lgkmcnt(0)
	s_sub_u32 s2, s2, s30
	s_subb_u32 s3, s3, 0
	v_cmp_gt_i64_e32 vcc, s[2:3], v[4:5]
	s_and_b64 exec, exec, vcc
	s_cbranch_execz .LBB80_106
; %bb.100:
	v_cmp_gt_i64_e32 vcc, s[4:5], v[10:11]
	v_cmp_le_i64_e64 s[2:3], s[26:27], v[10:11]
	s_or_b64 s[2:3], vcc, s[2:3]
	v_lshlrev_b64 v[4:5], 1, v[12:13]
	s_and_saveexec_b64 s[40:41], s[2:3]
	s_xor_b64 s[2:3], exec, s[40:41]
	s_cbranch_execz .LBB80_104
; %bb.101:
	v_mov_b32_e32 v13, s23
	v_add_co_u32_e32 v4, vcc, s22, v4
	v_lshlrev_b64 v[10:11], 2, v[10:11]
	v_addc_co_u32_e32 v5, vcc, v13, v5, vcc
	v_mov_b32_e32 v12, s15
	global_load_ushort v13, v[4:5], off
	v_add_co_u32_e32 v4, vcc, s14, v10
	v_addc_co_u32_e32 v5, vcc, v12, v11, vcc
	global_load_dword v11, v[4:5], off
	ds_read_b32 v10, v18 offset:1024
	s_mov_b64 s[40:41], 0
	s_waitcnt vmcnt(1)
	v_lshlrev_b32_e32 v12, 16, v13
	s_waitcnt lgkmcnt(0)
	v_mul_f32_e32 v12, v10, v12
.LBB80_102:                             ; =>This Inner Loop Header: Depth=1
	s_waitcnt vmcnt(0)
	v_add_f32_e32 v10, v11, v12
	global_atomic_cmpswap v10, v[4:5], v[10:11], off glc
	s_waitcnt vmcnt(0)
	v_cmp_eq_u32_e32 vcc, v10, v11
	s_or_b64 s[40:41], vcc, s[40:41]
	v_mov_b32_e32 v11, v10
	s_andn2_b64 exec, exec, s[40:41]
	s_cbranch_execnz .LBB80_102
; %bb.103:
	s_or_b64 exec, exec, s[40:41]
                                        ; implicit-def: $vgpr10
                                        ; implicit-def: $vgpr4_vgpr5
.LBB80_104:
	s_andn2_saveexec_b64 s[2:3], s[2:3]
	s_cbranch_execz .LBB80_106
; %bb.105:
	v_mov_b32_e32 v11, s23
	v_add_co_u32_e32 v4, vcc, s22, v4
	v_addc_co_u32_e32 v5, vcc, v11, v5, vcc
	global_load_ushort v4, v[4:5], off
	ds_read_b32 v5, v18 offset:1024
	v_subrev_u32_e32 v10, s4, v10
	v_mov_b32_e32 v11, 0x1000
	v_lshl_add_u32 v10, v10, 2, v11
	s_waitcnt vmcnt(0)
	v_lshlrev_b32_e32 v4, 16, v4
	s_waitcnt lgkmcnt(0)
	v_mul_f32_e32 v4, v5, v4
	ds_add_f32 v10, v4
.LBB80_106:
	s_or_b64 exec, exec, s[38:39]
	v_add_co_u32_e32 v4, vcc, 0x200, v8
	v_addc_co_u32_e32 v5, vcc, 0, v9, vcc
	s_and_b64 vcc, exec, s[0:1]
	v_pk_mov_b32 v[8:9], s[24:25], s[24:25] op_sel:[0,1]
	v_pk_mov_b32 v[10:11], s[36:37], s[36:37] op_sel:[0,1]
	s_cbranch_vccnz .LBB80_110
; %bb.107:
	s_mov_b64 s[38:39], 0
	v_pk_mov_b32 v[8:9], s[24:25], s[24:25] op_sel:[0,1]
	v_pk_mov_b32 v[10:11], s[36:37], s[36:37] op_sel:[0,1]
	v_mov_b32_e32 v12, s17
	v_mov_b32_e32 v13, s31
.LBB80_108:                             ; =>This Inner Loop Header: Depth=1
	v_add_co_u32_e32 v14, vcc, v10, v8
	v_addc_co_u32_e32 v15, vcc, v11, v9, vcc
	v_lshrrev_b32_e32 v16, 31, v15
	v_add_co_u32_e32 v14, vcc, v14, v16
	v_addc_co_u32_e32 v15, vcc, 0, v15, vcc
	v_ashrrev_i64 v[14:15], 1, v[14:15]
	v_lshlrev_b64 v[16:17], 3, v[14:15]
	v_add_co_u32_e32 v16, vcc, s16, v16
	v_addc_co_u32_e32 v17, vcc, v12, v17, vcc
	global_load_dwordx2 v[16:17], v[16:17], off
	s_waitcnt vmcnt(0)
	v_subrev_co_u32_e32 v16, vcc, s30, v16
	v_subb_co_u32_e32 v17, vcc, v17, v13, vcc
	v_cmp_gt_i64_e32 vcc, v[16:17], v[4:5]
	v_cndmask_b32_e32 v10, v10, v14, vcc
	v_cndmask_b32_e32 v11, v11, v15, vcc
	;; [unrolled: 1-line block ×3, first 2 shown]
	v_add_co_u32_e64 v14, s[2:3], -1, v10
	v_cndmask_b32_e32 v9, v15, v9, vcc
	v_addc_co_u32_e64 v15, s[2:3], -1, v11, s[2:3]
	v_cmp_ge_i64_e32 vcc, v[8:9], v[10:11]
	v_cmp_eq_u64_e64 s[2:3], v[8:9], v[14:15]
	s_or_b64 s[2:3], vcc, s[2:3]
	s_and_b64 s[2:3], exec, s[2:3]
	s_or_b64 s[38:39], s[2:3], s[38:39]
	s_andn2_b64 exec, exec, s[38:39]
	s_cbranch_execnz .LBB80_108
; %bb.109:
	s_or_b64 exec, exec, s[38:39]
.LBB80_110:
	v_lshlrev_b64 v[12:13], 3, v[10:11]
	v_mov_b32_e32 v14, s17
	v_add_co_u32_e32 v12, vcc, s16, v12
	v_addc_co_u32_e32 v13, vcc, v14, v13, vcc
	global_load_dwordx2 v[12:13], v[12:13], off
	v_add_co_u32_e32 v14, vcc, 0x1000, v2
	v_addc_co_u32_e32 v15, vcc, 0, v3, vcc
	global_load_dwordx2 v[14:15], v[14:15], off
	v_mov_b32_e32 v16, s31
	s_waitcnt vmcnt(1)
	v_subrev_co_u32_e32 v12, vcc, s30, v12
	v_subb_co_u32_e32 v13, vcc, v13, v16, vcc
	v_cmp_gt_i64_e32 vcc, v[12:13], v[4:5]
	v_cndmask_b32_e32 v11, v11, v9, vcc
	v_cndmask_b32_e32 v10, v10, v8, vcc
	s_waitcnt vmcnt(0)
	v_subrev_co_u32_e32 v8, vcc, s30, v14
	v_subb_co_u32_e32 v9, vcc, v15, v16, vcc
	v_cmp_ne_u64_e32 vcc, v[8:9], v[10:11]
	s_and_saveexec_b64 s[38:39], vcc
	s_cbranch_execz .LBB80_118
; %bb.111:
	s_load_dwordx2 s[2:3], s[18:19], 0x0
	s_waitcnt lgkmcnt(0)
	s_sub_u32 s2, s2, s30
	s_subb_u32 s3, s3, 0
	v_cmp_gt_i64_e32 vcc, s[2:3], v[4:5]
	s_and_b64 exec, exec, vcc
	s_cbranch_execz .LBB80_118
; %bb.112:
	v_cmp_gt_i64_e32 vcc, s[4:5], v[8:9]
	v_cmp_le_i64_e64 s[2:3], s[26:27], v[8:9]
	s_or_b64 s[2:3], vcc, s[2:3]
	v_lshlrev_b64 v[4:5], 1, v[10:11]
	s_and_saveexec_b64 s[40:41], s[2:3]
	s_xor_b64 s[2:3], exec, s[40:41]
	s_cbranch_execz .LBB80_116
; %bb.113:
	v_mov_b32_e32 v11, s23
	v_add_co_u32_e32 v4, vcc, s22, v4
	v_lshlrev_b64 v[8:9], 2, v[8:9]
	v_addc_co_u32_e32 v5, vcc, v11, v5, vcc
	v_mov_b32_e32 v10, s15
	global_load_ushort v11, v[4:5], off
	v_add_co_u32_e32 v4, vcc, s14, v8
	v_addc_co_u32_e32 v5, vcc, v10, v9, vcc
	global_load_dword v9, v[4:5], off
	ds_read_b32 v8, v18 offset:2048
	s_mov_b64 s[40:41], 0
	s_waitcnt vmcnt(1)
	v_lshlrev_b32_e32 v10, 16, v11
	s_waitcnt lgkmcnt(0)
	v_mul_f32_e32 v10, v8, v10
.LBB80_114:                             ; =>This Inner Loop Header: Depth=1
	s_waitcnt vmcnt(0)
	v_add_f32_e32 v8, v9, v10
	global_atomic_cmpswap v8, v[4:5], v[8:9], off glc
	s_waitcnt vmcnt(0)
	v_cmp_eq_u32_e32 vcc, v8, v9
	s_or_b64 s[40:41], vcc, s[40:41]
	v_mov_b32_e32 v9, v8
	s_andn2_b64 exec, exec, s[40:41]
	s_cbranch_execnz .LBB80_114
; %bb.115:
	s_or_b64 exec, exec, s[40:41]
                                        ; implicit-def: $vgpr8
                                        ; implicit-def: $vgpr4_vgpr5
.LBB80_116:
	s_andn2_saveexec_b64 s[2:3], s[2:3]
	s_cbranch_execz .LBB80_118
; %bb.117:
	v_mov_b32_e32 v9, s23
	v_add_co_u32_e32 v4, vcc, s22, v4
	v_addc_co_u32_e32 v5, vcc, v9, v5, vcc
	global_load_ushort v4, v[4:5], off
	ds_read_b32 v5, v18 offset:2048
	v_subrev_u32_e32 v8, s4, v8
	v_mov_b32_e32 v9, 0x1000
	v_lshl_add_u32 v8, v8, 2, v9
	s_waitcnt vmcnt(0)
	v_lshlrev_b32_e32 v4, 16, v4
	s_waitcnt lgkmcnt(0)
	v_mul_f32_e32 v4, v5, v4
	ds_add_f32 v8, v4
.LBB80_118:
	s_or_b64 exec, exec, s[38:39]
	s_and_b64 vcc, exec, s[0:1]
	v_pk_mov_b32 v[4:5], s[24:25], s[24:25] op_sel:[0,1]
	v_pk_mov_b32 v[8:9], s[36:37], s[36:37] op_sel:[0,1]
	s_cbranch_vccnz .LBB80_122
; %bb.119:
	s_mov_b64 s[2:3], 0
	v_pk_mov_b32 v[4:5], s[24:25], s[24:25] op_sel:[0,1]
	v_pk_mov_b32 v[8:9], s[36:37], s[36:37] op_sel:[0,1]
	v_mov_b32_e32 v10, s17
	v_mov_b32_e32 v11, s31
.LBB80_120:                             ; =>This Inner Loop Header: Depth=1
	v_add_co_u32_e32 v12, vcc, v8, v4
	v_addc_co_u32_e32 v13, vcc, v9, v5, vcc
	v_lshrrev_b32_e32 v14, 31, v13
	v_add_co_u32_e32 v12, vcc, v12, v14
	v_addc_co_u32_e32 v13, vcc, 0, v13, vcc
	v_ashrrev_i64 v[12:13], 1, v[12:13]
	v_lshlrev_b64 v[14:15], 3, v[12:13]
	v_add_co_u32_e32 v14, vcc, s16, v14
	v_addc_co_u32_e32 v15, vcc, v10, v15, vcc
	global_load_dwordx2 v[14:15], v[14:15], off
	s_waitcnt vmcnt(0)
	v_subrev_co_u32_e32 v14, vcc, s30, v14
	v_subb_co_u32_e32 v15, vcc, v15, v11, vcc
	v_cmp_gt_i64_e32 vcc, v[14:15], v[6:7]
	v_cndmask_b32_e32 v8, v8, v12, vcc
	v_cndmask_b32_e32 v9, v9, v13, vcc
	v_cndmask_b32_e32 v4, v12, v4, vcc
	v_add_co_u32_e64 v12, s[0:1], -1, v8
	v_cndmask_b32_e32 v5, v13, v5, vcc
	v_addc_co_u32_e64 v13, s[0:1], -1, v9, s[0:1]
	v_cmp_ge_i64_e32 vcc, v[4:5], v[8:9]
	v_cmp_eq_u64_e64 s[0:1], v[4:5], v[12:13]
	s_or_b64 s[0:1], vcc, s[0:1]
	s_and_b64 s[0:1], exec, s[0:1]
	s_or_b64 s[2:3], s[0:1], s[2:3]
	s_andn2_b64 exec, exec, s[2:3]
	s_cbranch_execnz .LBB80_120
; %bb.121:
	s_or_b64 exec, exec, s[2:3]
.LBB80_122:
	v_lshlrev_b64 v[10:11], 3, v[8:9]
	v_mov_b32_e32 v12, s17
	v_add_co_u32_e32 v10, vcc, s16, v10
	v_addc_co_u32_e32 v11, vcc, v12, v11, vcc
	global_load_dwordx2 v[10:11], v[10:11], off
	v_add_co_u32_e32 v2, vcc, 0x1000, v2
	v_addc_co_u32_e32 v3, vcc, 0, v3, vcc
	global_load_dwordx2 v[2:3], v[2:3], off offset:2048
	v_mov_b32_e32 v12, s31
	s_waitcnt vmcnt(1)
	v_subrev_co_u32_e32 v10, vcc, s30, v10
	v_subb_co_u32_e32 v11, vcc, v11, v12, vcc
	v_cmp_gt_i64_e32 vcc, v[10:11], v[6:7]
	v_cndmask_b32_e32 v5, v9, v5, vcc
	v_cndmask_b32_e32 v4, v8, v4, vcc
	s_waitcnt vmcnt(0)
	v_subrev_co_u32_e32 v2, vcc, s30, v2
	v_subb_co_u32_e32 v3, vcc, v3, v12, vcc
	v_cmp_ne_u64_e32 vcc, v[2:3], v[4:5]
	s_and_saveexec_b64 s[2:3], vcc
	s_cbranch_execz .LBB80_130
; %bb.123:
	s_load_dwordx2 s[0:1], s[18:19], 0x0
	s_waitcnt lgkmcnt(0)
	s_sub_u32 s0, s0, s30
	s_subb_u32 s1, s1, 0
	v_cmp_gt_i64_e32 vcc, s[0:1], v[6:7]
	s_and_b64 exec, exec, vcc
	s_cbranch_execz .LBB80_130
; %bb.124:
	v_cmp_gt_i64_e32 vcc, s[4:5], v[2:3]
	v_cmp_le_i64_e64 s[0:1], s[26:27], v[2:3]
	s_or_b64 s[0:1], vcc, s[0:1]
	v_lshlrev_b64 v[4:5], 1, v[4:5]
	s_and_saveexec_b64 s[18:19], s[0:1]
	s_xor_b64 s[0:1], exec, s[18:19]
	s_cbranch_execz .LBB80_128
; %bb.125:
	v_mov_b32_e32 v7, s23
	v_add_co_u32_e32 v4, vcc, s22, v4
	v_lshlrev_b64 v[2:3], 2, v[2:3]
	v_addc_co_u32_e32 v5, vcc, v7, v5, vcc
	v_mov_b32_e32 v6, s15
	global_load_ushort v4, v[4:5], off
	v_add_co_u32_e32 v2, vcc, s14, v2
	v_addc_co_u32_e32 v3, vcc, v6, v3, vcc
	global_load_dword v5, v[2:3], off
	ds_read_b32 v6, v18 offset:3072
	s_mov_b64 s[18:19], 0
	s_waitcnt vmcnt(1)
	v_lshlrev_b32_e32 v4, 16, v4
	s_waitcnt lgkmcnt(0)
	v_mul_f32_e32 v6, v6, v4
.LBB80_126:                             ; =>This Inner Loop Header: Depth=1
	s_waitcnt vmcnt(0)
	v_add_f32_e32 v4, v5, v6
	global_atomic_cmpswap v4, v[2:3], v[4:5], off glc
	s_waitcnt vmcnt(0)
	v_cmp_eq_u32_e32 vcc, v4, v5
	s_or_b64 s[18:19], vcc, s[18:19]
	v_mov_b32_e32 v5, v4
	s_andn2_b64 exec, exec, s[18:19]
	s_cbranch_execnz .LBB80_126
; %bb.127:
	s_or_b64 exec, exec, s[18:19]
                                        ; implicit-def: $vgpr2
                                        ; implicit-def: $vgpr4_vgpr5
.LBB80_128:
	s_andn2_saveexec_b64 s[0:1], s[0:1]
	s_cbranch_execz .LBB80_130
; %bb.129:
	v_mov_b32_e32 v3, s23
	v_add_co_u32_e32 v4, vcc, s22, v4
	v_addc_co_u32_e32 v5, vcc, v3, v5, vcc
	global_load_ushort v3, v[4:5], off
	ds_read_b32 v4, v18 offset:3072
	v_subrev_u32_e32 v2, s4, v2
	v_mov_b32_e32 v5, 0x1000
	v_lshl_add_u32 v2, v2, 2, v5
	s_waitcnt vmcnt(0)
	v_lshlrev_b32_e32 v3, 16, v3
	s_waitcnt lgkmcnt(0)
	v_mul_f32_e32 v3, v4, v3
	ds_add_f32 v2, v3
.LBB80_130:
	s_or_b64 exec, exec, s[2:3]
.LBB80_131:
	s_or_b64 exec, exec, s[20:21]
	v_pk_mov_b32 v[2:3], s[6:7], s[6:7] op_sel:[0,1]
	v_cmp_lt_i64_e32 vcc, s[26:27], v[2:3]
	s_and_b64 s[0:1], vcc, exec
	s_cselect_b32 s18, s26, s6
	s_cselect_b32 s0, s27, s7
	s_sub_u32 s2, s18, s28
	s_subb_u32 s3, s0, s29
	v_cmp_gt_i64_e32 vcc, s[2:3], v[0:1]
	s_waitcnt lgkmcnt(0)
	s_barrier
	s_and_saveexec_b64 s[0:1], vcc
	s_cbranch_execz .LBB80_136
; %bb.132:
	s_lshl_b64 s[4:5], s[4:5], 2
	s_add_u32 s19, s14, s4
	s_addc_u32 s6, s15, s5
	s_mov_b64 s[4:5], 0
	v_mov_b32_e32 v8, s6
	v_mov_b32_e32 v9, 0x1000
	v_pk_mov_b32 v[2:3], v[0:1], v[0:1] op_sel:[0,1]
.LBB80_133:                             ; =>This Loop Header: Depth=1
                                        ;     Child Loop BB80_134 Depth 2
	v_lshlrev_b64 v[4:5], 2, v[2:3]
	v_add_co_u32_e32 v4, vcc, s19, v4
	v_addc_co_u32_e32 v5, vcc, v8, v5, vcc
	global_load_dword v7, v[4:5], off
	v_lshl_add_u32 v6, v2, 2, v9
	ds_read_b32 v10, v6
	s_mov_b64 s[6:7], 0
.LBB80_134:                             ;   Parent Loop BB80_133 Depth=1
                                        ; =>  This Inner Loop Header: Depth=2
	s_waitcnt vmcnt(0) lgkmcnt(0)
	v_add_f32_e32 v6, v7, v10
	global_atomic_cmpswap v6, v[4:5], v[6:7], off glc
	s_waitcnt vmcnt(0)
	v_cmp_eq_u32_e32 vcc, v6, v7
	s_or_b64 s[6:7], vcc, s[6:7]
	v_mov_b32_e32 v7, v6
	s_andn2_b64 exec, exec, s[6:7]
	s_cbranch_execnz .LBB80_134
; %bb.135:                              ;   in Loop: Header=BB80_133 Depth=1
	s_or_b64 exec, exec, s[6:7]
	v_add_co_u32_e32 v2, vcc, 0x100, v2
	v_addc_co_u32_e32 v3, vcc, 0, v3, vcc
	v_cmp_le_i64_e32 vcc, s[2:3], v[2:3]
	s_or_b64 s[4:5], vcc, s[4:5]
	s_andn2_b64 exec, exec, s[4:5]
	s_cbranch_execnz .LBB80_133
.LBB80_136:
	s_or_b64 exec, exec, s[0:1]
	s_add_i32 s0, s34, -1
	s_ashr_i32 s1, s0, 1
	s_or_b32 s0, s1, s0
	s_ashr_i32 s1, s0, 2
	s_or_b32 s0, s1, s0
	;; [unrolled: 2-line block ×5, first 2 shown]
	s_add_i32 s3, s3, 1
	s_ashr_i32 s20, s3, 1
	v_mov_b32_e32 v2, s25
	v_add_co_u32_e32 v6, vcc, s24, v0
	v_addc_co_u32_e32 v7, vcc, 0, v2, vcc
	s_cmp_gt_i32 s20, 1
	s_mov_b64 s[0:1], -1
	s_barrier
	s_cbranch_scc1 .LBB80_147
; %bb.137:
	v_cmp_gt_i64_e32 vcc, s[26:27], v[6:7]
	s_and_saveexec_b64 s[0:1], vcc
	s_cbranch_execz .LBB80_146
; %bb.138:
	s_sub_i32 s4, s18, s26
	s_lshl_b32 s4, s4, 2
	s_add_i32 s21, s4, 0x1000
	s_lshl_b32 s4, s8, 2
	s_sub_i32 s22, 0, s4
	s_mov_b64 s[4:5], 0
	v_mov_b32_e32 v12, s17
	v_mov_b32_e32 v13, s15
	;; [unrolled: 1-line block ×3, first 2 shown]
	v_pk_mov_b32 v[8:9], v[6:7], v[6:7] op_sel:[0,1]
.LBB80_139:                             ; =>This Loop Header: Depth=1
                                        ;     Child Loop BB80_141 Depth 2
                                        ;     Child Loop BB80_144 Depth 2
	v_lshlrev_b64 v[2:3], 3, v[8:9]
	v_add_co_u32_e32 v2, vcc, s16, v2
	v_addc_co_u32_e32 v3, vcc, v12, v3, vcc
	global_load_dwordx4 v[2:5], v[2:3], off
	v_mov_b32_e32 v15, 0
	s_waitcnt vmcnt(0)
	v_cmp_lt_i64_e32 vcc, v[2:3], v[4:5]
	s_and_saveexec_b64 s[6:7], vcc
	s_cbranch_execz .LBB80_143
; %bb.140:                              ;   in Loop: Header=BB80_139 Depth=1
	v_mov_b32_e32 v11, s9
	v_subrev_co_u32_e32 v4, vcc, s8, v4
	v_subb_co_u32_e32 v5, vcc, v5, v11, vcc
	v_subrev_co_u32_e32 v10, vcc, s8, v2
	v_subb_co_u32_e32 v11, vcc, v3, v11, vcc
	v_lshl_add_u32 v2, v2, 2, s22
	s_mov_b64 s[18:19], 0
	v_mov_b32_e32 v15, 0
.LBB80_141:                             ;   Parent Loop BB80_139 Depth=1
                                        ; =>  This Inner Loop Header: Depth=2
	ds_read_b32 v3, v2
	v_add_co_u32_e32 v10, vcc, 1, v10
	v_addc_co_u32_e32 v11, vcc, 0, v11, vcc
	v_cmp_ge_i64_e32 vcc, v[10:11], v[4:5]
	v_add_u32_e32 v2, 4, v2
	s_or_b64 s[18:19], vcc, s[18:19]
	s_waitcnt lgkmcnt(0)
	v_add_f32_e32 v15, v15, v3
	s_andn2_b64 exec, exec, s[18:19]
	s_cbranch_execnz .LBB80_141
; %bb.142:                              ;   in Loop: Header=BB80_139 Depth=1
	s_or_b64 exec, exec, s[18:19]
.LBB80_143:                             ;   in Loop: Header=BB80_139 Depth=1
	s_or_b64 exec, exec, s[6:7]
	v_lshlrev_b64 v[2:3], 2, v[8:9]
	v_add_co_u32_e32 v2, vcc, s14, v2
	v_addc_co_u32_e32 v3, vcc, v13, v3, vcc
	global_load_dword v5, v[2:3], off
	v_lshl_add_u32 v4, v8, 2, s21
	ds_read_b32 v4, v4
	s_mov_b64 s[6:7], 0
	s_waitcnt lgkmcnt(0)
	v_add_f32_e32 v10, v15, v4
.LBB80_144:                             ;   Parent Loop BB80_139 Depth=1
                                        ; =>  This Inner Loop Header: Depth=2
	s_waitcnt vmcnt(0)
	v_add_f32_e32 v4, v5, v10
	global_atomic_cmpswap v4, v[2:3], v[4:5], off glc
	s_waitcnt vmcnt(0)
	v_cmp_eq_u32_e32 vcc, v4, v5
	s_or_b64 s[6:7], vcc, s[6:7]
	v_mov_b32_e32 v5, v4
	s_andn2_b64 exec, exec, s[6:7]
	s_cbranch_execnz .LBB80_144
; %bb.145:                              ;   in Loop: Header=BB80_139 Depth=1
	s_or_b64 exec, exec, s[6:7]
	v_add_co_u32_e32 v8, vcc, s12, v8
	v_addc_co_u32_e32 v9, vcc, v9, v14, vcc
	v_cmp_le_i64_e32 vcc, s[26:27], v[8:9]
	s_or_b64 s[4:5], vcc, s[4:5]
	s_andn2_b64 exec, exec, s[4:5]
	s_cbranch_execnz .LBB80_139
.LBB80_146:
	s_or_b64 exec, exec, s[0:1]
	s_mov_b64 s[0:1], 0
.LBB80_147:
	s_andn2_b64 vcc, exec, s[0:1]
	s_cbranch_vccnz .LBB80_176
; %bb.148:
	v_cvt_f32_u32_e32 v14, s20
	s_sub_i32 s6, 0, s20
	v_mov_b32_e32 v11, 0
	v_mov_b32_e32 v4, s11
	v_rcp_iflag_f32_e32 v2, v14
	v_mov_b32_e32 v12, s9
	v_mul_f32_e32 v2, 0x4f7ffffe, v2
	v_cvt_u32_f32_e32 v2, v2
	v_mul_lo_u32 v3, s6, v2
	v_mul_hi_u32 v3, v2, v3
	v_add_u32_e32 v2, v2, v3
	v_mul_hi_u32 v2, v0, v2
	v_mul_lo_u32 v3, v2, s20
	v_sub_u32_e32 v3, v0, v3
	v_add_u32_e32 v5, 1, v2
	v_cmp_le_u32_e32 vcc, s20, v3
	v_cndmask_b32_e32 v2, v2, v5, vcc
	v_subrev_u32_e32 v5, s20, v3
	v_cndmask_b32_e32 v3, v3, v5, vcc
	v_add_u32_e32 v5, 1, v2
	v_cmp_le_u32_e32 vcc, s20, v3
	v_cndmask_b32_e32 v10, v2, v5, vcc
	v_lshlrev_b64 v[2:3], 3, v[10:11]
	v_add_co_u32_e32 v2, vcc, s10, v2
	v_addc_co_u32_e32 v3, vcc, v4, v3, vcc
	global_load_dwordx4 v[2:5], v[2:3], off
	s_waitcnt vmcnt(0)
	v_subrev_co_u32_e32 v8, vcc, s8, v2
	v_subb_co_u32_e32 v9, vcc, v3, v12, vcc
	v_subrev_co_u32_e32 v16, vcc, s8, v4
	v_subb_co_u32_e32 v17, vcc, v5, v12, vcc
	v_sub_co_u32_e32 v3, vcc, v16, v8
	v_subb_co_u32_e32 v13, vcc, v17, v9, vcc
	v_mov_b32_e32 v12, v11
	v_cmp_ne_u64_e32 vcc, 0, v[12:13]
                                        ; implicit-def: $vgpr4_vgpr5
	s_and_saveexec_b64 s[0:1], vcc
	s_xor_b64 s[4:5], exec, s[0:1]
	s_cbranch_execz .LBB80_150
; %bb.149:
	v_cvt_f32_ubyte0_e32 v4, 0
	v_madmk_f32 v4, v4, 0x4f800000, v14
	v_rcp_f32_e32 v4, v4
	s_sub_u32 s0, 0, s20
	s_subb_u32 s1, 0, 0
	v_mul_f32_e32 v4, 0x5f7ffffc, v4
	v_mul_f32_e32 v5, 0x2f800000, v4
	v_trunc_f32_e32 v5, v5
	v_madmk_f32 v4, v5, 0xcf800000, v4
	v_cvt_u32_f32_e32 v5, v5
	v_cvt_u32_f32_e32 v4, v4
	v_mul_lo_u32 v12, s0, v5
	v_mul_hi_u32 v15, s0, v4
	v_mul_lo_u32 v14, s1, v4
	v_add_u32_e32 v12, v15, v12
	v_add_u32_e32 v12, v12, v14
	v_mul_lo_u32 v19, s0, v4
	v_mul_lo_u32 v15, v4, v12
	v_mul_hi_u32 v20, v4, v19
	v_mul_hi_u32 v14, v4, v12
	v_add_co_u32_e32 v15, vcc, v20, v15
	v_addc_co_u32_e32 v14, vcc, 0, v14, vcc
	v_mul_hi_u32 v21, v5, v19
	v_mul_lo_u32 v19, v5, v19
	v_add_co_u32_e32 v15, vcc, v15, v19
	v_mul_hi_u32 v20, v5, v12
	v_addc_co_u32_e32 v14, vcc, v14, v21, vcc
	v_addc_co_u32_e32 v15, vcc, 0, v20, vcc
	v_mul_lo_u32 v12, v5, v12
	v_add_co_u32_e32 v12, vcc, v14, v12
	v_addc_co_u32_e32 v14, vcc, 0, v15, vcc
	v_add_co_u32_e32 v4, vcc, v4, v12
	v_addc_co_u32_e32 v5, vcc, v5, v14, vcc
	v_mul_lo_u32 v12, s0, v5
	v_mul_hi_u32 v14, s0, v4
	v_add_u32_e32 v12, v14, v12
	v_mul_lo_u32 v14, s1, v4
	v_add_u32_e32 v12, v12, v14
	v_mul_lo_u32 v15, s0, v4
	v_mul_hi_u32 v19, v5, v15
	v_mul_lo_u32 v20, v5, v15
	v_mul_lo_u32 v22, v4, v12
	v_mul_hi_u32 v15, v4, v15
	v_mul_hi_u32 v21, v4, v12
	v_add_co_u32_e32 v15, vcc, v15, v22
	v_addc_co_u32_e32 v21, vcc, 0, v21, vcc
	v_add_co_u32_e32 v15, vcc, v15, v20
	v_mul_hi_u32 v14, v5, v12
	v_addc_co_u32_e32 v15, vcc, v21, v19, vcc
	v_addc_co_u32_e32 v14, vcc, 0, v14, vcc
	v_mul_lo_u32 v12, v5, v12
	v_add_co_u32_e32 v12, vcc, v15, v12
	v_addc_co_u32_e32 v14, vcc, 0, v14, vcc
	v_add_co_u32_e32 v12, vcc, v4, v12
	v_addc_co_u32_e32 v14, vcc, v5, v14, vcc
	v_ashrrev_i32_e32 v15, 31, v13
	v_add_co_u32_e32 v3, vcc, v3, v15
	v_addc_co_u32_e32 v4, vcc, v13, v15, vcc
	v_xor_b32_e32 v3, v3, v15
	v_xor_b32_e32 v19, v4, v15
	v_mad_u64_u32 v[4:5], s[0:1], v3, v14, 0
	v_mul_hi_u32 v13, v3, v12
	v_add_co_u32_e32 v20, vcc, v13, v4
	v_addc_co_u32_e32 v21, vcc, 0, v5, vcc
	v_mad_u64_u32 v[12:13], s[0:1], v19, v12, 0
	v_add_co_u32_e32 v12, vcc, v20, v12
	v_mad_u64_u32 v[4:5], s[0:1], v19, v14, 0
	v_addc_co_u32_e32 v12, vcc, v21, v13, vcc
	v_addc_co_u32_e32 v5, vcc, 0, v5, vcc
	v_add_co_u32_e32 v14, vcc, v12, v4
	v_addc_co_u32_e32 v20, vcc, 0, v5, vcc
	v_mad_u64_u32 v[4:5], s[0:1], s20, v14, 0
	v_mov_b32_e32 v12, v5
	v_mad_u64_u32 v[12:13], s[0:1], s20, v20, v[12:13]
	v_sub_co_u32_e32 v3, vcc, v3, v4
	v_subb_co_u32_e32 v4, vcc, v19, v12, vcc
	v_subrev_co_u32_e32 v5, vcc, s20, v3
	v_subbrev_co_u32_e32 v12, vcc, 0, v4, vcc
	v_cmp_le_u32_e32 vcc, s20, v5
	v_cndmask_b32_e64 v5, 0, -1, vcc
	v_cmp_eq_u32_e32 vcc, 0, v12
	v_cndmask_b32_e32 v5, -1, v5, vcc
	v_add_co_u32_e32 v12, vcc, 2, v14
	v_addc_co_u32_e32 v13, vcc, 0, v20, vcc
	v_add_co_u32_e32 v19, vcc, 1, v14
	v_cmp_le_u32_e64 s[0:1], s20, v3
	v_addc_co_u32_e32 v21, vcc, 0, v20, vcc
	v_cndmask_b32_e64 v3, 0, -1, s[0:1]
	v_cmp_eq_u32_e64 s[0:1], 0, v4
	v_cmp_ne_u32_e32 vcc, 0, v5
	v_cndmask_b32_e64 v3, -1, v3, s[0:1]
	v_cmp_ne_u32_e64 s[0:1], 0, v3
	v_cndmask_b32_e32 v4, v19, v12, vcc
	v_cndmask_b32_e32 v5, v21, v13, vcc
	v_cndmask_b32_e64 v4, v14, v4, s[0:1]
	v_cndmask_b32_e64 v3, v20, v5, s[0:1]
	v_xor_b32_e32 v4, v4, v15
	v_xor_b32_e32 v3, v3, v15
	v_sub_co_u32_e32 v4, vcc, v4, v15
	v_subb_co_u32_e32 v5, vcc, v3, v15, vcc
                                        ; implicit-def: $vgpr3
.LBB80_150:
	s_andn2_saveexec_b64 s[0:1], s[4:5]
	s_cbranch_execz .LBB80_152
; %bb.151:
	v_cvt_f32_u32_e32 v4, s20
	v_rcp_iflag_f32_e32 v4, v4
	v_mul_f32_e32 v4, 0x4f7ffffe, v4
	v_cvt_u32_f32_e32 v4, v4
	v_mul_lo_u32 v5, s6, v4
	v_mul_hi_u32 v5, v4, v5
	v_add_u32_e32 v4, v4, v5
	v_mul_hi_u32 v4, v3, v4
	v_mul_lo_u32 v5, v4, s20
	v_sub_u32_e32 v3, v3, v5
	v_add_u32_e32 v12, 1, v4
	v_subrev_u32_e32 v5, s20, v3
	v_cmp_le_u32_e32 vcc, s20, v3
	v_cndmask_b32_e32 v3, v3, v5, vcc
	v_cndmask_b32_e32 v4, v4, v12, vcc
	v_add_u32_e32 v5, 1, v4
	v_cmp_le_u32_e32 vcc, s20, v3
	v_cndmask_b32_e32 v4, v4, v5, vcc
	v_mov_b32_e32 v5, 0
.LBB80_152:
	s_or_b64 exec, exec, s[0:1]
	v_cmp_gt_i64_e32 vcc, s[28:29], v[10:11]
	v_mov_b32_e32 v19, 0
	s_and_saveexec_b64 s[0:1], vcc
	s_cbranch_execz .LBB80_166
; %bb.153:
	s_add_i32 s4, s20, -1
	v_and_b32_e32 v10, s4, v0
	v_cmp_lt_i64_e32 vcc, 0, v[4:5]
	v_mov_b32_e32 v19, 0
	s_and_saveexec_b64 s[4:5], vcc
	s_cbranch_execz .LBB80_163
; %bb.154:
	v_cmp_lt_u64_e32 vcc, 3, v[4:5]
	v_pk_mov_b32 v[12:13], 0, 0
	v_mov_b32_e32 v19, 0
	s_and_saveexec_b64 s[6:7], vcc
	s_cbranch_execz .LBB80_158
; %bb.155:
	s_lshl_b32 s10, s8, 2
	s_lshl_b32 s11, s20, 3
	s_lshl_b32 s9, s20, 2
	v_lshlrev_b32_e32 v3, 2, v2
	s_sub_i32 s17, s11, s10
	s_mul_i32 s11, s20, 12
	v_and_b32_e32 v13, 0x7fffffff, v5
	v_and_b32_e32 v12, -4, v4
	s_sub_i32 s9, s9, s10
	v_lshl_add_u32 v3, v10, 2, v3
	s_lshl_b32 s16, s20, 4
	s_sub_i32 s18, s11, s10
	s_sub_i32 s19, 0, s10
	s_mov_b64 s[10:11], 0
	v_mov_b32_e32 v19, 0
	s_mov_b64 s[12:13], 0
.LBB80_156:                             ; =>This Inner Loop Header: Depth=1
	v_add_u32_e32 v11, s19, v3
	v_add_u32_e32 v14, s9, v3
	v_add_u32_e32 v15, s17, v3
	v_add_u32_e32 v20, s18, v3
	ds_read_b32 v11, v11
	ds_read_b32 v14, v14
	;; [unrolled: 1-line block ×4, first 2 shown]
	s_add_u32 s12, s12, 4
	s_waitcnt lgkmcnt(3)
	v_add_f32_e32 v11, v19, v11
	s_addc_u32 s13, s13, 0
	s_waitcnt lgkmcnt(2)
	v_add_f32_e32 v11, v11, v14
	v_cmp_eq_u64_e32 vcc, s[12:13], v[12:13]
	s_waitcnt lgkmcnt(1)
	v_add_f32_e32 v11, v11, v15
	v_add_u32_e32 v3, s16, v3
	s_or_b64 s[10:11], vcc, s[10:11]
	s_waitcnt lgkmcnt(0)
	v_add_f32_e32 v19, v11, v20
	s_andn2_b64 exec, exec, s[10:11]
	s_cbranch_execnz .LBB80_156
; %bb.157:
	s_or_b64 exec, exec, s[10:11]
.LBB80_158:
	s_or_b64 exec, exec, s[6:7]
	v_and_b32_e32 v14, 3, v4
	v_mov_b32_e32 v15, 0
	s_mov_b64 s[10:11], 0
	v_cmp_ne_u64_e32 vcc, 0, v[14:15]
	s_and_saveexec_b64 s[6:7], vcc
	s_cbranch_execz .LBB80_162
; %bb.159:
	v_mul_lo_u32 v3, s20, v12
	v_add3_u32 v2, v10, v3, v2
	v_subrev_u32_e32 v2, s8, v2
	v_lshlrev_b32_e32 v2, 2, v2
	s_lshl_b32 s8, s20, 2
.LBB80_160:                             ; =>This Inner Loop Header: Depth=1
	ds_read_b32 v3, v2
	v_add_co_u32_e32 v14, vcc, -1, v14
	v_addc_co_u32_e32 v15, vcc, -1, v15, vcc
	v_cmp_eq_u64_e32 vcc, 0, v[14:15]
	v_add_u32_e32 v2, s8, v2
	s_or_b64 s[10:11], vcc, s[10:11]
	s_waitcnt lgkmcnt(0)
	v_add_f32_e32 v19, v19, v3
	s_andn2_b64 exec, exec, s[10:11]
	s_cbranch_execnz .LBB80_160
; %bb.161:
	s_or_b64 exec, exec, s[10:11]
.LBB80_162:
	s_or_b64 exec, exec, s[6:7]
.LBB80_163:
	s_or_b64 exec, exec, s[4:5]
	v_mad_u64_u32 v[2:3], s[4:5], v4, s20, v[8:9]
	v_mov_b32_e32 v4, v3
	v_mad_u64_u32 v[4:5], s[4:5], v5, s20, v[4:5]
	v_mov_b32_e32 v3, v4
	v_sub_co_u32_e32 v4, vcc, v16, v2
	v_mov_b32_e32 v11, 0
	v_subb_co_u32_e32 v5, vcc, v17, v3, vcc
	v_cmp_gt_i64_e32 vcc, v[4:5], v[10:11]
	s_and_saveexec_b64 s[4:5], vcc
	s_cbranch_execz .LBB80_165
; %bb.164:
	v_add_lshl_u32 v2, v10, v2, 2
	ds_read_b32 v2, v2
	s_waitcnt lgkmcnt(0)
	v_add_f32_e32 v19, v19, v2
.LBB80_165:
	s_or_b64 exec, exec, s[4:5]
.LBB80_166:
	s_or_b64 exec, exec, s[0:1]
	v_cmp_gt_i64_e32 vcc, s[28:29], v[0:1]
	s_barrier
	ds_write_b32 v18, v19
	s_waitcnt lgkmcnt(0)
	s_barrier
	s_and_saveexec_b64 s[0:1], vcc
	s_cbranch_execz .LBB80_176
; %bb.167:
	s_cmp_lt_u32 s20, 8
	v_mul_lo_u32 v1, s20, v0
	s_cbranch_scc1 .LBB80_170
; %bb.168:
	s_and_b32 s0, s20, 0x7ffffff8
	v_lshlrev_b32_e32 v2, 2, v1
	s_mov_b32 s1, 0
	v_mov_b32_e32 v4, 0
.LBB80_169:                             ; =>This Inner Loop Header: Depth=1
	ds_read2_b32 v[8:9], v2 offset1:1
	ds_read2_b32 v[10:11], v2 offset0:2 offset1:3
	ds_read2_b32 v[12:13], v2 offset0:4 offset1:5
	;; [unrolled: 1-line block ×3, first 2 shown]
	s_add_i32 s1, s1, 8
	s_waitcnt lgkmcnt(3)
	v_add_f32_e32 v3, v4, v8
	v_add_f32_e32 v3, v3, v9
	s_waitcnt lgkmcnt(2)
	v_add_f32_e32 v3, v3, v10
	v_add_f32_e32 v3, v3, v11
	;; [unrolled: 3-line block ×3, first 2 shown]
	s_waitcnt lgkmcnt(0)
	v_add_f32_e32 v3, v3, v14
	v_add_u32_e32 v2, 32, v2
	s_cmp_eq_u32 s0, s1
	v_add_f32_e32 v4, v3, v15
	s_cbranch_scc0 .LBB80_169
	s_branch .LBB80_171
.LBB80_170:
	s_mov_b32 s0, 0
	v_mov_b32_e32 v4, 0
.LBB80_171:
	s_bfe_u32 s1, s3, 0x30001
	s_cmp_eq_u32 s1, 0
	s_cbranch_scc1 .LBB80_174
; %bb.172:
	v_add_lshl_u32 v1, s0, v1, 2
.LBB80_173:                             ; =>This Inner Loop Header: Depth=1
	ds_read_b32 v2, v1
	s_add_i32 s1, s1, -1
	v_add_u32_e32 v1, 4, v1
	s_cmp_lg_u32 s1, 0
	s_waitcnt lgkmcnt(0)
	v_add_f32_e32 v4, v4, v2
	s_cbranch_scc1 .LBB80_173
.LBB80_174:
	v_lshlrev_b64 v[2:3], 2, v[6:7]
	v_mov_b32_e32 v1, s15
	v_add_co_u32_e32 v2, vcc, s14, v2
	v_addc_co_u32_e32 v3, vcc, v1, v3, vcc
	global_load_dword v1, v[2:3], off
	s_lshl_b32 s0, s2, 2
	s_addk_i32 s0, 0x1000
	v_lshl_add_u32 v0, v0, 2, s0
	ds_read_b32 v0, v0
	s_mov_b64 s[0:1], 0
	s_waitcnt lgkmcnt(0)
	v_add_f32_e32 v4, v4, v0
.LBB80_175:                             ; =>This Inner Loop Header: Depth=1
	s_waitcnt vmcnt(0)
	v_add_f32_e32 v0, v1, v4
	global_atomic_cmpswap v0, v[2:3], v[0:1], off glc
	s_waitcnt vmcnt(0)
	v_cmp_eq_u32_e32 vcc, v0, v1
	s_or_b64 s[0:1], vcc, s[0:1]
	v_mov_b32_e32 v1, v0
	s_andn2_b64 exec, exec, s[0:1]
	s_cbranch_execnz .LBB80_175
.LBB80_176:
	s_endpgm
	.section	.rodata,"a",@progbits
	.p2align	6, 0x0
	.amdhsa_kernel _ZN9rocsparseL27csrmvn_symm_adaptive_kernelIll18rocsparse_bfloat16S1_ffEEvbT_S2_PKS2_NS_24const_host_device_scalarIT4_EES4_PKT0_PKT1_PKT2_S7_PT3_21rocsparse_index_base_b
		.amdhsa_group_segment_fixed_size 4096
		.amdhsa_private_segment_fixed_size 0
		.amdhsa_kernarg_size 352
		.amdhsa_user_sgpr_count 6
		.amdhsa_user_sgpr_private_segment_buffer 1
		.amdhsa_user_sgpr_dispatch_ptr 0
		.amdhsa_user_sgpr_queue_ptr 0
		.amdhsa_user_sgpr_kernarg_segment_ptr 1
		.amdhsa_user_sgpr_dispatch_id 0
		.amdhsa_user_sgpr_flat_scratch_init 0
		.amdhsa_user_sgpr_kernarg_preload_length 0
		.amdhsa_user_sgpr_kernarg_preload_offset 0
		.amdhsa_user_sgpr_private_segment_size 0
		.amdhsa_uses_dynamic_stack 0
		.amdhsa_system_sgpr_private_segment_wavefront_offset 0
		.amdhsa_system_sgpr_workgroup_id_x 1
		.amdhsa_system_sgpr_workgroup_id_y 0
		.amdhsa_system_sgpr_workgroup_id_z 0
		.amdhsa_system_sgpr_workgroup_info 0
		.amdhsa_system_vgpr_workitem_id 0
		.amdhsa_next_free_vgpr 24
		.amdhsa_next_free_sgpr 52
		.amdhsa_accum_offset 24
		.amdhsa_reserve_vcc 1
		.amdhsa_reserve_flat_scratch 0
		.amdhsa_float_round_mode_32 0
		.amdhsa_float_round_mode_16_64 0
		.amdhsa_float_denorm_mode_32 3
		.amdhsa_float_denorm_mode_16_64 3
		.amdhsa_dx10_clamp 1
		.amdhsa_ieee_mode 1
		.amdhsa_fp16_overflow 0
		.amdhsa_tg_split 0
		.amdhsa_exception_fp_ieee_invalid_op 0
		.amdhsa_exception_fp_denorm_src 0
		.amdhsa_exception_fp_ieee_div_zero 0
		.amdhsa_exception_fp_ieee_overflow 0
		.amdhsa_exception_fp_ieee_underflow 0
		.amdhsa_exception_fp_ieee_inexact 0
		.amdhsa_exception_int_div_zero 0
	.end_amdhsa_kernel
	.section	.text._ZN9rocsparseL27csrmvn_symm_adaptive_kernelIll18rocsparse_bfloat16S1_ffEEvbT_S2_PKS2_NS_24const_host_device_scalarIT4_EES4_PKT0_PKT1_PKT2_S7_PT3_21rocsparse_index_base_b,"axG",@progbits,_ZN9rocsparseL27csrmvn_symm_adaptive_kernelIll18rocsparse_bfloat16S1_ffEEvbT_S2_PKS2_NS_24const_host_device_scalarIT4_EES4_PKT0_PKT1_PKT2_S7_PT3_21rocsparse_index_base_b,comdat
.Lfunc_end80:
	.size	_ZN9rocsparseL27csrmvn_symm_adaptive_kernelIll18rocsparse_bfloat16S1_ffEEvbT_S2_PKS2_NS_24const_host_device_scalarIT4_EES4_PKT0_PKT1_PKT2_S7_PT3_21rocsparse_index_base_b, .Lfunc_end80-_ZN9rocsparseL27csrmvn_symm_adaptive_kernelIll18rocsparse_bfloat16S1_ffEEvbT_S2_PKS2_NS_24const_host_device_scalarIT4_EES4_PKT0_PKT1_PKT2_S7_PT3_21rocsparse_index_base_b
                                        ; -- End function
	.section	.AMDGPU.csdata,"",@progbits
; Kernel info:
; codeLenInByte = 8412
; NumSgprs: 56
; NumVgprs: 24
; NumAgprs: 0
; TotalNumVgprs: 24
; ScratchSize: 0
; MemoryBound: 0
; FloatMode: 240
; IeeeMode: 1
; LDSByteSize: 4096 bytes/workgroup (compile time only)
; SGPRBlocks: 6
; VGPRBlocks: 2
; NumSGPRsForWavesPerEU: 56
; NumVGPRsForWavesPerEU: 24
; AccumOffset: 24
; Occupancy: 8
; WaveLimiterHint : 1
; COMPUTE_PGM_RSRC2:SCRATCH_EN: 0
; COMPUTE_PGM_RSRC2:USER_SGPR: 6
; COMPUTE_PGM_RSRC2:TRAP_HANDLER: 0
; COMPUTE_PGM_RSRC2:TGID_X_EN: 1
; COMPUTE_PGM_RSRC2:TGID_Y_EN: 0
; COMPUTE_PGM_RSRC2:TGID_Z_EN: 0
; COMPUTE_PGM_RSRC2:TIDIG_COMP_CNT: 0
; COMPUTE_PGM_RSRC3_GFX90A:ACCUM_OFFSET: 5
; COMPUTE_PGM_RSRC3_GFX90A:TG_SPLIT: 0
	.section	.text._ZL33csrmvn_symm_large_adaptive_kernelIll18rocsparse_bfloat16S0_ffEvbT_PKS1_N9rocsparse24const_host_device_scalarIT4_EES3_PKT0_PKT1_PKT2_S7_PT3_21rocsparse_index_base_b,"axG",@progbits,_ZL33csrmvn_symm_large_adaptive_kernelIll18rocsparse_bfloat16S0_ffEvbT_PKS1_N9rocsparse24const_host_device_scalarIT4_EES3_PKT0_PKT1_PKT2_S7_PT3_21rocsparse_index_base_b,comdat
	.globl	_ZL33csrmvn_symm_large_adaptive_kernelIll18rocsparse_bfloat16S0_ffEvbT_PKS1_N9rocsparse24const_host_device_scalarIT4_EES3_PKT0_PKT1_PKT2_S7_PT3_21rocsparse_index_base_b ; -- Begin function _ZL33csrmvn_symm_large_adaptive_kernelIll18rocsparse_bfloat16S0_ffEvbT_PKS1_N9rocsparse24const_host_device_scalarIT4_EES3_PKT0_PKT1_PKT2_S7_PT3_21rocsparse_index_base_b
	.p2align	8
	.type	_ZL33csrmvn_symm_large_adaptive_kernelIll18rocsparse_bfloat16S0_ffEvbT_PKS1_N9rocsparse24const_host_device_scalarIT4_EES3_PKT0_PKT1_PKT2_S7_PT3_21rocsparse_index_base_b,@function
_ZL33csrmvn_symm_large_adaptive_kernelIll18rocsparse_bfloat16S0_ffEvbT_PKS1_N9rocsparse24const_host_device_scalarIT4_EES3_PKT0_PKT1_PKT2_S7_PT3_21rocsparse_index_base_b: ; @_ZL33csrmvn_symm_large_adaptive_kernelIll18rocsparse_bfloat16S0_ffEvbT_PKS1_N9rocsparse24const_host_device_scalarIT4_EES3_PKT0_PKT1_PKT2_S7_PT3_21rocsparse_index_base_b
; %bb.0:
	s_load_dwordx2 s[24:25], s[4:5], 0x50
	s_load_dwordx2 s[26:27], s[4:5], 0x18
	;; [unrolled: 1-line block ×3, first 2 shown]
	s_waitcnt lgkmcnt(0)
	s_bitcmp1_b32 s25, 0
	s_cselect_b64 s[8:9], -1, 0
	s_xor_b64 s[2:3], s[8:9], -1
	s_and_b64 vcc, exec, s[8:9]
	s_cbranch_vccnz .LBB81_2
; %bb.1:
	s_load_dword s26, s[26:27], 0x0
.LBB81_2:
	s_andn2_b64 vcc, exec, s[2:3]
	s_cbranch_vccnz .LBB81_4
; %bb.3:
	s_load_dword s0, s[0:1], 0x0
.LBB81_4:
	s_waitcnt lgkmcnt(0)
	v_cmp_neq_f32_e64 s[2:3], s26, 0
	v_cmp_neq_f32_e64 s[0:1], s0, 1.0
	s_or_b64 s[0:1], s[2:3], s[0:1]
	s_andn2_b64 vcc, exec, s[0:1]
	s_mov_b32 s25, 0
	s_cbranch_vccnz .LBB81_38
; %bb.5:
	s_load_dwordx2 s[0:1], s[4:5], 0x10
	s_ashr_i32 s7, s6, 31
	s_lshl_b64 s[2:3], s[6:7], 3
	v_lshlrev_b32_e32 v8, 2, v0
	v_mov_b32_e32 v1, 0
	s_waitcnt lgkmcnt(0)
	s_add_u32 s0, s0, s2
	s_addc_u32 s1, s1, s3
	ds_write2st64_b32 v8, v1, v1 offset1:4
	ds_write2st64_b32 v8, v1, v1 offset0:8 offset1:12
	s_waitcnt lgkmcnt(0)
	s_barrier
	s_load_dwordx4 s[20:23], s[0:1], 0x0
	s_load_dwordx8 s[12:19], s[4:5], 0x20
	s_load_dwordx2 s[28:29], s[4:5], 0x48
	v_subrev_co_u32_e64 v9, s[0:1], s24, v0
	s_waitcnt lgkmcnt(0)
	v_pk_mov_b32 v[2:3], s[22:23], s[22:23] op_sel:[0,1]
	v_cmp_lt_i64_e32 vcc, s[20:21], v[2:3]
	v_subb_co_u32_e64 v10, s[0:1], 0, 0, s[0:1]
	s_cbranch_vccnz .LBB81_7
; %bb.6:
	s_lshl_b64 s[0:1], s[20:21], 3
	s_add_u32 s0, s12, s0
	s_addc_u32 s1, s13, s1
	s_load_dwordx2 s[30:31], s[0:1], 0x0
	s_cbranch_execz .LBB81_8
	s_branch .LBB81_28
.LBB81_7:
                                        ; implicit-def: $sgpr30_sgpr31
.LBB81_8:
	s_lshl_b64 s[10:11], s[20:21], 3
	s_add_u32 s10, s12, s10
	s_addc_u32 s11, s13, s11
	s_waitcnt lgkmcnt(0)
	s_load_dwordx2 s[30:31], s[10:11], 0x0
	s_movk_i32 s27, 0x100
	s_add_u32 s33, s12, 8
	v_cmp_gt_u32_e64 s[0:1], s27, v0
	v_cmp_gt_u32_e64 s[2:3], 64, v0
	;; [unrolled: 1-line block ×4, first 2 shown]
	v_cmp_eq_u32_e64 s[8:9], 0, v0
	s_addc_u32 s44, s13, 0
	v_mov_b32_e32 v11, s25
	v_mov_b32_e32 v12, s19
	v_mov_b32_e32 v13, 0
	v_pk_mov_b32 v[0:1], s[22:23], s[22:23] op_sel:[0,1]
	s_waitcnt lgkmcnt(0)
	s_mov_b64 s[36:37], s[30:31]
	s_mov_b64 s[34:35], s[20:21]
	s_branch .LBB81_10
.LBB81_9:                               ;   in Loop: Header=BB81_10 Depth=1
	s_or_b64 exec, exec, s[10:11]
	s_add_u32 s34, s34, 1
	s_addc_u32 s35, s35, 0
	v_cmp_ge_i64_e32 vcc, s[34:35], v[0:1]
	s_cbranch_vccnz .LBB81_28
.LBB81_10:                              ; =>This Loop Header: Depth=1
                                        ;     Child Loop BB81_12 Depth 2
                                        ;     Child Loop BB81_27 Depth 2
	s_mov_b64 s[10:11], s[36:37]
	s_lshl_b64 s[36:37], s[34:35], 3
	s_add_u32 s36, s33, s36
	s_addc_u32 s37, s44, s37
	s_load_dwordx2 s[36:37], s[36:37], 0x0
	v_mov_b32_e32 v3, s11
	v_add_co_u32_e32 v2, vcc, s10, v9
	v_addc_co_u32_e32 v3, vcc, v3, v10, vcc
	s_waitcnt lgkmcnt(0)
	s_sub_u32 s38, s36, s24
	s_subb_u32 s39, s37, 0
	v_cmp_gt_i64_e32 vcc, s[38:39], v[2:3]
	v_mov_b32_e32 v14, 0
	s_and_saveexec_b64 s[40:41], vcc
	s_cbranch_execz .LBB81_14
; %bb.11:                               ;   in Loop: Header=BB81_10 Depth=1
	v_lshlrev_b64 v[4:5], 3, v[2:3]
	v_mov_b32_e32 v6, s15
	v_add_co_u32_e32 v4, vcc, s14, v4
	v_addc_co_u32_e32 v5, vcc, v6, v5, vcc
	v_lshlrev_b64 v[6:7], 1, v[2:3]
	v_mov_b32_e32 v14, s17
	v_add_co_u32_e32 v6, vcc, s16, v6
	v_addc_co_u32_e32 v7, vcc, v14, v7, vcc
	s_mov_b64 s[42:43], 0
	v_mov_b32_e32 v14, 0
.LBB81_12:                              ;   Parent Loop BB81_10 Depth=1
                                        ; =>  This Inner Loop Header: Depth=2
	global_load_dwordx2 v[16:17], v[4:5], off
	global_load_ushort v15, v[6:7], off
	s_waitcnt vmcnt(1)
	v_subrev_co_u32_e32 v16, vcc, s24, v16
	v_subb_co_u32_e32 v17, vcc, v17, v11, vcc
	v_lshlrev_b64 v[16:17], 1, v[16:17]
	v_add_co_u32_e32 v16, vcc, s18, v16
	v_addc_co_u32_e32 v17, vcc, v12, v17, vcc
	global_load_ushort v16, v[16:17], off
	v_add_co_u32_e32 v2, vcc, s27, v2
	v_addc_co_u32_e32 v3, vcc, 0, v3, vcc
	v_add_co_u32_e32 v4, vcc, 0x800, v4
	v_addc_co_u32_e32 v5, vcc, 0, v5, vcc
	v_add_co_u32_e32 v6, vcc, 0x200, v6
	v_cmp_le_i64_e64 s[10:11], s[38:39], v[2:3]
	s_waitcnt vmcnt(1)
	v_lshlrev_b32_e32 v15, 16, v15
	v_addc_co_u32_e32 v7, vcc, 0, v7, vcc
	s_or_b64 s[42:43], s[10:11], s[42:43]
	s_waitcnt vmcnt(0)
	v_lshlrev_b32_e32 v16, 16, v16
	v_fmac_f32_e32 v14, v15, v16
	s_andn2_b64 exec, exec, s[42:43]
	s_cbranch_execnz .LBB81_12
; %bb.13:                               ;   in Loop: Header=BB81_10 Depth=1
	s_or_b64 exec, exec, s[42:43]
.LBB81_14:                              ;   in Loop: Header=BB81_10 Depth=1
	s_or_b64 exec, exec, s[40:41]
	ds_write_b32 v8, v14
	s_waitcnt lgkmcnt(0)
	s_barrier
	s_and_saveexec_b64 s[10:11], s[0:1]
	s_cbranch_execz .LBB81_16
; %bb.15:                               ;   in Loop: Header=BB81_10 Depth=1
	ds_read2st64_b32 v[2:3], v8 offset1:4
	ds_read2st64_b32 v[4:5], v8 offset0:8 offset1:12
	s_waitcnt lgkmcnt(0)
	v_add_f32_e32 v3, v3, v4
	v_add_f32_e32 v3, v3, v5
	;; [unrolled: 1-line block ×3, first 2 shown]
	ds_write_b32 v8, v2
.LBB81_16:                              ;   in Loop: Header=BB81_10 Depth=1
	s_or_b64 exec, exec, s[10:11]
	s_waitcnt lgkmcnt(0)
	s_barrier
	s_and_saveexec_b64 s[10:11], s[2:3]
	s_cbranch_execz .LBB81_18
; %bb.17:                               ;   in Loop: Header=BB81_10 Depth=1
	ds_read2st64_b32 v[2:3], v8 offset1:1
	ds_read2st64_b32 v[4:5], v8 offset0:2 offset1:3
	s_waitcnt lgkmcnt(0)
	v_add_f32_e32 v3, v3, v4
	v_add_f32_e32 v3, v3, v5
	;; [unrolled: 1-line block ×3, first 2 shown]
	ds_write_b32 v8, v2
.LBB81_18:                              ;   in Loop: Header=BB81_10 Depth=1
	s_or_b64 exec, exec, s[10:11]
	s_waitcnt lgkmcnt(0)
	s_barrier
	s_and_saveexec_b64 s[10:11], s[4:5]
	s_cbranch_execz .LBB81_20
; %bb.19:                               ;   in Loop: Header=BB81_10 Depth=1
	ds_read2_b32 v[2:3], v8 offset1:16
	ds_read2_b32 v[4:5], v8 offset0:32 offset1:48
	s_waitcnt lgkmcnt(0)
	v_add_f32_e32 v3, v3, v4
	v_add_f32_e32 v3, v3, v5
	;; [unrolled: 1-line block ×3, first 2 shown]
	ds_write_b32 v8, v2
.LBB81_20:                              ;   in Loop: Header=BB81_10 Depth=1
	s_or_b64 exec, exec, s[10:11]
	s_waitcnt lgkmcnt(0)
	s_barrier
	s_and_saveexec_b64 s[10:11], s[6:7]
	s_cbranch_execz .LBB81_22
; %bb.21:                               ;   in Loop: Header=BB81_10 Depth=1
	ds_read2_b32 v[2:3], v8 offset1:4
	ds_read2_b32 v[4:5], v8 offset0:8 offset1:12
	s_waitcnt lgkmcnt(0)
	v_add_f32_e32 v3, v3, v4
	v_add_f32_e32 v3, v3, v5
	;; [unrolled: 1-line block ×3, first 2 shown]
	ds_write_b32 v8, v2
.LBB81_22:                              ;   in Loop: Header=BB81_10 Depth=1
	s_or_b64 exec, exec, s[10:11]
	s_waitcnt lgkmcnt(0)
	s_barrier
	s_and_saveexec_b64 s[10:11], s[8:9]
	s_cbranch_execz .LBB81_24
; %bb.23:                               ;   in Loop: Header=BB81_10 Depth=1
	ds_read2_b32 v[2:3], v13 offset0:1 offset1:2
	ds_read_b32 v4, v13 offset:12
	ds_read_b32 v5, v8
	s_waitcnt lgkmcnt(2)
	v_add_f32_e32 v2, v2, v3
	s_waitcnt lgkmcnt(1)
	v_add_f32_e32 v2, v2, v4
	;; [unrolled: 2-line block ×3, first 2 shown]
	ds_write_b32 v8, v2
.LBB81_24:                              ;   in Loop: Header=BB81_10 Depth=1
	s_or_b64 exec, exec, s[10:11]
	s_waitcnt lgkmcnt(0)
	s_barrier
	s_and_saveexec_b64 s[10:11], s[8:9]
	s_cbranch_execz .LBB81_9
; %bb.25:                               ;   in Loop: Header=BB81_10 Depth=1
	s_mov_b64 s[40:41], exec
	v_mbcnt_lo_u32_b32 v2, s40, 0
	v_mbcnt_hi_u32_b32 v2, s41, v2
	v_cmp_eq_u32_e32 vcc, 0, v2
	s_and_b64 s[38:39], exec, vcc
	s_mov_b64 exec, s[38:39]
	s_cbranch_execz .LBB81_9
; %bb.26:                               ;   in Loop: Header=BB81_10 Depth=1
	s_lshl_b64 s[38:39], s[34:35], 2
	s_add_u32 s38, s28, s38
	s_addc_u32 s39, s29, s39
	global_load_dword v3, v13, s[38:39]
	ds_read_b32 v2, v13
	s_bcnt1_i32_b64 s40, s[40:41]
	v_cvt_f32_ubyte0_e32 v4, s40
	s_mov_b64 s[40:41], 0
	s_waitcnt lgkmcnt(0)
	v_mul_f32_e32 v2, s26, v2
	v_mul_f32_e32 v4, v2, v4
.LBB81_27:                              ;   Parent Loop BB81_10 Depth=1
                                        ; =>  This Inner Loop Header: Depth=2
	s_waitcnt vmcnt(0)
	v_add_f32_e32 v2, v3, v4
	global_atomic_cmpswap v2, v13, v[2:3], s[38:39] glc
	s_waitcnt vmcnt(0)
	v_cmp_eq_u32_e32 vcc, v2, v3
	s_or_b64 s[40:41], vcc, s[40:41]
	v_mov_b32_e32 v3, v2
	s_andn2_b64 exec, exec, s[40:41]
	s_cbranch_execnz .LBB81_27
	s_branch .LBB81_9
.LBB81_28:
	s_lshl_b64 s[0:1], s[22:23], 3
	s_add_u32 s0, s12, s0
	s_addc_u32 s1, s13, s1
	s_load_dwordx2 s[0:1], s[0:1], 0x0
	s_waitcnt lgkmcnt(0)
	v_mov_b32_e32 v1, s31
	v_add_co_u32_e32 v0, vcc, s30, v9
	v_addc_co_u32_e32 v1, vcc, v1, v10, vcc
	s_sub_u32 s4, s0, s24
	s_subb_u32 s5, s1, 0
	v_cmp_gt_i64_e32 vcc, s[4:5], v[0:1]
	s_and_saveexec_b64 s[0:1], vcc
	s_cbranch_execz .LBB81_38
; %bb.29:
	s_add_u32 s6, s22, -1
	s_addc_u32 s7, s23, -1
	s_add_u32 s0, s22, -2
	s_addc_u32 s1, s23, -1
	v_pk_mov_b32 v[2:3], s[20:21], s[20:21] op_sel:[0,1]
	s_cmp_lg_u64 s[0:1], s[20:21]
	v_cmp_gt_i64_e32 vcc, s[6:7], v[2:3]
	s_cselect_b64 s[0:1], -1, 0
	s_and_b64 s[0:1], vcc, s[0:1]
	v_cndmask_b32_e64 v2, 0, 1, s[0:1]
	s_mov_b64 s[8:9], 0
	v_cmp_ne_u32_e64 s[0:1], 1, v2
	v_mov_b32_e32 v6, s13
	v_mov_b32_e32 v7, s25
	;; [unrolled: 1-line block ×3, first 2 shown]
	s_branch .LBB81_31
.LBB81_30:                              ;   in Loop: Header=BB81_31 Depth=1
	s_or_b64 exec, exec, s[2:3]
	v_add_co_u32_e32 v0, vcc, 0x100, v0
	v_addc_co_u32_e32 v1, vcc, 0, v1, vcc
	v_cmp_le_i64_e32 vcc, s[4:5], v[0:1]
	s_or_b64 s[8:9], vcc, s[8:9]
	s_andn2_b64 exec, exec, s[8:9]
	s_cbranch_execz .LBB81_38
.LBB81_31:                              ; =>This Loop Header: Depth=1
                                        ;     Child Loop BB81_33 Depth 2
                                        ;     Child Loop BB81_37 Depth 2
	s_and_b64 vcc, exec, s[0:1]
	v_pk_mov_b32 v[2:3], s[20:21], s[20:21] op_sel:[0,1]
	v_pk_mov_b32 v[4:5], s[6:7], s[6:7] op_sel:[0,1]
	s_cbranch_vccnz .LBB81_35
; %bb.32:                               ;   in Loop: Header=BB81_31 Depth=1
	s_mov_b64 s[10:11], 0
	v_pk_mov_b32 v[2:3], s[20:21], s[20:21] op_sel:[0,1]
	v_pk_mov_b32 v[4:5], s[6:7], s[6:7] op_sel:[0,1]
.LBB81_33:                              ;   Parent Loop BB81_31 Depth=1
                                        ; =>  This Inner Loop Header: Depth=2
	v_add_co_u32_e32 v9, vcc, v4, v2
	v_addc_co_u32_e32 v11, vcc, v5, v3, vcc
	v_lshrrev_b32_e32 v10, 31, v11
	v_add_co_u32_e32 v10, vcc, v9, v10
	v_addc_co_u32_e32 v11, vcc, 0, v11, vcc
	v_ashrrev_i64 v[10:11], 1, v[10:11]
	v_lshlrev_b64 v[12:13], 3, v[10:11]
	v_mov_b32_e32 v14, s13
	v_add_co_u32_e32 v12, vcc, s12, v12
	v_addc_co_u32_e32 v13, vcc, v14, v13, vcc
	global_load_dwordx2 v[12:13], v[12:13], off
	v_mov_b32_e32 v9, s25
	s_waitcnt vmcnt(0)
	v_subrev_co_u32_e32 v12, vcc, s24, v12
	v_subb_co_u32_e32 v13, vcc, v13, v9, vcc
	v_cmp_gt_i64_e32 vcc, v[12:13], v[0:1]
	v_cndmask_b32_e32 v4, v4, v10, vcc
	v_cndmask_b32_e32 v5, v5, v11, vcc
	;; [unrolled: 1-line block ×3, first 2 shown]
	v_add_co_u32_e64 v10, s[2:3], -1, v4
	v_cndmask_b32_e32 v3, v11, v3, vcc
	v_addc_co_u32_e64 v11, s[2:3], -1, v5, s[2:3]
	v_cmp_ge_i64_e32 vcc, v[2:3], v[4:5]
	v_cmp_eq_u64_e64 s[2:3], v[2:3], v[10:11]
	s_or_b64 s[2:3], vcc, s[2:3]
	s_and_b64 s[2:3], exec, s[2:3]
	s_or_b64 s[10:11], s[2:3], s[10:11]
	s_andn2_b64 exec, exec, s[10:11]
	s_cbranch_execnz .LBB81_33
; %bb.34:                               ;   in Loop: Header=BB81_31 Depth=1
	s_or_b64 exec, exec, s[10:11]
.LBB81_35:                              ;   in Loop: Header=BB81_31 Depth=1
	v_lshlrev_b64 v[10:11], 3, v[4:5]
	v_add_co_u32_e32 v10, vcc, s12, v10
	v_addc_co_u32_e32 v11, vcc, v6, v11, vcc
	global_load_dwordx2 v[10:11], v[10:11], off
	v_lshlrev_b64 v[12:13], 3, v[0:1]
	v_add_co_u32_e32 v12, vcc, s14, v12
	v_addc_co_u32_e32 v13, vcc, v8, v13, vcc
	global_load_dwordx2 v[12:13], v[12:13], off
	s_waitcnt vmcnt(1)
	v_subrev_co_u32_e32 v10, vcc, s24, v10
	v_subb_co_u32_e32 v11, vcc, v11, v7, vcc
	v_cmp_gt_i64_e32 vcc, v[10:11], v[0:1]
	v_cndmask_b32_e32 v3, v5, v3, vcc
	v_cndmask_b32_e32 v2, v4, v2, vcc
	s_waitcnt vmcnt(0)
	v_subrev_co_u32_e32 v4, vcc, s24, v12
	v_subb_co_u32_e32 v5, vcc, v13, v7, vcc
	v_cmp_ne_u64_e32 vcc, v[4:5], v[2:3]
	s_and_saveexec_b64 s[2:3], vcc
	s_cbranch_execz .LBB81_30
; %bb.36:                               ;   in Loop: Header=BB81_31 Depth=1
	v_lshlrev_b64 v[10:11], 1, v[0:1]
	v_mov_b32_e32 v12, s17
	v_add_co_u32_e32 v10, vcc, s16, v10
	v_addc_co_u32_e32 v11, vcc, v12, v11, vcc
	v_lshlrev_b64 v[2:3], 1, v[2:3]
	global_load_ushort v10, v[10:11], off
	v_mov_b32_e32 v11, s19
	v_add_co_u32_e32 v2, vcc, s18, v2
	v_lshlrev_b64 v[4:5], 2, v[4:5]
	v_addc_co_u32_e32 v3, vcc, v11, v3, vcc
	v_mov_b32_e32 v9, s29
	global_load_ushort v11, v[2:3], off
	v_add_co_u32_e32 v2, vcc, s28, v4
	v_addc_co_u32_e32 v3, vcc, v9, v5, vcc
	global_load_dword v5, v[2:3], off
	s_mov_b64 s[10:11], 0
	s_waitcnt vmcnt(2)
	v_lshlrev_b32_e32 v4, 16, v10
	v_mul_f32_e32 v4, s26, v4
	s_waitcnt vmcnt(1)
	v_lshlrev_b32_e32 v9, 16, v11
	v_mul_f32_e32 v9, v4, v9
.LBB81_37:                              ;   Parent Loop BB81_31 Depth=1
                                        ; =>  This Inner Loop Header: Depth=2
	s_waitcnt vmcnt(0)
	v_add_f32_e32 v4, v5, v9
	global_atomic_cmpswap v4, v[2:3], v[4:5], off glc
	s_waitcnt vmcnt(0)
	v_cmp_eq_u32_e32 vcc, v4, v5
	s_or_b64 s[10:11], vcc, s[10:11]
	v_mov_b32_e32 v5, v4
	s_andn2_b64 exec, exec, s[10:11]
	s_cbranch_execnz .LBB81_37
	s_branch .LBB81_30
.LBB81_38:
	s_endpgm
	.section	.rodata,"a",@progbits
	.p2align	6, 0x0
	.amdhsa_kernel _ZL33csrmvn_symm_large_adaptive_kernelIll18rocsparse_bfloat16S0_ffEvbT_PKS1_N9rocsparse24const_host_device_scalarIT4_EES3_PKT0_PKT1_PKT2_S7_PT3_21rocsparse_index_base_b
		.amdhsa_group_segment_fixed_size 4096
		.amdhsa_private_segment_fixed_size 0
		.amdhsa_kernarg_size 88
		.amdhsa_user_sgpr_count 6
		.amdhsa_user_sgpr_private_segment_buffer 1
		.amdhsa_user_sgpr_dispatch_ptr 0
		.amdhsa_user_sgpr_queue_ptr 0
		.amdhsa_user_sgpr_kernarg_segment_ptr 1
		.amdhsa_user_sgpr_dispatch_id 0
		.amdhsa_user_sgpr_flat_scratch_init 0
		.amdhsa_user_sgpr_kernarg_preload_length 0
		.amdhsa_user_sgpr_kernarg_preload_offset 0
		.amdhsa_user_sgpr_private_segment_size 0
		.amdhsa_uses_dynamic_stack 0
		.amdhsa_system_sgpr_private_segment_wavefront_offset 0
		.amdhsa_system_sgpr_workgroup_id_x 1
		.amdhsa_system_sgpr_workgroup_id_y 0
		.amdhsa_system_sgpr_workgroup_id_z 0
		.amdhsa_system_sgpr_workgroup_info 0
		.amdhsa_system_vgpr_workitem_id 0
		.amdhsa_next_free_vgpr 18
		.amdhsa_next_free_sgpr 45
		.amdhsa_accum_offset 20
		.amdhsa_reserve_vcc 1
		.amdhsa_reserve_flat_scratch 0
		.amdhsa_float_round_mode_32 0
		.amdhsa_float_round_mode_16_64 0
		.amdhsa_float_denorm_mode_32 3
		.amdhsa_float_denorm_mode_16_64 3
		.amdhsa_dx10_clamp 1
		.amdhsa_ieee_mode 1
		.amdhsa_fp16_overflow 0
		.amdhsa_tg_split 0
		.amdhsa_exception_fp_ieee_invalid_op 0
		.amdhsa_exception_fp_denorm_src 0
		.amdhsa_exception_fp_ieee_div_zero 0
		.amdhsa_exception_fp_ieee_overflow 0
		.amdhsa_exception_fp_ieee_underflow 0
		.amdhsa_exception_fp_ieee_inexact 0
		.amdhsa_exception_int_div_zero 0
	.end_amdhsa_kernel
	.section	.text._ZL33csrmvn_symm_large_adaptive_kernelIll18rocsparse_bfloat16S0_ffEvbT_PKS1_N9rocsparse24const_host_device_scalarIT4_EES3_PKT0_PKT1_PKT2_S7_PT3_21rocsparse_index_base_b,"axG",@progbits,_ZL33csrmvn_symm_large_adaptive_kernelIll18rocsparse_bfloat16S0_ffEvbT_PKS1_N9rocsparse24const_host_device_scalarIT4_EES3_PKT0_PKT1_PKT2_S7_PT3_21rocsparse_index_base_b,comdat
.Lfunc_end81:
	.size	_ZL33csrmvn_symm_large_adaptive_kernelIll18rocsparse_bfloat16S0_ffEvbT_PKS1_N9rocsparse24const_host_device_scalarIT4_EES3_PKT0_PKT1_PKT2_S7_PT3_21rocsparse_index_base_b, .Lfunc_end81-_ZL33csrmvn_symm_large_adaptive_kernelIll18rocsparse_bfloat16S0_ffEvbT_PKS1_N9rocsparse24const_host_device_scalarIT4_EES3_PKT0_PKT1_PKT2_S7_PT3_21rocsparse_index_base_b
                                        ; -- End function
	.section	.AMDGPU.csdata,"",@progbits
; Kernel info:
; codeLenInByte = 1712
; NumSgprs: 49
; NumVgprs: 18
; NumAgprs: 0
; TotalNumVgprs: 18
; ScratchSize: 0
; MemoryBound: 0
; FloatMode: 240
; IeeeMode: 1
; LDSByteSize: 4096 bytes/workgroup (compile time only)
; SGPRBlocks: 6
; VGPRBlocks: 2
; NumSGPRsForWavesPerEU: 49
; NumVGPRsForWavesPerEU: 18
; AccumOffset: 20
; Occupancy: 8
; WaveLimiterHint : 1
; COMPUTE_PGM_RSRC2:SCRATCH_EN: 0
; COMPUTE_PGM_RSRC2:USER_SGPR: 6
; COMPUTE_PGM_RSRC2:TRAP_HANDLER: 0
; COMPUTE_PGM_RSRC2:TGID_X_EN: 1
; COMPUTE_PGM_RSRC2:TGID_Y_EN: 0
; COMPUTE_PGM_RSRC2:TGID_Z_EN: 0
; COMPUTE_PGM_RSRC2:TIDIG_COMP_CNT: 0
; COMPUTE_PGM_RSRC3_GFX90A:ACCUM_OFFSET: 4
; COMPUTE_PGM_RSRC3_GFX90A:TG_SPLIT: 0
	.section	.text._ZN9rocsparseL22csrmvn_adaptive_kernelIiif21rocsparse_complex_numIfES2_S2_EEvbT_PKS3_PjPKT0_NS_24const_host_device_scalarIT4_EES5_S9_PKT1_PKT2_SC_PT3_21rocsparse_index_base_b,"axG",@progbits,_ZN9rocsparseL22csrmvn_adaptive_kernelIiif21rocsparse_complex_numIfES2_S2_EEvbT_PKS3_PjPKT0_NS_24const_host_device_scalarIT4_EES5_S9_PKT1_PKT2_SC_PT3_21rocsparse_index_base_b,comdat
	.globl	_ZN9rocsparseL22csrmvn_adaptive_kernelIiif21rocsparse_complex_numIfES2_S2_EEvbT_PKS3_PjPKT0_NS_24const_host_device_scalarIT4_EES5_S9_PKT1_PKT2_SC_PT3_21rocsparse_index_base_b ; -- Begin function _ZN9rocsparseL22csrmvn_adaptive_kernelIiif21rocsparse_complex_numIfES2_S2_EEvbT_PKS3_PjPKT0_NS_24const_host_device_scalarIT4_EES5_S9_PKT1_PKT2_SC_PT3_21rocsparse_index_base_b
	.p2align	8
	.type	_ZN9rocsparseL22csrmvn_adaptive_kernelIiif21rocsparse_complex_numIfES2_S2_EEvbT_PKS3_PjPKT0_NS_24const_host_device_scalarIT4_EES5_S9_PKT1_PKT2_SC_PT3_21rocsparse_index_base_b,@function
_ZN9rocsparseL22csrmvn_adaptive_kernelIiif21rocsparse_complex_numIfES2_S2_EEvbT_PKS3_PjPKT0_NS_24const_host_device_scalarIT4_EES5_S9_PKT1_PKT2_SC_PT3_21rocsparse_index_base_b: ; @_ZN9rocsparseL22csrmvn_adaptive_kernelIiif21rocsparse_complex_numIfES2_S2_EEvbT_PKS3_PjPKT0_NS_24const_host_device_scalarIT4_EES5_S9_PKT1_PKT2_SC_PT3_21rocsparse_index_base_b
; %bb.0:
	s_load_dwordx2 s[38:39], s[4:5], 0x58
	s_load_dwordx2 s[8:9], s[4:5], 0x20
	;; [unrolled: 1-line block ×3, first 2 shown]
	s_waitcnt lgkmcnt(0)
	s_bitcmp1_b32 s39, 0
	s_cselect_b64 s[0:1], -1, 0
	s_xor_b64 s[10:11], s[0:1], -1
	s_and_b64 vcc, exec, s[0:1]
	v_mov_b32_e32 v4, s8
	s_cbranch_vccnz .LBB82_2
; %bb.1:
	v_pk_mov_b32 v[2:3], s[8:9], s[8:9] op_sel:[0,1]
	flat_load_dword v4, v[2:3]
.LBB82_2:
	v_cndmask_b32_e64 v1, 0, 1, s[10:11]
	v_cmp_ne_u32_e64 s[0:1], 1, v1
	s_andn2_b64 vcc, exec, s[10:11]
	v_mov_b32_e32 v5, s9
	s_cbranch_vccz .LBB82_38
; %bb.3:
	s_and_b64 vcc, exec, s[0:1]
	v_mov_b32_e32 v2, s2
	s_cbranch_vccz .LBB82_39
.LBB82_4:
	s_and_b64 vcc, exec, s[0:1]
	v_mov_b32_e32 v3, s3
	s_cbranch_vccnz .LBB82_6
.LBB82_5:
	v_pk_mov_b32 v[6:7], s[2:3], s[2:3] op_sel:[0,1]
	flat_load_dword v3, v[6:7] offset:4
.LBB82_6:
	s_waitcnt vmcnt(0) lgkmcnt(0)
	v_or_b32_e32 v1, v4, v5
	v_and_b32_e32 v1, 0x7fffffff, v1
	v_cmp_eq_u32_e32 vcc, 0, v1
	s_mov_b64 s[0:1], -1
	s_and_saveexec_b64 s[2:3], vcc
; %bb.7:
	v_and_b32_e32 v1, 0x7fffffff, v3
	v_cmp_neq_f32_e32 vcc, 1.0, v2
	v_cmp_ne_u32_e64 s[0:1], 0, v1
	s_or_b64 s[0:1], vcc, s[0:1]
	s_orn2_b64 s[0:1], s[0:1], exec
; %bb.8:
	s_or_b64 exec, exec, s[2:3]
	s_and_saveexec_b64 s[2:3], s[0:1]
	s_cbranch_execz .LBB82_136
; %bb.9:
	s_load_dwordx2 s[0:1], s[4:5], 0x8
	s_load_dwordx2 s[8:9], s[4:5], 0x18
	s_ashr_i32 s7, s6, 31
	s_lshl_b64 s[42:43], s[6:7], 2
	s_waitcnt lgkmcnt(0)
	s_add_u32 s0, s0, s42
	s_addc_u32 s1, s1, s43
	s_load_dwordx2 s[34:35], s[0:1], 0x0
	s_load_dwordx2 s[22:23], s[4:5], 0x50
	s_load_dwordx8 s[24:31], s[4:5], 0x28
	s_waitcnt lgkmcnt(0)
	s_sub_i32 s2, s35, s34
	s_add_u32 s0, s8, s42
	s_mov_b32 s40, s34
	s_addc_u32 s1, s9, s43
	s_ashr_i32 s41, s34, 31
	s_load_dword s33, s[0:1], 0x0
	s_lshl_b64 s[0:1], s[40:41], 2
	s_add_u32 s36, s24, s0
	s_addc_u32 s37, s25, s1
	s_load_dword s39, s[36:37], 0x0
	s_cmp_lt_i32 s2, 2
	s_mov_b64 s[0:1], -1
	s_cbranch_scc0 .LBB82_81
; %bb.10:
	s_cmp_lg_u32 s2, 1
	s_cselect_b64 s[0:1], -1, 0
	s_waitcnt lgkmcnt(0)
	s_cmp_lg_u32 s33, 0
	s_cselect_b64 s[2:3], -1, 0
	s_or_b64 s[2:3], s[0:1], s[2:3]
	s_mov_b64 s[0:1], -1
	s_and_b64 vcc, exec, s[2:3]
	s_cbranch_vccnz .LBB82_41
; %bb.11:
	s_cmp_le_i32 s35, s34
	s_cbranch_scc1 .LBB82_40
; %bb.12:
	s_mov_b32 s0, 0
	s_brev_b32 s1, 1
	v_pk_mul_f32 v[8:9], v[4:5], s[0:1]
	v_mov_b32_e32 v7, v8
	v_and_b32_e32 v8, 0x7fffffff, v2
	v_cmp_ne_u32_e32 vcc, 0, v8
	v_cmp_neq_f32_e64 s[20:21], 0, v3
	s_or_b64 s[44:45], vcc, s[20:21]
	s_movk_i32 s0, 0x80
	s_add_u32 s7, s24, 4
	v_subrev_u32_e32 v1, s38, v0
	v_mov_b32_e32 v6, v9
	v_lshlrev_b32_e32 v18, 3, v0
	v_cmp_gt_u32_e64 s[0:1], s0, v0
	v_cmp_gt_u32_e64 s[2:3], 64, v0
	;; [unrolled: 1-line block ×7, first 2 shown]
	v_cmp_eq_u32_e64 s[18:19], 0, v0
	v_xor_b32_e32 v8, 0x80000000, v3
	v_mov_b32_e32 v9, v2
	s_addc_u32 s52, s25, 0
	v_mov_b32_e32 v19, s31
	v_mov_b32_e32 v20, 0
	s_mov_b32 s53, s39
	s_mov_b32 s46, s34
	s_branch .LBB82_15
.LBB82_13:                              ;   in Loop: Header=BB82_15 Depth=1
	s_or_b64 exec, exec, s[48:49]
	s_lshl_b64 s[48:49], s[46:47], 3
	s_add_u32 s48, s22, s48
	s_addc_u32 s49, s23, s49
	s_waitcnt lgkmcnt(0)
	global_store_dwordx2 v20, v[10:11], s[48:49]
.LBB82_14:                              ;   in Loop: Header=BB82_15 Depth=1
	s_or_b64 exec, exec, s[20:21]
	s_add_i32 s46, s46, 1
	s_cmp_ge_i32 s46, s35
	s_cbranch_scc1 .LBB82_40
.LBB82_15:                              ; =>This Loop Header: Depth=1
                                        ;     Child Loop BB82_17 Depth 2
	s_ashr_i32 s47, s46, 31
	s_lshl_b64 s[20:21], s[46:47], 2
	s_add_u32 s20, s7, s20
	s_addc_u32 s21, s52, s21
	s_mov_b32 s48, s53
	s_load_dword s53, s[20:21], 0x0
	v_add_u32_e32 v10, s48, v1
	v_mov_b32_e32 v13, 0
	v_mov_b32_e32 v12, 0
	s_waitcnt lgkmcnt(0)
	s_sub_i32 s54, s53, s38
	v_cmp_gt_i32_e32 vcc, s54, v10
	s_and_saveexec_b64 s[48:49], vcc
	s_cbranch_execz .LBB82_19
; %bb.16:                               ;   in Loop: Header=BB82_15 Depth=1
	v_ashrrev_i32_e32 v11, 31, v10
	v_lshlrev_b64 v[12:13], 2, v[10:11]
	v_mov_b32_e32 v11, s29
	v_add_co_u32_e32 v14, vcc, s28, v12
	v_addc_co_u32_e32 v15, vcc, v11, v13, vcc
	v_mov_b32_e32 v11, s27
	v_add_co_u32_e32 v16, vcc, s26, v12
	v_mov_b32_e32 v12, 0
	v_addc_co_u32_e32 v17, vcc, v11, v13, vcc
	s_mov_b64 s[50:51], 0
	v_mov_b32_e32 v13, v12
.LBB82_17:                              ;   Parent Loop BB82_15 Depth=1
                                        ; =>  This Inner Loop Header: Depth=2
	global_load_dword v11, v[16:17], off
	global_load_dword v22, v[14:15], off
	v_add_u32_e32 v10, 0x100, v10
	v_cmp_le_i32_e64 s[20:21], s54, v10
	s_or_b64 s[50:51], s[20:21], s[50:51]
	s_waitcnt vmcnt(1)
	v_subrev_u32_e32 v24, s38, v11
	v_ashrrev_i32_e32 v25, 31, v24
	v_lshlrev_b64 v[24:25], 3, v[24:25]
	v_add_co_u32_e32 v24, vcc, s30, v24
	v_addc_co_u32_e32 v25, vcc, v19, v25, vcc
	global_load_dwordx2 v[24:25], v[24:25], off
	v_add_co_u32_e32 v14, vcc, 0x400, v14
	v_addc_co_u32_e32 v15, vcc, 0, v15, vcc
	s_waitcnt vmcnt(1)
	v_pk_fma_f32 v[22:23], v[4:5], v[22:23], v[6:7] op_sel_hi:[1,0,1]
	v_add_co_u32_e32 v16, vcc, 0x400, v16
	v_addc_co_u32_e32 v17, vcc, 0, v17, vcc
	s_waitcnt vmcnt(0)
	v_pk_fma_f32 v[12:13], v[22:23], v[24:25], v[12:13] op_sel_hi:[1,0,1]
	v_pk_fma_f32 v[12:13], v[22:23], v[24:25], v[12:13] op_sel:[1,1,0] op_sel_hi:[0,1,1] neg_lo:[1,0,0]
	s_andn2_b64 exec, exec, s[50:51]
	s_cbranch_execnz .LBB82_17
; %bb.18:                               ;   in Loop: Header=BB82_15 Depth=1
	s_or_b64 exec, exec, s[50:51]
.LBB82_19:                              ;   in Loop: Header=BB82_15 Depth=1
	s_or_b64 exec, exec, s[48:49]
	ds_write_b64 v18, v[12:13]
	s_waitcnt lgkmcnt(0)
	s_barrier
	s_and_saveexec_b64 s[20:21], s[0:1]
	s_cbranch_execz .LBB82_21
; %bb.20:                               ;   in Loop: Header=BB82_15 Depth=1
	ds_read2st64_b64 v[10:13], v18 offset1:2
	s_waitcnt lgkmcnt(0)
	v_pk_add_f32 v[10:11], v[12:13], v[10:11]
	ds_write_b64 v18, v[10:11]
.LBB82_21:                              ;   in Loop: Header=BB82_15 Depth=1
	s_or_b64 exec, exec, s[20:21]
	s_waitcnt lgkmcnt(0)
	s_barrier
	s_and_saveexec_b64 s[20:21], s[2:3]
	s_cbranch_execz .LBB82_23
; %bb.22:                               ;   in Loop: Header=BB82_15 Depth=1
	ds_read2st64_b64 v[10:13], v18 offset1:1
	s_waitcnt lgkmcnt(0)
	v_pk_add_f32 v[10:11], v[12:13], v[10:11]
	ds_write_b64 v18, v[10:11]
.LBB82_23:                              ;   in Loop: Header=BB82_15 Depth=1
	s_or_b64 exec, exec, s[20:21]
	s_waitcnt lgkmcnt(0)
	s_barrier
	s_and_saveexec_b64 s[20:21], s[8:9]
	s_cbranch_execz .LBB82_25
; %bb.24:                               ;   in Loop: Header=BB82_15 Depth=1
	ds_read2_b64 v[10:13], v18 offset1:32
	s_waitcnt lgkmcnt(0)
	v_pk_add_f32 v[10:11], v[12:13], v[10:11]
	ds_write_b64 v18, v[10:11]
.LBB82_25:                              ;   in Loop: Header=BB82_15 Depth=1
	s_or_b64 exec, exec, s[20:21]
	s_waitcnt lgkmcnt(0)
	s_barrier
	s_and_saveexec_b64 s[20:21], s[10:11]
	s_cbranch_execz .LBB82_27
; %bb.26:                               ;   in Loop: Header=BB82_15 Depth=1
	ds_read2_b64 v[10:13], v18 offset1:16
	s_waitcnt lgkmcnt(0)
	v_pk_add_f32 v[10:11], v[12:13], v[10:11]
	ds_write_b64 v18, v[10:11]
.LBB82_27:                              ;   in Loop: Header=BB82_15 Depth=1
	;; [unrolled: 11-line block ×6, first 2 shown]
	s_or_b64 exec, exec, s[20:21]
	s_waitcnt lgkmcnt(0)
	s_barrier
	s_and_saveexec_b64 s[20:21], s[18:19]
	s_cbranch_execz .LBB82_14
; %bb.36:                               ;   in Loop: Header=BB82_15 Depth=1
	ds_read_b64 v[10:11], v20
	s_and_saveexec_b64 s[48:49], s[44:45]
	s_cbranch_execz .LBB82_13
; %bb.37:                               ;   in Loop: Header=BB82_15 Depth=1
	s_lshl_b64 s[50:51], s[46:47], 3
	s_add_u32 s50, s22, s50
	s_addc_u32 s51, s23, s51
	global_load_dwordx2 v[12:13], v20, s[50:51]
	s_waitcnt vmcnt(0) lgkmcnt(0)
	v_pk_fma_f32 v[10:11], v[2:3], v[12:13], v[10:11] op_sel_hi:[1,0,1]
	v_pk_fma_f32 v[10:11], v[8:9], v[12:13], v[10:11] op_sel:[0,1,0]
	s_branch .LBB82_13
.LBB82_38:
	v_pk_mov_b32 v[2:3], s[8:9], s[8:9] op_sel:[0,1]
	flat_load_dword v5, v[2:3] offset:4
	s_and_b64 vcc, exec, s[0:1]
	v_mov_b32_e32 v2, s2
	s_cbranch_vccnz .LBB82_4
.LBB82_39:
	v_pk_mov_b32 v[2:3], s[2:3], s[2:3] op_sel:[0,1]
	flat_load_dword v2, v[2:3]
	s_and_b64 vcc, exec, s[0:1]
	v_mov_b32_e32 v3, s3
	s_cbranch_vccz .LBB82_5
	s_branch .LBB82_6
.LBB82_40:
	s_mov_b64 s[0:1], 0
.LBB82_41:
	s_andn2_b64 vcc, exec, s[0:1]
	s_cbranch_vccnz .LBB82_80
; %bb.42:
	s_load_dwordx2 s[8:9], s[4:5], 0x10
	s_sub_i32 s6, s6, s33
	s_mov_b32 s0, 0
	v_or_b32_e32 v1, s33, v0
	s_mov_b32 s1, s0
	s_waitcnt lgkmcnt(0)
	s_add_u32 s2, s8, s42
	s_addc_u32 s3, s9, s43
	s_load_dword s14, s[2:3], 0x0
	v_cmp_eq_u32_e32 vcc, 0, v1
	v_pk_mov_b32 v[6:7], s[0:1], s[0:1] op_sel:[0,1]
	s_and_saveexec_b64 s[0:1], vcc
	s_cbranch_execz .LBB82_46
; %bb.43:
	s_lshl_b64 s[12:13], s[40:41], 3
	s_add_u32 s12, s22, s12
	s_addc_u32 s13, s23, s13
	v_mov_b32_e32 v1, 0
	global_load_dwordx2 v[6:7], v1, s[12:13]
	s_mov_b64 s[10:11], exec
	v_mbcnt_lo_u32_b32 v12, s10, 0
	v_add_f32_e32 v11, -1.0, v2
	v_xor_b32_e32 v10, 0x80000000, v3
	v_mbcnt_hi_u32_b32 v12, s11, v12
	v_mov_b32_e32 v9, v3
	v_mov_b32_e32 v8, v11
	v_cmp_eq_u32_e32 vcc, 0, v12
	s_waitcnt vmcnt(0) expcnt(0) lgkmcnt(0)
	v_pk_mul_f32 v[10:11], v[6:7], v[10:11] op_sel:[1,0]
	s_and_saveexec_b64 s[12:13], vcc
	s_cbranch_execz .LBB82_45
; %bb.44:
	s_ashr_i32 s7, s6, 31
	s_lshl_b64 s[16:17], s[6:7], 2
	s_add_u32 s16, s8, s16
	s_addc_u32 s17, s9, s17
	s_bcnt1_i32_b64 s7, s[10:11]
	s_and_b32 s7, s7, 1
	v_mov_b32_e32 v12, s7
	global_atomic_xor v1, v12, s[16:17]
.LBB82_45:
	s_or_b64 exec, exec, s[12:13]
	v_pk_fma_f32 v[6:7], v[8:9], v[6:7], v[10:11] op_sel_hi:[1,0,1]
.LBB82_46:
	s_or_b64 exec, exec, s[0:1]
	s_load_dword s1, s[36:37], 0x4
	s_mul_i32 s0, s33, 0xc00
	s_sub_i32 s7, s39, s38
	s_add_i32 s0, s7, s0
	v_add_u32_e32 v8, s0, v0
	s_waitcnt lgkmcnt(0)
	s_sub_i32 s1, s1, s38
	v_cmp_gt_i32_e32 vcc, s1, v8
	s_and_saveexec_b64 s[10:11], vcc
	s_cbranch_execz .LBB82_50
; %bb.47:
	s_addk_i32 s0, 0xc00
	s_min_i32 s7, s0, s1
	s_mov_b32 s0, 0
	s_brev_b32 s1, 1
	v_ashrrev_i32_e32 v9, 31, v8
	v_pk_mul_f32 v[12:13], v[4:5], s[0:1]
	v_lshlrev_b64 v[14:15], 2, v[8:9]
	v_mov_b32_e32 v11, v12
	v_mov_b32_e32 v1, s29
	v_add_co_u32_e32 v12, vcc, s28, v14
	v_mov_b32_e32 v10, v13
	v_addc_co_u32_e32 v13, vcc, v1, v15, vcc
	v_mov_b32_e32 v1, s27
	v_add_co_u32_e32 v14, vcc, s26, v14
	v_addc_co_u32_e32 v15, vcc, v1, v15, vcc
	s_mov_b64 s[12:13], 0
	v_mov_b32_e32 v1, s31
.LBB82_48:                              ; =>This Inner Loop Header: Depth=1
	global_load_dword v9, v[14:15], off
	global_load_dword v16, v[12:13], off
	v_add_u32_e32 v8, 0x100, v8
	v_cmp_le_i32_e64 s[0:1], s7, v8
	s_or_b64 s[12:13], s[0:1], s[12:13]
	s_waitcnt vmcnt(1)
	v_subrev_u32_e32 v18, s38, v9
	v_ashrrev_i32_e32 v19, 31, v18
	v_lshlrev_b64 v[18:19], 3, v[18:19]
	v_add_co_u32_e32 v18, vcc, s30, v18
	v_addc_co_u32_e32 v19, vcc, v1, v19, vcc
	global_load_dwordx2 v[18:19], v[18:19], off
	v_add_co_u32_e32 v12, vcc, 0x400, v12
	v_addc_co_u32_e32 v13, vcc, 0, v13, vcc
	s_waitcnt vmcnt(1)
	v_pk_fma_f32 v[16:17], v[4:5], v[16:17], v[10:11] op_sel_hi:[1,0,1]
	v_add_co_u32_e32 v14, vcc, 0x400, v14
	v_addc_co_u32_e32 v15, vcc, 0, v15, vcc
	s_waitcnt vmcnt(0)
	v_pk_fma_f32 v[6:7], v[16:17], v[18:19], v[6:7] op_sel_hi:[1,0,1]
	v_pk_fma_f32 v[6:7], v[16:17], v[18:19], v[6:7] op_sel:[1,1,0] op_sel_hi:[0,1,1] neg_lo:[1,0,0]
	s_andn2_b64 exec, exec, s[12:13]
	s_cbranch_execnz .LBB82_48
; %bb.49:
	s_or_b64 exec, exec, s[12:13]
.LBB82_50:
	s_or_b64 exec, exec, s[10:11]
	s_movk_i32 s0, 0x80
	v_lshlrev_b32_e32 v1, 3, v0
	v_cmp_gt_u32_e32 vcc, s0, v0
	ds_write_b64 v1, v[6:7]
	s_waitcnt lgkmcnt(0)
	s_barrier
	s_and_saveexec_b64 s[0:1], vcc
	s_cbranch_execz .LBB82_52
; %bb.51:
	ds_read2st64_b64 v[6:9], v1 offset1:2
	s_waitcnt lgkmcnt(0)
	v_pk_add_f32 v[6:7], v[8:9], v[6:7]
	ds_write_b64 v1, v[6:7]
.LBB82_52:
	s_or_b64 exec, exec, s[0:1]
	v_cmp_gt_u32_e32 vcc, 64, v0
	s_waitcnt lgkmcnt(0)
	s_barrier
	s_and_saveexec_b64 s[0:1], vcc
	s_cbranch_execz .LBB82_54
; %bb.53:
	ds_read2st64_b64 v[6:9], v1 offset1:1
	s_waitcnt lgkmcnt(0)
	v_pk_add_f32 v[6:7], v[8:9], v[6:7]
	ds_write_b64 v1, v[6:7]
.LBB82_54:
	s_or_b64 exec, exec, s[0:1]
	v_cmp_gt_u32_e32 vcc, 32, v0
	s_waitcnt lgkmcnt(0)
	s_barrier
	s_and_saveexec_b64 s[0:1], vcc
	s_cbranch_execz .LBB82_56
; %bb.55:
	ds_read2_b64 v[6:9], v1 offset1:32
	s_waitcnt lgkmcnt(0)
	v_pk_add_f32 v[6:7], v[8:9], v[6:7]
	ds_write_b64 v1, v[6:7]
.LBB82_56:
	s_or_b64 exec, exec, s[0:1]
	v_cmp_gt_u32_e32 vcc, 16, v0
	s_waitcnt lgkmcnt(0)
	s_barrier
	s_and_saveexec_b64 s[0:1], vcc
	s_cbranch_execz .LBB82_58
; %bb.57:
	ds_read2_b64 v[6:9], v1 offset1:16
	s_waitcnt lgkmcnt(0)
	v_pk_add_f32 v[6:7], v[8:9], v[6:7]
	ds_write_b64 v1, v[6:7]
.LBB82_58:
	;; [unrolled: 12-line block ×5, first 2 shown]
	s_or_b64 exec, exec, s[0:1]
	v_cmp_eq_u32_e32 vcc, 0, v0
	s_waitcnt lgkmcnt(0)
	s_barrier
	s_and_saveexec_b64 s[0:1], vcc
	s_cbranch_execz .LBB82_66
; %bb.65:
	v_mov_b32_e32 v1, 0
	ds_read2_b64 v[6:9], v1 offset1:1
	s_waitcnt lgkmcnt(0)
	v_pk_add_f32 v[6:7], v[8:9], v[6:7]
	ds_write_b64 v1, v[6:7]
.LBB82_66:
	s_or_b64 exec, exec, s[0:1]
	s_waitcnt lgkmcnt(0)
	s_barrier
	s_and_saveexec_b64 s[0:1], vcc
	s_cbranch_execz .LBB82_79
; %bb.67:
	s_cmp_eq_u32 s33, 0
	s_cbranch_scc1 .LBB82_73
; %bb.68:
	s_ashr_i32 s7, s6, 31
	s_lshl_b64 s[6:7], s[6:7], 2
	s_add_u32 s6, s8, s6
	s_addc_u32 s7, s9, s7
	v_mov_b32_e32 v1, 0
	s_branch .LBB82_70
.LBB82_69:                              ;   in Loop: Header=BB82_70 Depth=1
	s_or_b64 exec, exec, s[8:9]
	s_waitcnt vmcnt(0)
	v_readfirstlane_b32 s8, v6
	s_cmp_eq_u32 s8, s14
	s_cbranch_scc0 .LBB82_72
.LBB82_70:                              ; =>This Inner Loop Header: Depth=1
	v_mbcnt_lo_u32_b32 v6, exec_lo, 0
	v_mbcnt_hi_u32_b32 v6, exec_hi, v6
	v_cmp_eq_u32_e32 vcc, 0, v6
                                        ; implicit-def: $vgpr6
	s_and_saveexec_b64 s[8:9], vcc
	s_cbranch_execz .LBB82_69
; %bb.71:                               ;   in Loop: Header=BB82_70 Depth=1
	global_load_dword v6, v1, s[6:7] glc
	s_branch .LBB82_69
.LBB82_72:
	v_mov_b32_e32 v1, 0
	global_load_dword v6, v1, s[2:3]
	s_waitcnt vmcnt(0)
	v_xor_b32_e32 v6, 1, v6
	global_store_dword v1, v6, s[2:3]
.LBB82_73:
	v_mov_b32_e32 v1, 0
	ds_read_b64 v[6:7], v1
	s_mov_b64 s[8:9], exec
	s_lshl_b64 s[2:3], s[40:41], 3
	v_mbcnt_lo_u32_b32 v8, s8, 0
	s_add_u32 s2, s22, s2
	v_mbcnt_hi_u32_b32 v8, s9, v8
	s_addc_u32 s3, s23, s3
	v_cmp_eq_u32_e32 vcc, 0, v8
	s_and_saveexec_b64 s[6:7], vcc
	s_cbranch_execz .LBB82_76
; %bb.74:
	global_load_dword v9, v1, s[2:3]
	s_bcnt1_i32_b64 s8, s[8:9]
	v_cvt_f32_ubyte0_e32 v8, s8
	s_waitcnt lgkmcnt(0)
	v_mul_f32_e32 v6, v6, v8
	s_mov_b64 s[8:9], 0
.LBB82_75:                              ; =>This Inner Loop Header: Depth=1
	s_waitcnt vmcnt(0)
	v_add_f32_e32 v8, v9, v6
	global_atomic_cmpswap v8, v1, v[8:9], s[2:3] glc
	s_waitcnt vmcnt(0)
	v_cmp_eq_u32_e32 vcc, v8, v9
	s_or_b64 s[8:9], vcc, s[8:9]
	v_mov_b32_e32 v9, v8
	s_andn2_b64 exec, exec, s[8:9]
	s_cbranch_execnz .LBB82_75
.LBB82_76:
	s_or_b64 exec, exec, s[6:7]
	s_mov_b64 s[6:7], exec
	v_mbcnt_lo_u32_b32 v1, s6, 0
	v_mbcnt_hi_u32_b32 v1, s7, v1
	v_cmp_eq_u32_e32 vcc, 0, v1
	s_and_b64 s[8:9], exec, vcc
	s_mov_b64 exec, s[8:9]
	s_cbranch_execz .LBB82_79
; %bb.77:
	v_mov_b32_e32 v1, 0
	global_load_dword v9, v1, s[2:3] offset:4
	s_bcnt1_i32_b64 s6, s[6:7]
	s_waitcnt lgkmcnt(0)
	v_cvt_f32_ubyte0_e32 v6, s6
	v_mul_f32_e32 v6, v7, v6
	s_mov_b64 s[6:7], 0
.LBB82_78:                              ; =>This Inner Loop Header: Depth=1
	s_waitcnt vmcnt(0)
	v_add_f32_e32 v8, v9, v6
	global_atomic_cmpswap v7, v1, v[8:9], s[2:3] offset:4 glc
	s_waitcnt vmcnt(0)
	v_cmp_eq_u32_e32 vcc, v7, v9
	s_or_b64 s[6:7], vcc, s[6:7]
	v_mov_b32_e32 v9, v7
	s_andn2_b64 exec, exec, s[6:7]
	s_cbranch_execnz .LBB82_78
.LBB82_79:
	s_or_b64 exec, exec, s[0:1]
.LBB82_80:
	s_mov_b64 s[0:1], 0
.LBB82_81:
	s_andn2_b64 vcc, exec, s[0:1]
	s_cbranch_vccnz .LBB82_136
; %bb.82:
	s_load_dword s0, s[4:5], 0x4
	v_subrev_u32_e32 v1, s38, v0
	s_waitcnt lgkmcnt(0)
	v_add_u32_e32 v8, s39, v1
	v_add_u32_e32 v1, 0x300, v8
	v_cmp_le_i32_e32 vcc, s0, v1
	s_and_saveexec_b64 s[0:1], vcc
	s_xor_b64 s[2:3], exec, s[0:1]
	s_cbranch_execz .LBB82_98
; %bb.83:
	s_ashr_i32 s1, s35, 31
	s_mov_b32 s0, s35
	s_lshl_b64 s[0:1], s[0:1], 2
	s_add_u32 s0, s24, s0
	s_addc_u32 s1, s25, s1
	s_load_dword s0, s[0:1], 0x0
	s_waitcnt lgkmcnt(0)
	s_sub_i32 s14, s0, s38
	v_cmp_gt_i32_e32 vcc, s14, v8
	s_and_saveexec_b64 s[4:5], vcc
	s_cbranch_execz .LBB82_97
; %bb.84:
	v_add_u32_e32 v1, s39, v0
	v_subrev_u32_e32 v1, s38, v1
	v_add_u32_e32 v1, 0x100, v1
	s_mov_b32 s0, 0
	v_max_i32_e32 v1, s14, v1
	v_not_b32_e32 v9, v0
	s_brev_b32 s1, 1
	v_add3_u32 v1, v1, s38, v9
	v_pk_mul_f32 v[6:7], v[4:5], s[0:1]
	v_subrev_u32_e32 v9, s39, v1
	s_movk_i32 s0, 0xb00
	v_cmp_gt_u32_e32 vcc, s0, v9
	s_movk_i32 s0, 0xaff
	v_cmp_lt_u32_e64 s[0:1], s0, v9
	v_mov_b32_e32 v1, 0
	s_and_saveexec_b64 s[6:7], s[0:1]
	s_cbranch_execz .LBB82_94
; %bb.85:
	v_and_b32_e32 v1, 0xffffff00, v9
	v_add_u32_e32 v1, v8, v1
	v_cmp_ge_i32_e64 s[0:1], v1, v8
	s_mov_b64 s[10:11], -1
	v_mov_b32_e32 v1, 0
	s_and_saveexec_b64 s[8:9], s[0:1]
	s_cbranch_execz .LBB82_93
; %bb.86:
	v_lshrrev_b32_e32 v1, 8, v9
	v_add_u32_e32 v9, -1, v1
	v_mov_b32_e32 v10, v4
	v_mov_b32_e32 v11, v4
	;; [unrolled: 1-line block ×8, first 2 shown]
	s_mov_b32 s15, s38
	v_cmp_lt_u32_e64 s[0:1], 1, v9
	v_mov_b32_e32 v22, 0x100
	v_mov_b32_e32 v23, 0
	s_and_saveexec_b64 s[10:11], s[0:1]
	s_cbranch_execz .LBB82_90
; %bb.87:
	v_lshrrev_b32_e32 v18, 1, v9
	v_add_u32_e32 v18, 1, v18
	v_and_b32_e32 v18, -2, v18
	s_movk_i32 s16, 0x100
	s_mov_b32 s17, 0
	s_mov_b64 s[12:13], 0
	v_mov_b32_e32 v19, s29
	v_mov_b32_e32 v20, s27
	;; [unrolled: 1-line block ×3, first 2 shown]
.LBB82_88:                              ; =>This Inner Loop Header: Depth=1
	v_add_u32_e32 v22, s17, v8
	v_ashrrev_i32_e32 v23, 31, v22
	v_add_u32_e32 v24, s16, v8
	v_lshlrev_b64 v[22:23], 2, v[22:23]
	s_add_i32 s19, s17, 0x200
	v_ashrrev_i32_e32 v25, 31, v24
	v_add_co_u32_e64 v30, s[0:1], s26, v22
	v_add_u32_e32 v26, s19, v8
	v_lshlrev_b64 v[24:25], 2, v[24:25]
	v_addc_co_u32_e64 v31, s[0:1], v20, v23, s[0:1]
	s_add_i32 s18, s16, 0x200
	v_ashrrev_i32_e32 v27, 31, v26
	v_add_co_u32_e64 v32, s[0:1], s26, v24
	v_add_u32_e32 v28, s18, v8
	v_addc_co_u32_e64 v33, s[0:1], v20, v25, s[0:1]
	v_lshlrev_b64 v[26:27], 2, v[26:27]
	global_load_dword v34, v[30:31], off
	global_load_dword v35, v[32:33], off
	v_ashrrev_i32_e32 v29, 31, v28
	v_add_co_u32_e64 v30, s[0:1], s26, v26
	v_lshlrev_b64 v[28:29], 2, v[28:29]
	v_addc_co_u32_e64 v31, s[0:1], v20, v27, s[0:1]
	v_add_co_u32_e64 v32, s[0:1], s26, v28
	v_addc_co_u32_e64 v33, s[0:1], v20, v29, s[0:1]
	global_load_dword v36, v[30:31], off
	global_load_dword v37, v[32:33], off
	v_add_co_u32_e64 v22, s[0:1], s28, v22
	v_addc_co_u32_e64 v23, s[0:1], v19, v23, s[0:1]
	v_add_co_u32_e64 v24, s[0:1], s28, v24
	v_addc_co_u32_e64 v25, s[0:1], v19, v25, s[0:1]
	global_load_dword v30, v[22:23], off
	global_load_dword v31, v[24:25], off
	v_add_co_u32_e64 v22, s[0:1], s28, v26
	v_addc_co_u32_e64 v23, s[0:1], v19, v27, s[0:1]
	v_add_co_u32_e64 v24, s[0:1], s28, v28
	v_addc_co_u32_e64 v25, s[0:1], v19, v29, s[0:1]
	global_load_dword v26, v[22:23], off
	global_load_dword v27, v[24:25], off
	v_add_u32_e32 v18, -2, v18
	v_add_lshl_u32 v44, s17, v0, 3
	v_add_lshl_u32 v45, s16, v0, 3
	s_addk_i32 s17, 0x400
	s_addk_i32 s16, 0x400
	v_add_lshl_u32 v46, s19, v0, 3
	v_add_lshl_u32 v47, s18, v0, 3
	s_waitcnt vmcnt(7)
	v_subrev_u32_e32 v22, s38, v34
	v_ashrrev_i32_e32 v23, 31, v22
	s_waitcnt vmcnt(6)
	v_subrev_u32_e32 v24, s15, v35
	v_lshlrev_b64 v[22:23], 3, v[22:23]
	v_ashrrev_i32_e32 v25, 31, v24
	v_add_co_u32_e64 v22, s[0:1], s30, v22
	v_lshlrev_b64 v[24:25], 3, v[24:25]
	v_addc_co_u32_e64 v23, s[0:1], v21, v23, s[0:1]
	v_add_co_u32_e64 v24, s[0:1], s30, v24
	s_waitcnt vmcnt(5)
	v_subrev_u32_e32 v28, s38, v36
	v_ashrrev_i32_e32 v29, 31, v28
	s_waitcnt vmcnt(4)
	v_subrev_u32_e32 v32, s15, v37
	v_addc_co_u32_e64 v25, s[0:1], v21, v25, s[0:1]
	v_lshlrev_b64 v[28:29], 3, v[28:29]
	v_ashrrev_i32_e32 v33, 31, v32
	global_load_dwordx2 v[34:35], v[22:23], off
	global_load_dwordx2 v[36:37], v[24:25], off
	v_add_co_u32_e64 v22, s[0:1], s30, v28
	v_lshlrev_b64 v[32:33], 3, v[32:33]
	v_addc_co_u32_e64 v23, s[0:1], v21, v29, s[0:1]
	v_add_co_u32_e64 v24, s[0:1], s30, v32
	v_addc_co_u32_e64 v25, s[0:1], v21, v33, s[0:1]
	global_load_dwordx2 v[28:29], v[22:23], off
	global_load_dwordx2 v[32:33], v[24:25], off
	s_waitcnt vmcnt(6)
	v_pk_fma_f32 v[24:25], v[10:11], v[30:31], v[12:13]
	v_pk_fma_f32 v[30:31], v[14:15], v[30:31], v[16:17]
	s_waitcnt vmcnt(4)
	v_pk_fma_f32 v[38:39], v[10:11], v[26:27], v[12:13]
	v_pk_fma_f32 v[26:27], v[14:15], v[26:27], v[16:17]
	v_cmp_eq_u32_e64 s[0:1], 0, v18
	v_mov_b32_e32 v23, s17
	v_mov_b32_e32 v22, s16
	s_or_b64 s[12:13], s[0:1], s[12:13]
	s_waitcnt vmcnt(3)
	v_mov_b32_e32 v40, v34
	s_waitcnt vmcnt(2)
	v_mov_b32_e32 v41, v36
	v_mov_b32_e32 v36, v35
	v_pk_mul_f32 v[34:35], v[36:37], v[30:31] neg_lo:[0,1] neg_hi:[0,1]
	v_pk_mul_f32 v[36:37], v[24:25], v[36:37]
	v_pk_fma_f32 v[24:25], v[24:25], v[40:41], v[34:35]
	v_mov_b32_e32 v34, v24
	s_waitcnt vmcnt(1)
	v_mov_b32_e32 v42, v28
	s_waitcnt vmcnt(0)
	v_mov_b32_e32 v43, v32
	v_mov_b32_e32 v32, v29
	v_pk_fma_f32 v[28:29], v[30:31], v[40:41], v[36:37]
	v_pk_mul_f32 v[30:31], v[32:33], v[26:27] neg_lo:[0,1] neg_hi:[0,1]
	v_pk_mul_f32 v[32:33], v[38:39], v[32:33]
	v_mov_b32_e32 v35, v28
	v_mov_b32_e32 v28, v25
	v_pk_fma_f32 v[24:25], v[38:39], v[42:43], v[30:31]
	v_pk_fma_f32 v[26:27], v[26:27], v[42:43], v[32:33]
	ds_write_b64 v44, v[34:35]
	ds_write_b64 v45, v[28:29]
	v_mov_b32_e32 v28, v24
	v_mov_b32_e32 v29, v26
	v_mov_b32_e32 v26, v25
	ds_write_b64 v46, v[28:29]
	ds_write_b64 v47, v[26:27]
	s_andn2_b64 exec, exec, s[12:13]
	s_cbranch_execnz .LBB82_88
; %bb.89:
	s_or_b64 exec, exec, s[12:13]
.LBB82_90:
	s_or_b64 exec, exec, s[10:11]
	v_and_b32_e32 v9, 2, v9
	v_cmp_eq_u32_e64 s[0:1], 0, v9
	s_and_saveexec_b64 s[10:11], s[0:1]
	s_cbranch_execz .LBB82_92
; %bb.91:
	v_add_u32_e32 v18, v23, v8
	v_ashrrev_i32_e32 v19, 31, v18
	v_add_u32_e32 v8, v22, v8
	v_lshlrev_b64 v[18:19], 2, v[18:19]
	v_ashrrev_i32_e32 v9, 31, v8
	v_mov_b32_e32 v25, s27
	v_add_co_u32_e64 v20, s[0:1], s26, v18
	v_lshlrev_b64 v[8:9], 2, v[8:9]
	v_addc_co_u32_e64 v21, s[0:1], v25, v19, s[0:1]
	v_add_co_u32_e64 v24, s[0:1], s26, v8
	v_addc_co_u32_e64 v25, s[0:1], v25, v9, s[0:1]
	global_load_dword v26, v[20:21], off
	global_load_dword v27, v[24:25], off
	v_mov_b32_e32 v20, s29
	v_add_co_u32_e64 v18, s[0:1], s28, v18
	v_addc_co_u32_e64 v19, s[0:1], v20, v19, s[0:1]
	v_add_co_u32_e64 v8, s[0:1], s28, v8
	v_addc_co_u32_e64 v9, s[0:1], v20, v9, s[0:1]
	global_load_dword v20, v[18:19], off
	global_load_dword v21, v[8:9], off
	v_mov_b32_e32 v24, s31
	s_waitcnt vmcnt(3)
	v_subrev_u32_e32 v8, s38, v26
	v_ashrrev_i32_e32 v9, 31, v8
	s_waitcnt vmcnt(2)
	v_subrev_u32_e32 v18, s15, v27
	v_lshlrev_b64 v[8:9], 3, v[8:9]
	v_ashrrev_i32_e32 v19, 31, v18
	v_add_co_u32_e64 v8, s[0:1], s30, v8
	v_lshlrev_b64 v[18:19], 3, v[18:19]
	v_addc_co_u32_e64 v9, s[0:1], v24, v9, s[0:1]
	v_add_co_u32_e64 v18, s[0:1], s30, v18
	v_addc_co_u32_e64 v19, s[0:1], v24, v19, s[0:1]
	global_load_dwordx2 v[24:25], v[8:9], off
	global_load_dwordx2 v[26:27], v[18:19], off
	s_waitcnt vmcnt(2)
	v_pk_fma_f32 v[8:9], v[10:11], v[20:21], v[12:13]
	v_pk_fma_f32 v[10:11], v[14:15], v[20:21], v[16:17]
	v_add_lshl_u32 v18, v23, v0, 3
	v_add_lshl_u32 v19, v22, v0, 3
	s_waitcnt vmcnt(1)
	v_mov_b32_e32 v12, v24
	s_waitcnt vmcnt(0)
	v_mov_b32_e32 v13, v26
	v_mov_b32_e32 v26, v25
	v_pk_mul_f32 v[14:15], v[26:27], v[10:11] neg_lo:[0,1] neg_hi:[0,1]
	v_pk_mul_f32 v[16:17], v[8:9], v[26:27]
	v_pk_fma_f32 v[8:9], v[8:9], v[12:13], v[14:15]
	v_pk_fma_f32 v[10:11], v[10:11], v[12:13], v[16:17]
	v_mov_b32_e32 v12, v8
	v_mov_b32_e32 v13, v10
	;; [unrolled: 1-line block ×3, first 2 shown]
	ds_write_b64 v18, v[12:13]
	ds_write_b64 v19, v[10:11]
.LBB82_92:
	s_or_b64 exec, exec, s[10:11]
	v_add_u32_e32 v8, 1, v1
	v_and_b32_e32 v9, 0x1fffffe, v8
	v_cmp_ne_u32_e64 s[0:1], v8, v9
	v_lshlrev_b32_e32 v1, 8, v9
	s_orn2_b64 s[10:11], s[0:1], exec
.LBB82_93:
	s_or_b64 exec, exec, s[8:9]
	s_andn2_b64 s[0:1], vcc, exec
	s_and_b64 s[8:9], s[10:11], exec
	s_or_b64 vcc, s[0:1], s[8:9]
.LBB82_94:
	s_or_b64 exec, exec, s[6:7]
	s_and_b64 exec, exec, vcc
	s_cbranch_execz .LBB82_97
; %bb.95:
	v_add_u32_e32 v1, v0, v1
	v_mov_b32_e32 v9, v6
	v_add_u32_e32 v6, s39, v1
	v_mov_b32_e32 v8, v7
	v_subrev_u32_e32 v6, s38, v6
	v_lshlrev_b32_e32 v1, 3, v1
	s_mov_b64 s[0:1], 0
	v_mov_b32_e32 v10, s29
	v_mov_b32_e32 v11, s27
	;; [unrolled: 1-line block ×3, first 2 shown]
.LBB82_96:                              ; =>This Inner Loop Header: Depth=1
	v_ashrrev_i32_e32 v7, 31, v6
	v_lshlrev_b64 v[14:15], 2, v[6:7]
	v_add_co_u32_e32 v16, vcc, s26, v14
	v_addc_co_u32_e32 v17, vcc, v11, v15, vcc
	global_load_dword v7, v[16:17], off
	v_add_co_u32_e32 v14, vcc, s28, v14
	v_addc_co_u32_e32 v15, vcc, v10, v15, vcc
	global_load_dword v14, v[14:15], off
	v_add_u32_e32 v6, 0x100, v6
	s_waitcnt vmcnt(1)
	v_subrev_u32_e32 v16, s38, v7
	v_ashrrev_i32_e32 v17, 31, v16
	v_lshlrev_b64 v[16:17], 3, v[16:17]
	v_add_co_u32_e32 v16, vcc, s30, v16
	v_addc_co_u32_e32 v17, vcc, v12, v17, vcc
	global_load_dwordx2 v[16:17], v[16:17], off
	s_waitcnt vmcnt(1)
	v_pk_fma_f32 v[14:15], v[4:5], v[14:15], v[8:9] op_sel_hi:[1,0,1]
	v_cmp_le_i32_e32 vcc, s14, v6
	s_or_b64 s[0:1], vcc, s[0:1]
	s_waitcnt vmcnt(0)
	v_pk_mul_f32 v[18:19], v[16:17], v[14:15] op_sel:[1,1] op_sel_hi:[1,0] neg_lo:[0,1]
	v_pk_fma_f32 v[14:15], v[14:15], v[16:17], v[18:19] op_sel_hi:[1,0,1]
	ds_write_b64 v1, v[14:15]
	v_add_u32_e32 v1, 0x800, v1
	s_andn2_b64 exec, exec, s[0:1]
	s_cbranch_execnz .LBB82_96
.LBB82_97:
	s_or_b64 exec, exec, s[4:5]
                                        ; implicit-def: $vgpr4_vgpr5
                                        ; implicit-def: $vgpr8
.LBB82_98:
	s_or_saveexec_b64 s[0:1], s[2:3]
	v_lshlrev_b32_e32 v12, 3, v0
	s_xor_b64 exec, exec, s[0:1]
	s_cbranch_execz .LBB82_100
; %bb.99:
	v_ashrrev_i32_e32 v9, 31, v8
	v_lshlrev_b64 v[6:7], 2, v[8:9]
	v_mov_b32_e32 v1, s27
	v_add_co_u32_e32 v8, vcc, s26, v6
	v_addc_co_u32_e32 v9, vcc, v1, v7, vcc
	global_load_dword v1, v[8:9], off
	global_load_dword v11, v[8:9], off offset:1024
	global_load_dword v13, v[8:9], off offset:2048
	;; [unrolled: 1-line block ×3, first 2 shown]
	v_mov_b32_e32 v8, s29
	v_add_co_u32_e32 v6, vcc, s28, v6
	v_addc_co_u32_e32 v7, vcc, v8, v7, vcc
	global_load_dword v8, v[6:7], off
	global_load_dword v10, v[6:7], off offset:1024
	global_load_dword v14, v[6:7], off offset:2048
	;; [unrolled: 1-line block ×3, first 2 shown]
	v_mov_b32_e32 v9, s31
	s_mov_b32 s2, 0
	s_brev_b32 s3, 1
	s_waitcnt vmcnt(7)
	v_subrev_u32_e32 v6, s38, v1
	v_ashrrev_i32_e32 v7, 31, v6
	s_waitcnt vmcnt(6)
	v_subrev_u32_e32 v18, s38, v11
	v_lshlrev_b64 v[6:7], 3, v[6:7]
	v_ashrrev_i32_e32 v19, 31, v18
	v_add_co_u32_e32 v6, vcc, s30, v6
	s_waitcnt vmcnt(5)
	v_subrev_u32_e32 v20, s38, v13
	v_lshlrev_b64 v[18:19], 3, v[18:19]
	v_addc_co_u32_e32 v7, vcc, v9, v7, vcc
	v_ashrrev_i32_e32 v21, 31, v20
	v_add_co_u32_e32 v18, vcc, s30, v18
	s_waitcnt vmcnt(4)
	v_subrev_u32_e32 v22, s38, v15
	v_lshlrev_b64 v[20:21], 3, v[20:21]
	v_addc_co_u32_e32 v19, vcc, v9, v19, vcc
	v_ashrrev_i32_e32 v23, 31, v22
	v_add_co_u32_e32 v20, vcc, s30, v20
	v_lshlrev_b64 v[22:23], 3, v[22:23]
	v_addc_co_u32_e32 v21, vcc, v9, v21, vcc
	v_add_co_u32_e32 v22, vcc, s30, v22
	v_addc_co_u32_e32 v23, vcc, v9, v23, vcc
	global_load_dwordx2 v[24:25], v[6:7], off
	global_load_dwordx2 v[26:27], v[18:19], off
	;; [unrolled: 1-line block ×4, first 2 shown]
	v_pk_mul_f32 v[6:7], v[4:5], s[2:3]
	s_waitcnt vmcnt(7)
	v_pk_fma_f32 v[8:9], v[4:5], v[8:9], v[6:7] op_sel:[0,0,1] op_sel_hi:[1,0,0]
	s_waitcnt vmcnt(6)
	v_pk_fma_f32 v[10:11], v[4:5], v[10:11], v[6:7] op_sel:[0,0,1] op_sel_hi:[1,0,0]
	;; [unrolled: 2-line block ×4, first 2 shown]
	s_waitcnt vmcnt(3)
	v_pk_mul_f32 v[6:7], v[24:25], v[8:9] op_sel:[1,1] op_sel_hi:[1,0] neg_lo:[0,1]
	s_waitcnt vmcnt(2)
	v_pk_mul_f32 v[16:17], v[26:27], v[10:11] op_sel:[1,1] op_sel_hi:[1,0] neg_lo:[0,1]
	;; [unrolled: 2-line block ×4, first 2 shown]
	v_pk_fma_f32 v[6:7], v[8:9], v[24:25], v[6:7] op_sel_hi:[1,0,1]
	v_pk_fma_f32 v[8:9], v[10:11], v[26:27], v[16:17] op_sel_hi:[1,0,1]
	;; [unrolled: 1-line block ×4, first 2 shown]
	ds_write2st64_b64 v12, v[6:7], v[8:9] offset1:4
	ds_write2st64_b64 v12, v[10:11], v[4:5] offset0:8 offset1:12
.LBB82_100:
	s_or_b64 exec, exec, s[0:1]
	s_cmp_lt_i32 s33, 2
	s_mov_b64 s[0:1], -1
	s_waitcnt lgkmcnt(0)
	s_barrier
	s_cbranch_scc0 .LBB82_111
; %bb.101:
	v_add_u32_e32 v4, s34, v0
	v_cmp_gt_i32_e32 vcc, s35, v4
	s_and_saveexec_b64 s[2:3], vcc
	s_cbranch_execz .LBB82_110
; %bb.102:
	v_and_b32_e32 v1, 0x7fffffff, v2
	v_cmp_ne_u32_e32 vcc, 0, v1
	v_cmp_neq_f32_e64 s[0:1], 0, v3
	s_lshl_b32 s5, s39, 3
	s_mov_b32 s4, 0
	s_or_b64 s[0:1], vcc, s[0:1]
	v_xor_b32_e32 v6, 0x80000000, v3
	v_mov_b32_e32 v7, v2
	s_sub_i32 s12, 0, s5
	s_mov_b64 s[6:7], 0
	v_mov_b32_e32 v1, s25
	v_mov_b32_e32 v13, s23
	s_branch .LBB82_104
.LBB82_103:                             ;   in Loop: Header=BB82_104 Depth=1
	s_or_b64 exec, exec, s[8:9]
	v_add_co_u32_e32 v10, vcc, s22, v10
	v_addc_co_u32_e32 v11, vcc, v13, v11, vcc
	v_add_u32_e32 v4, 0x100, v4
	v_cmp_le_i32_e32 vcc, s35, v4
	s_or_b64 s[6:7], vcc, s[6:7]
	global_store_dwordx2 v[10:11], v[8:9], off
	s_andn2_b64 exec, exec, s[6:7]
	s_cbranch_execz .LBB82_110
.LBB82_104:                             ; =>This Loop Header: Depth=1
                                        ;     Child Loop BB82_106 Depth 2
	v_ashrrev_i32_e32 v5, 31, v4
	v_lshlrev_b64 v[8:9], 2, v[4:5]
	v_add_co_u32_e32 v8, vcc, s24, v8
	v_addc_co_u32_e32 v9, vcc, v1, v9, vcc
	global_load_dwordx2 v[10:11], v[8:9], off
	s_mov_b32 s5, s4
	v_pk_mov_b32 v[8:9], s[4:5], s[4:5] op_sel:[0,1]
	s_waitcnt vmcnt(0)
	v_cmp_lt_i32_e32 vcc, v10, v11
	s_and_saveexec_b64 s[8:9], vcc
	s_cbranch_execz .LBB82_108
; %bb.105:                              ;   in Loop: Header=BB82_104 Depth=1
	v_mov_b32_e32 v8, 0
	v_subrev_u32_e32 v11, s39, v11
	v_subrev_u32_e32 v14, s39, v10
	v_lshl_add_u32 v10, v10, 3, s12
	s_mov_b64 s[10:11], 0
	v_mov_b32_e32 v9, v8
.LBB82_106:                             ;   Parent Loop BB82_104 Depth=1
                                        ; =>  This Inner Loop Header: Depth=2
	ds_read_b64 v[16:17], v10
	v_add_u32_e32 v14, 1, v14
	v_cmp_ge_i32_e32 vcc, v14, v11
	v_add_u32_e32 v10, 8, v10
	s_or_b64 s[10:11], vcc, s[10:11]
	s_waitcnt lgkmcnt(0)
	v_pk_add_f32 v[8:9], v[8:9], v[16:17]
	s_andn2_b64 exec, exec, s[10:11]
	s_cbranch_execnz .LBB82_106
; %bb.107:                              ;   in Loop: Header=BB82_104 Depth=1
	s_or_b64 exec, exec, s[10:11]
.LBB82_108:                             ;   in Loop: Header=BB82_104 Depth=1
	s_or_b64 exec, exec, s[8:9]
	v_lshlrev_b64 v[10:11], 3, v[4:5]
	s_and_saveexec_b64 s[8:9], s[0:1]
	s_cbranch_execz .LBB82_103
; %bb.109:                              ;   in Loop: Header=BB82_104 Depth=1
	v_mov_b32_e32 v5, s23
	v_add_co_u32_e32 v14, vcc, s22, v10
	v_addc_co_u32_e32 v15, vcc, v5, v11, vcc
	global_load_dwordx2 v[14:15], v[14:15], off
	s_waitcnt vmcnt(0)
	v_pk_fma_f32 v[8:9], v[2:3], v[14:15], v[8:9] op_sel_hi:[1,0,1]
	v_pk_fma_f32 v[8:9], v[6:7], v[14:15], v[8:9] op_sel:[0,1,0]
	s_branch .LBB82_103
.LBB82_110:
	s_or_b64 exec, exec, s[2:3]
	s_mov_b64 s[0:1], 0
.LBB82_111:
	s_andn2_b64 vcc, exec, s[0:1]
	s_cbranch_vccnz .LBB82_136
; %bb.112:
	s_flbit_i32_b32 s0, s33
	s_xor_b32 s0, s0, 31
	v_lshrrev_b32_e32 v6, s0, v0
	s_mov_b32 s4, 0
	v_add_u32_e32 v4, s34, v6
	s_add_i32 s0, s33, -1
	s_mov_b32 s5, s4
	v_and_b32_e32 v5, s0, v0
	v_cmp_le_i32_e32 vcc, s35, v4
	v_cmp_gt_i32_e64 s[0:1], s35, v4
	v_pk_mov_b32 v[0:1], s[4:5], s[4:5] op_sel:[0,1]
	s_and_saveexec_b64 s[2:3], s[0:1]
	s_cbranch_execz .LBB82_118
; %bb.113:
	v_lshlrev_b32_e32 v0, 2, v6
	global_load_dwordx2 v[0:1], v0, s[36:37]
	v_subrev_u32_e32 v7, s39, v5
	s_waitcnt vmcnt(0)
	v_subrev_u32_e32 v6, s39, v1
	v_add_u32_e32 v7, v0, v7
	v_cmp_lt_i32_e64 s[0:1], v7, v6
	v_pk_mov_b32 v[0:1], s[4:5], s[4:5] op_sel:[0,1]
	s_and_saveexec_b64 s[4:5], s[0:1]
	s_cbranch_execz .LBB82_117
; %bb.114:
	v_mov_b32_e32 v0, 0
	v_lshlrev_b32_e32 v8, 3, v7
	s_lshl_b32 s8, s33, 3
	s_mov_b64 s[6:7], 0
	v_mov_b32_e32 v1, v0
.LBB82_115:                             ; =>This Inner Loop Header: Depth=1
	ds_read_b64 v[10:11], v8
	v_add_u32_e32 v7, s33, v7
	v_cmp_ge_i32_e64 s[0:1], v7, v6
	v_add_u32_e32 v8, s8, v8
	s_or_b64 s[6:7], s[0:1], s[6:7]
	s_waitcnt lgkmcnt(0)
	v_pk_add_f32 v[0:1], v[0:1], v[10:11]
	s_andn2_b64 exec, exec, s[6:7]
	s_cbranch_execnz .LBB82_115
; %bb.116:
	s_or_b64 exec, exec, s[6:7]
.LBB82_117:
	s_or_b64 exec, exec, s[4:5]
.LBB82_118:
	s_or_b64 exec, exec, s[2:3]
	s_cmpk_lt_i32 s33, 0x81
	s_barrier
	ds_write_b64 v12, v[0:1]
	s_waitcnt lgkmcnt(0)
	s_barrier
	s_cbranch_scc1 .LBB82_120
; %bb.119:
	ds_read_b64 v[6:7], v12 offset:1024
	s_waitcnt lgkmcnt(0)
	s_barrier
	v_pk_add_f32 v[0:1], v[0:1], v[6:7]
	ds_write_b64 v12, v[0:1]
.LBB82_120:
	s_cmpk_lt_i32 s33, 0x41
	s_waitcnt lgkmcnt(0)
	s_barrier
	s_cbranch_scc1 .LBB82_122
; %bb.121:
	ds_read_b64 v[6:7], v12 offset:512
	s_waitcnt lgkmcnt(0)
	s_barrier
	v_pk_add_f32 v[0:1], v[0:1], v[6:7]
	ds_write_b64 v12, v[0:1]
.LBB82_122:
	s_cmp_lt_i32 s33, 33
	s_waitcnt lgkmcnt(0)
	s_barrier
	s_cbranch_scc1 .LBB82_124
; %bb.123:
	ds_read_b64 v[6:7], v12 offset:256
	s_waitcnt lgkmcnt(0)
	s_barrier
	v_pk_add_f32 v[0:1], v[0:1], v[6:7]
	ds_write_b64 v12, v[0:1]
.LBB82_124:
	s_cmp_lt_i32 s33, 17
	;; [unrolled: 11-line block ×4, first 2 shown]
	s_waitcnt lgkmcnt(0)
	s_barrier
	s_cbranch_scc1 .LBB82_130
; %bb.129:
	ds_read_b64 v[6:7], v12 offset:32
	s_waitcnt lgkmcnt(0)
	s_barrier
	v_pk_add_f32 v[0:1], v[0:1], v[6:7]
	ds_write_b64 v12, v[0:1]
.LBB82_130:
	s_cmp_eq_u32 s33, 2
	s_waitcnt lgkmcnt(0)
	s_barrier
	s_cbranch_scc1 .LBB82_132
; %bb.131:
	ds_read_b64 v[6:7], v12 offset:16
	s_waitcnt lgkmcnt(0)
	s_barrier
	v_pk_add_f32 v[0:1], v[0:1], v[6:7]
	ds_write_b64 v12, v[0:1]
.LBB82_132:
	s_waitcnt lgkmcnt(0)
	s_barrier
	ds_read_b64 v[6:7], v12 offset:8
	v_cmp_eq_u32_e64 s[0:1], 0, v5
	s_xor_b64 s[2:3], vcc, -1
	s_and_b64 s[0:1], s[0:1], s[2:3]
	s_waitcnt lgkmcnt(0)
	v_pk_add_f32 v[0:1], v[0:1], v[6:7]
	s_barrier
	ds_write_b64 v12, v[0:1]
	s_and_b64 exec, exec, s[0:1]
	s_cbranch_execz .LBB82_136
; %bb.133:
	v_and_b32_e32 v6, 0x7fffffff, v2
	v_ashrrev_i32_e32 v5, 31, v4
	v_cmp_ne_u32_e32 vcc, 0, v6
	v_cmp_neq_f32_e64 s[0:1], 0, v3
	s_or_b64 s[2:3], vcc, s[0:1]
	v_lshlrev_b64 v[4:5], 3, v[4:5]
	s_and_saveexec_b64 s[0:1], s[2:3]
	s_cbranch_execz .LBB82_135
; %bb.134:
	v_mov_b32_e32 v7, s23
	v_add_co_u32_e32 v6, vcc, s22, v4
	v_addc_co_u32_e32 v7, vcc, v7, v5, vcc
	global_load_dwordx2 v[6:7], v[6:7], off
	v_xor_b32_e32 v8, 0x80000000, v3
	v_mov_b32_e32 v9, v2
	s_waitcnt vmcnt(0)
	v_pk_fma_f32 v[0:1], v[2:3], v[6:7], v[0:1] op_sel_hi:[1,0,1]
	v_pk_fma_f32 v[0:1], v[8:9], v[6:7], v[0:1] op_sel:[0,1,0]
.LBB82_135:
	s_or_b64 exec, exec, s[0:1]
	v_mov_b32_e32 v3, s23
	v_add_co_u32_e32 v2, vcc, s22, v4
	v_addc_co_u32_e32 v3, vcc, v3, v5, vcc
	global_store_dwordx2 v[2:3], v[0:1], off
.LBB82_136:
	s_endpgm
	.section	.rodata,"a",@progbits
	.p2align	6, 0x0
	.amdhsa_kernel _ZN9rocsparseL22csrmvn_adaptive_kernelIiif21rocsparse_complex_numIfES2_S2_EEvbT_PKS3_PjPKT0_NS_24const_host_device_scalarIT4_EES5_S9_PKT1_PKT2_SC_PT3_21rocsparse_index_base_b
		.amdhsa_group_segment_fixed_size 8192
		.amdhsa_private_segment_fixed_size 0
		.amdhsa_kernarg_size 96
		.amdhsa_user_sgpr_count 6
		.amdhsa_user_sgpr_private_segment_buffer 1
		.amdhsa_user_sgpr_dispatch_ptr 0
		.amdhsa_user_sgpr_queue_ptr 0
		.amdhsa_user_sgpr_kernarg_segment_ptr 1
		.amdhsa_user_sgpr_dispatch_id 0
		.amdhsa_user_sgpr_flat_scratch_init 0
		.amdhsa_user_sgpr_kernarg_preload_length 0
		.amdhsa_user_sgpr_kernarg_preload_offset 0
		.amdhsa_user_sgpr_private_segment_size 0
		.amdhsa_uses_dynamic_stack 0
		.amdhsa_system_sgpr_private_segment_wavefront_offset 0
		.amdhsa_system_sgpr_workgroup_id_x 1
		.amdhsa_system_sgpr_workgroup_id_y 0
		.amdhsa_system_sgpr_workgroup_id_z 0
		.amdhsa_system_sgpr_workgroup_info 0
		.amdhsa_system_vgpr_workitem_id 0
		.amdhsa_next_free_vgpr 48
		.amdhsa_next_free_sgpr 55
		.amdhsa_accum_offset 48
		.amdhsa_reserve_vcc 1
		.amdhsa_reserve_flat_scratch 0
		.amdhsa_float_round_mode_32 0
		.amdhsa_float_round_mode_16_64 0
		.amdhsa_float_denorm_mode_32 3
		.amdhsa_float_denorm_mode_16_64 3
		.amdhsa_dx10_clamp 1
		.amdhsa_ieee_mode 1
		.amdhsa_fp16_overflow 0
		.amdhsa_tg_split 0
		.amdhsa_exception_fp_ieee_invalid_op 0
		.amdhsa_exception_fp_denorm_src 0
		.amdhsa_exception_fp_ieee_div_zero 0
		.amdhsa_exception_fp_ieee_overflow 0
		.amdhsa_exception_fp_ieee_underflow 0
		.amdhsa_exception_fp_ieee_inexact 0
		.amdhsa_exception_int_div_zero 0
	.end_amdhsa_kernel
	.section	.text._ZN9rocsparseL22csrmvn_adaptive_kernelIiif21rocsparse_complex_numIfES2_S2_EEvbT_PKS3_PjPKT0_NS_24const_host_device_scalarIT4_EES5_S9_PKT1_PKT2_SC_PT3_21rocsparse_index_base_b,"axG",@progbits,_ZN9rocsparseL22csrmvn_adaptive_kernelIiif21rocsparse_complex_numIfES2_S2_EEvbT_PKS3_PjPKT0_NS_24const_host_device_scalarIT4_EES5_S9_PKT1_PKT2_SC_PT3_21rocsparse_index_base_b,comdat
.Lfunc_end82:
	.size	_ZN9rocsparseL22csrmvn_adaptive_kernelIiif21rocsparse_complex_numIfES2_S2_EEvbT_PKS3_PjPKT0_NS_24const_host_device_scalarIT4_EES5_S9_PKT1_PKT2_SC_PT3_21rocsparse_index_base_b, .Lfunc_end82-_ZN9rocsparseL22csrmvn_adaptive_kernelIiif21rocsparse_complex_numIfES2_S2_EEvbT_PKS3_PjPKT0_NS_24const_host_device_scalarIT4_EES5_S9_PKT1_PKT2_SC_PT3_21rocsparse_index_base_b
                                        ; -- End function
	.section	.AMDGPU.csdata,"",@progbits
; Kernel info:
; codeLenInByte = 5848
; NumSgprs: 59
; NumVgprs: 48
; NumAgprs: 0
; TotalNumVgprs: 48
; ScratchSize: 0
; MemoryBound: 0
; FloatMode: 240
; IeeeMode: 1
; LDSByteSize: 8192 bytes/workgroup (compile time only)
; SGPRBlocks: 7
; VGPRBlocks: 5
; NumSGPRsForWavesPerEU: 59
; NumVGPRsForWavesPerEU: 48
; AccumOffset: 48
; Occupancy: 8
; WaveLimiterHint : 1
; COMPUTE_PGM_RSRC2:SCRATCH_EN: 0
; COMPUTE_PGM_RSRC2:USER_SGPR: 6
; COMPUTE_PGM_RSRC2:TRAP_HANDLER: 0
; COMPUTE_PGM_RSRC2:TGID_X_EN: 1
; COMPUTE_PGM_RSRC2:TGID_Y_EN: 0
; COMPUTE_PGM_RSRC2:TGID_Z_EN: 0
; COMPUTE_PGM_RSRC2:TIDIG_COMP_CNT: 0
; COMPUTE_PGM_RSRC3_GFX90A:ACCUM_OFFSET: 11
; COMPUTE_PGM_RSRC3_GFX90A:TG_SPLIT: 0
	.section	.text._ZN9rocsparseL27csrmvn_symm_adaptive_kernelIiif21rocsparse_complex_numIfES2_S2_EEvbT_S3_PKS3_NS_24const_host_device_scalarIT4_EES5_PKT0_PKT1_PKT2_S8_PT3_21rocsparse_index_base_b,"axG",@progbits,_ZN9rocsparseL27csrmvn_symm_adaptive_kernelIiif21rocsparse_complex_numIfES2_S2_EEvbT_S3_PKS3_NS_24const_host_device_scalarIT4_EES5_PKT0_PKT1_PKT2_S8_PT3_21rocsparse_index_base_b,comdat
	.globl	_ZN9rocsparseL27csrmvn_symm_adaptive_kernelIiif21rocsparse_complex_numIfES2_S2_EEvbT_S3_PKS3_NS_24const_host_device_scalarIT4_EES5_PKT0_PKT1_PKT2_S8_PT3_21rocsparse_index_base_b ; -- Begin function _ZN9rocsparseL27csrmvn_symm_adaptive_kernelIiif21rocsparse_complex_numIfES2_S2_EEvbT_S3_PKS3_NS_24const_host_device_scalarIT4_EES5_PKT0_PKT1_PKT2_S8_PT3_21rocsparse_index_base_b
	.p2align	8
	.type	_ZN9rocsparseL27csrmvn_symm_adaptive_kernelIiif21rocsparse_complex_numIfES2_S2_EEvbT_S3_PKS3_NS_24const_host_device_scalarIT4_EES5_PKT0_PKT1_PKT2_S8_PT3_21rocsparse_index_base_b,@function
_ZN9rocsparseL27csrmvn_symm_adaptive_kernelIiif21rocsparse_complex_numIfES2_S2_EEvbT_S3_PKS3_NS_24const_host_device_scalarIT4_EES5_PKT0_PKT1_PKT2_S8_PT3_21rocsparse_index_base_b: ; @_ZN9rocsparseL27csrmvn_symm_adaptive_kernelIiif21rocsparse_complex_numIfES2_S2_EEvbT_S3_PKS3_NS_24const_host_device_scalarIT4_EES5_PKT0_PKT1_PKT2_S8_PT3_21rocsparse_index_base_b
; %bb.0:
	s_load_dwordx2 s[26:27], s[4:5], 0x50
	s_load_dwordx2 s[8:9], s[4:5], 0x18
	;; [unrolled: 1-line block ×3, first 2 shown]
	s_waitcnt lgkmcnt(0)
	s_bitcmp1_b32 s27, 0
	s_cselect_b64 s[0:1], -1, 0
	s_xor_b64 s[10:11], s[0:1], -1
	s_and_b64 vcc, exec, s[0:1]
	v_mov_b32_e32 v4, s8
	s_cbranch_vccnz .LBB83_2
; %bb.1:
	v_pk_mov_b32 v[2:3], s[8:9], s[8:9] op_sel:[0,1]
	flat_load_dword v4, v[2:3]
.LBB83_2:
	v_cndmask_b32_e64 v1, 0, 1, s[10:11]
	v_cmp_ne_u32_e64 s[0:1], 1, v1
	s_andn2_b64 vcc, exec, s[10:11]
	v_mov_b32_e32 v5, s9
	s_cbranch_vccz .LBB83_12
; %bb.3:
	s_and_b64 vcc, exec, s[0:1]
	v_mov_b32_e32 v1, s2
	s_cbranch_vccz .LBB83_13
.LBB83_4:
	s_and_b64 vcc, exec, s[0:1]
	v_mov_b32_e32 v2, s3
	s_cbranch_vccnz .LBB83_6
.LBB83_5:
	v_pk_mov_b32 v[2:3], s[2:3], s[2:3] op_sel:[0,1]
	flat_load_dword v2, v[2:3] offset:4
.LBB83_6:
	s_waitcnt vmcnt(0) lgkmcnt(0)
	v_cmp_eq_f32_e32 vcc, 0, v4
	v_cmp_eq_f32_e64 s[0:1], 0, v5
	s_and_b64 s[8:9], vcc, s[0:1]
	s_mov_b64 s[0:1], -1
	s_and_saveexec_b64 s[2:3], s[8:9]
; %bb.7:
	v_cmp_neq_f32_e32 vcc, 1.0, v1
	v_and_b32_e32 v1, 0x7fffffff, v2
	v_cmp_ne_u32_e64 s[0:1], 0, v1
	s_or_b64 s[0:1], vcc, s[0:1]
	s_orn2_b64 s[0:1], s[0:1], exec
; %bb.8:
	s_or_b64 exec, exec, s[2:3]
	s_and_saveexec_b64 s[2:3], s[0:1]
	s_cbranch_execz .LBB83_206
; %bb.9:
	s_load_dwordx2 s[0:1], s[4:5], 0x10
	s_mov_b32 s2, 0
	s_mov_b32 s3, s2
	s_ashr_i32 s7, s6, 31
	v_pk_mov_b32 v[2:3], s[2:3], s[2:3] op_sel:[0,1]
	s_lshl_b64 s[2:3], s[6:7], 2
	s_waitcnt lgkmcnt(0)
	s_add_u32 s0, s0, s2
	v_lshlrev_b32_e32 v1, 3, v0
	s_addc_u32 s1, s1, s3
	ds_write2st64_b64 v1, v[2:3], v[2:3] offset1:4
	ds_write2st64_b64 v1, v[2:3], v[2:3] offset0:8 offset1:12
	s_waitcnt lgkmcnt(0)
	s_barrier
	s_load_dwordx2 s[24:25], s[0:1], 0x0
	s_load_dwordx8 s[16:23], s[4:5], 0x20
	s_load_dwordx2 s[14:15], s[4:5], 0x48
	s_mov_b64 s[0:1], -1
	v_subrev_u32_e32 v16, s26, v0
	s_waitcnt lgkmcnt(0)
	s_sub_i32 s27, s25, s24
	s_cmp_gt_i32 s27, 2
	s_cbranch_scc1 .LBB83_57
; %bb.10:
	s_cmp_gt_i32 s25, s24
	s_cbranch_scc1 .LBB83_14
; %bb.11:
	s_ashr_i32 s1, s24, 31
	s_mov_b32 s0, s24
	s_lshl_b64 s[0:1], s[0:1], 2
	s_add_u32 s0, s16, s0
	s_addc_u32 s1, s17, s1
	s_load_dword s33, s[0:1], 0x0
	s_cbranch_execz .LBB83_15
	s_branch .LBB83_44
.LBB83_12:
	v_pk_mov_b32 v[2:3], s[8:9], s[8:9] op_sel:[0,1]
	flat_load_dword v5, v[2:3] offset:4
	s_and_b64 vcc, exec, s[0:1]
	v_mov_b32_e32 v1, s2
	s_cbranch_vccnz .LBB83_4
.LBB83_13:
	v_pk_mov_b32 v[2:3], s[2:3], s[2:3] op_sel:[0,1]
	flat_load_dword v1, v[2:3]
	s_and_b64 vcc, exec, s[0:1]
	v_mov_b32_e32 v2, s3
	s_cbranch_vccz .LBB83_5
	s_branch .LBB83_6
.LBB83_14:
                                        ; implicit-def: $sgpr33
	s_andn2_b64 vcc, exec, s[0:1]
	s_cbranch_vccnz .LBB83_44
.LBB83_15:
	s_ashr_i32 s13, s24, 31
	s_mov_b32 s12, s24
	s_lshl_b64 s[12:13], s[12:13], 2
	s_add_u32 s12, s16, s12
	s_addc_u32 s13, s17, s13
	s_waitcnt lgkmcnt(0)
	s_load_dword s33, s[12:13], 0x0
	s_movk_i32 s0, 0x100
	s_add_u32 s38, s16, 4
	v_cmp_gt_u32_e64 s[0:1], s0, v0
	v_cmp_gt_u32_e64 s[2:3], 64, v0
	;; [unrolled: 1-line block ×4, first 2 shown]
	v_cmp_eq_u32_e64 s[10:11], 0, v0
	s_addc_u32 s39, s17, 0
	v_mov_b32_e32 v17, s23
	v_mov_b32_e32 v3, 0
	v_bfrev_b32_e32 v6, 1
	s_waitcnt lgkmcnt(0)
	s_mov_b32 s40, s33
	s_mov_b32 s28, s24
	s_branch .LBB83_17
.LBB83_16:                              ;   in Loop: Header=BB83_17 Depth=1
	s_or_b64 exec, exec, s[12:13]
	s_add_i32 s28, s28, 1
	s_cmp_ge_i32 s28, s25
	s_cbranch_scc1 .LBB83_44
.LBB83_17:                              ; =>This Loop Header: Depth=1
                                        ;     Child Loop BB83_19 Depth 2
                                        ;     Child Loop BB83_33 Depth 2
	;; [unrolled: 1-line block ×5, first 2 shown]
	s_ashr_i32 s29, s28, 31
	s_lshl_b64 s[12:13], s[28:29], 2
	s_add_u32 s12, s38, s12
	s_addc_u32 s13, s39, s13
	s_mov_b32 s30, s40
	s_load_dword s40, s[12:13], 0x0
	v_add_u32_e32 v8, s30, v16
	v_mov_b32_e32 v11, v3
	v_mov_b32_e32 v10, v3
	s_waitcnt lgkmcnt(0)
	s_sub_i32 s36, s40, s26
	v_cmp_gt_i32_e32 vcc, s36, v8
	s_and_saveexec_b64 s[30:31], vcc
	s_cbranch_execz .LBB83_21
; %bb.18:                               ;   in Loop: Header=BB83_17 Depth=1
	v_ashrrev_i32_e32 v9, 31, v8
	v_lshlrev_b64 v[10:11], 2, v[8:9]
	v_mov_b32_e32 v2, s19
	v_add_co_u32_e32 v12, vcc, s18, v10
	v_addc_co_u32_e32 v13, vcc, v2, v11, vcc
	v_mov_b32_e32 v2, s21
	v_add_co_u32_e32 v14, vcc, s20, v10
	v_mov_b32_e32 v10, 0
	v_addc_co_u32_e32 v15, vcc, v2, v11, vcc
	s_mov_b64 s[34:35], 0
	v_mov_b32_e32 v11, v10
.LBB83_19:                              ;   Parent Loop BB83_17 Depth=1
                                        ; =>  This Inner Loop Header: Depth=2
	global_load_dword v7, v[12:13], off
	global_load_dword v2, v[14:15], off
	v_add_u32_e32 v8, 0x100, v8
	v_cmp_le_i32_e64 s[12:13], s36, v8
	s_or_b64 s[34:35], s[12:13], s[34:35]
	s_waitcnt vmcnt(1)
	v_subrev_u32_e32 v18, s26, v7
	v_ashrrev_i32_e32 v19, 31, v18
	v_lshlrev_b64 v[18:19], 3, v[18:19]
	v_add_co_u32_e32 v18, vcc, s22, v18
	v_addc_co_u32_e32 v19, vcc, v17, v19, vcc
	global_load_dwordx2 v[18:19], v[18:19], off
	v_add_co_u32_e32 v12, vcc, 0x400, v12
	v_addc_co_u32_e32 v13, vcc, 0, v13, vcc
	v_add_co_u32_e32 v14, vcc, 0x400, v14
	s_waitcnt vmcnt(1)
	v_mov_b32_e32 v7, v2
	v_addc_co_u32_e32 v15, vcc, 0, v15, vcc
	s_waitcnt vmcnt(0)
	v_pk_fma_f32 v[10:11], v[18:19], v[2:3], v[10:11] op_sel_hi:[0,1,1]
	v_pk_fma_f32 v[10:11], v[18:19], v[6:7], v[10:11] op_sel:[1,0,0]
	s_andn2_b64 exec, exec, s[34:35]
	s_cbranch_execnz .LBB83_19
; %bb.20:                               ;   in Loop: Header=BB83_17 Depth=1
	s_or_b64 exec, exec, s[34:35]
.LBB83_21:                              ;   in Loop: Header=BB83_17 Depth=1
	s_or_b64 exec, exec, s[30:31]
	ds_write_b64 v1, v[10:11]
	s_waitcnt lgkmcnt(0)
	s_barrier
	s_and_saveexec_b64 s[12:13], s[0:1]
	s_cbranch_execz .LBB83_23
; %bb.22:                               ;   in Loop: Header=BB83_17 Depth=1
	ds_read2st64_b64 v[8:11], v1 offset1:4
	ds_read2st64_b64 v[12:15], v1 offset0:8 offset1:12
	s_waitcnt lgkmcnt(0)
	v_pk_add_f32 v[10:11], v[12:13], v[10:11]
	v_pk_add_f32 v[10:11], v[10:11], v[14:15]
	v_pk_add_f32 v[8:9], v[10:11], v[8:9]
	ds_write_b64 v1, v[8:9]
.LBB83_23:                              ;   in Loop: Header=BB83_17 Depth=1
	s_or_b64 exec, exec, s[12:13]
	s_waitcnt lgkmcnt(0)
	s_barrier
	s_and_saveexec_b64 s[12:13], s[2:3]
	s_cbranch_execz .LBB83_25
; %bb.24:                               ;   in Loop: Header=BB83_17 Depth=1
	ds_read2st64_b64 v[8:11], v1 offset1:1
	ds_read2st64_b64 v[12:15], v1 offset0:2 offset1:3
	s_waitcnt lgkmcnt(0)
	v_pk_add_f32 v[10:11], v[12:13], v[10:11]
	v_pk_add_f32 v[10:11], v[10:11], v[14:15]
	v_pk_add_f32 v[8:9], v[10:11], v[8:9]
	ds_write_b64 v1, v[8:9]
.LBB83_25:                              ;   in Loop: Header=BB83_17 Depth=1
	s_or_b64 exec, exec, s[12:13]
	s_waitcnt lgkmcnt(0)
	s_barrier
	s_and_saveexec_b64 s[12:13], s[6:7]
	s_cbranch_execz .LBB83_27
; %bb.26:                               ;   in Loop: Header=BB83_17 Depth=1
	ds_read2_b64 v[8:11], v1 offset1:16
	ds_read2_b64 v[12:15], v1 offset0:32 offset1:48
	s_waitcnt lgkmcnt(0)
	v_pk_add_f32 v[10:11], v[12:13], v[10:11]
	v_pk_add_f32 v[10:11], v[10:11], v[14:15]
	v_pk_add_f32 v[8:9], v[10:11], v[8:9]
	ds_write_b64 v1, v[8:9]
.LBB83_27:                              ;   in Loop: Header=BB83_17 Depth=1
	s_or_b64 exec, exec, s[12:13]
	s_waitcnt lgkmcnt(0)
	s_barrier
	s_and_saveexec_b64 s[12:13], s[8:9]
	s_cbranch_execz .LBB83_29
; %bb.28:                               ;   in Loop: Header=BB83_17 Depth=1
	ds_read2_b64 v[8:11], v1 offset1:4
	ds_read2_b64 v[12:15], v1 offset0:8 offset1:12
	s_waitcnt lgkmcnt(0)
	v_pk_add_f32 v[10:11], v[12:13], v[10:11]
	v_pk_add_f32 v[10:11], v[10:11], v[14:15]
	;; [unrolled: 1-line block ×3, first 2 shown]
	ds_write_b64 v1, v[8:9]
.LBB83_29:                              ;   in Loop: Header=BB83_17 Depth=1
	s_or_b64 exec, exec, s[12:13]
	s_waitcnt lgkmcnt(0)
	s_barrier
	s_and_saveexec_b64 s[12:13], s[10:11]
	s_cbranch_execz .LBB83_31
; %bb.30:                               ;   in Loop: Header=BB83_17 Depth=1
	ds_read_b128 v[8:11], v3 offset:16
	ds_read_b64 v[12:13], v3 offset:8
	ds_read_b64 v[14:15], v1
	s_waitcnt lgkmcnt(1)
	v_pk_add_f32 v[8:9], v[8:9], v[12:13]
	v_pk_add_f32 v[8:9], v[8:9], v[10:11]
	s_waitcnt lgkmcnt(0)
	v_pk_add_f32 v[8:9], v[8:9], v[14:15]
	ds_write_b64 v1, v[8:9]
.LBB83_31:                              ;   in Loop: Header=BB83_17 Depth=1
	s_or_b64 exec, exec, s[12:13]
	s_waitcnt lgkmcnt(0)
	s_barrier
	s_and_saveexec_b64 s[12:13], s[10:11]
	s_cbranch_execz .LBB83_16
; %bb.32:                               ;   in Loop: Header=BB83_17 Depth=1
	ds_read_b64 v[8:9], v3
	s_mov_b64 s[30:31], exec
	v_bfrev_b32_e32 v2, 1
	s_waitcnt lgkmcnt(0)
	v_mul_f32_e64 v7, v9, -v5
	v_fmac_f32_e32 v7, v4, v8
.LBB83_33:                              ;   Parent Loop BB83_17 Depth=1
                                        ; =>  This Inner Loop Header: Depth=2
	s_ff1_i32_b64 s34, s[30:31]
	v_readlane_b32 s36, v7, s34
	s_lshl_b64 s[34:35], 1, s34
	s_andn2_b64 s[30:31], s[30:31], s[34:35]
	s_cmp_lg_u64 s[30:31], 0
	v_add_f32_e32 v2, s36, v2
	s_cbranch_scc1 .LBB83_33
; %bb.34:                               ;   in Loop: Header=BB83_17 Depth=1
	s_lshl_b64 s[30:31], s[28:29], 3
	v_mbcnt_lo_u32_b32 v7, exec_lo, 0
	s_add_u32 s30, s14, s30
	v_mbcnt_hi_u32_b32 v7, exec_hi, v7
	s_addc_u32 s31, s15, s31
	v_cmp_eq_u32_e32 vcc, 0, v7
	s_and_saveexec_b64 s[34:35], vcc
	s_xor_b64 s[34:35], exec, s[34:35]
	s_cbranch_execz .LBB83_38
; %bb.35:                               ;   in Loop: Header=BB83_17 Depth=1
	global_load_dword v11, v3, s[30:31]
	s_mov_b64 s[36:37], 0
.LBB83_36:                              ;   Parent Loop BB83_17 Depth=1
                                        ; =>  This Inner Loop Header: Depth=2
	s_waitcnt vmcnt(0)
	v_add_f32_e32 v10, v11, v2
	global_atomic_cmpswap v7, v3, v[10:11], s[30:31] glc
	s_waitcnt vmcnt(0)
	v_cmp_eq_u32_e32 vcc, v7, v11
	s_or_b64 s[36:37], vcc, s[36:37]
	v_mov_b32_e32 v11, v7
	s_andn2_b64 exec, exec, s[36:37]
	s_cbranch_execnz .LBB83_36
; %bb.37:                               ;   in Loop: Header=BB83_17 Depth=1
	s_or_b64 exec, exec, s[36:37]
.LBB83_38:                              ;   in Loop: Header=BB83_17 Depth=1
	s_or_b64 exec, exec, s[34:35]
	v_mul_f32_e32 v7, v9, v4
	s_mov_b64 s[34:35], exec
	v_fmac_f32_e32 v7, v5, v8
	v_bfrev_b32_e32 v2, 1
.LBB83_39:                              ;   Parent Loop BB83_17 Depth=1
                                        ; =>  This Inner Loop Header: Depth=2
	s_ff1_i32_b64 s29, s[34:35]
	s_lshl_b64 s[36:37], 1, s29
	v_readlane_b32 s41, v7, s29
	s_andn2_b64 s[34:35], s[34:35], s[36:37]
	s_cmp_lg_u64 s[34:35], 0
	v_add_f32_e32 v2, s41, v2
	s_cbranch_scc1 .LBB83_39
; %bb.40:                               ;   in Loop: Header=BB83_17 Depth=1
	v_mbcnt_lo_u32_b32 v7, exec_lo, 0
	v_mbcnt_hi_u32_b32 v7, exec_hi, v7
	v_cmp_eq_u32_e32 vcc, 0, v7
	s_and_saveexec_b64 s[34:35], vcc
	s_xor_b64 s[34:35], exec, s[34:35]
	s_cbranch_execz .LBB83_16
; %bb.41:                               ;   in Loop: Header=BB83_17 Depth=1
	global_load_dword v9, v3, s[30:31] offset:4
	s_mov_b64 s[34:35], 0
.LBB83_42:                              ;   Parent Loop BB83_17 Depth=1
                                        ; =>  This Inner Loop Header: Depth=2
	s_waitcnt vmcnt(0)
	v_add_f32_e32 v8, v9, v2
	global_atomic_cmpswap v7, v3, v[8:9], s[30:31] offset:4 glc
	s_waitcnt vmcnt(0)
	v_cmp_eq_u32_e32 vcc, v7, v9
	s_or_b64 s[34:35], vcc, s[34:35]
	v_mov_b32_e32 v9, v7
	s_andn2_b64 exec, exec, s[34:35]
	s_cbranch_execnz .LBB83_42
; %bb.43:                               ;   in Loop: Header=BB83_17 Depth=1
	s_or_b64 exec, exec, s[34:35]
	s_branch .LBB83_16
.LBB83_44:
	s_ashr_i32 s1, s25, 31
	s_mov_b32 s0, s25
	s_lshl_b64 s[0:1], s[0:1], 2
	s_add_u32 s0, s16, s0
	s_addc_u32 s1, s17, s1
	s_load_dword s0, s[0:1], 0x0
	s_waitcnt lgkmcnt(0)
	v_add_u32_e32 v2, s33, v16
	s_sub_i32 s12, s0, s26
	v_cmp_gt_i32_e32 vcc, s12, v2
	s_and_saveexec_b64 s[6:7], vcc
	s_cbranch_execz .LBB83_56
; %bb.45:
	s_add_i32 s13, s25, -1
	s_cmp_gt_i32 s13, s24
	s_cselect_b64 s[0:1], -1, 0
	s_add_i32 s2, s25, -2
	s_cmp_lg_u32 s2, s24
	s_cselect_b64 s[2:3], -1, 0
	s_and_b64 s[0:1], s[0:1], s[2:3]
	v_cndmask_b32_e64 v3, 0, 1, s[0:1]
	v_mul_f32_e32 v12, 0x80000000, v5
	v_mul_f32_e32 v13, 0, v4
	s_mov_b64 s[8:9], 0
	v_cmp_ne_u32_e64 s[0:1], 1, v3
	v_mov_b32_e32 v14, s17
	v_mov_b32_e32 v15, s19
	s_branch .LBB83_47
.LBB83_46:                              ;   in Loop: Header=BB83_47 Depth=1
	s_or_b64 exec, exec, s[2:3]
	v_add_u32_e32 v2, 0x100, v2
	v_cmp_le_i32_e32 vcc, s12, v2
	s_or_b64 s[8:9], vcc, s[8:9]
	s_andn2_b64 exec, exec, s[8:9]
	s_cbranch_execz .LBB83_56
.LBB83_47:                              ; =>This Loop Header: Depth=1
                                        ;     Child Loop BB83_49 Depth 2
                                        ;     Child Loop BB83_53 Depth 2
	;; [unrolled: 1-line block ×3, first 2 shown]
	s_and_b64 vcc, exec, s[0:1]
	v_mov_b32_e32 v10, s24
	v_mov_b32_e32 v6, s13
	s_cbranch_vccnz .LBB83_51
; %bb.48:                               ;   in Loop: Header=BB83_47 Depth=1
	s_mov_b64 s[10:11], 0
	v_mov_b32_e32 v10, s24
	v_mov_b32_e32 v6, s13
.LBB83_49:                              ;   Parent Loop BB83_47 Depth=1
                                        ; =>  This Inner Loop Header: Depth=2
	v_add_u32_e32 v3, v6, v10
	v_lshrrev_b32_e32 v8, 31, v3
	v_add_u32_e32 v3, v3, v8
	v_ashrrev_i32_e32 v8, 1, v3
	v_ashrrev_i32_e32 v9, 31, v8
	v_lshlrev_b64 v[18:19], 2, v[8:9]
	v_mov_b32_e32 v7, s17
	v_add_co_u32_e32 v18, vcc, s16, v18
	v_addc_co_u32_e32 v19, vcc, v7, v19, vcc
	global_load_dword v3, v[18:19], off
	s_waitcnt vmcnt(0)
	v_subrev_u32_e32 v3, s26, v3
	v_cmp_gt_i32_e32 vcc, v3, v2
	v_cndmask_b32_e32 v6, v6, v8, vcc
	v_cndmask_b32_e32 v10, v8, v10, vcc
	v_add_u32_e32 v3, -1, v6
	v_cmp_ge_i32_e32 vcc, v10, v6
	v_cmp_eq_u32_e64 s[2:3], v10, v3
	s_or_b64 s[2:3], vcc, s[2:3]
	s_and_b64 s[2:3], exec, s[2:3]
	s_or_b64 s[10:11], s[2:3], s[10:11]
	s_andn2_b64 exec, exec, s[10:11]
	s_cbranch_execnz .LBB83_49
; %bb.50:                               ;   in Loop: Header=BB83_47 Depth=1
	s_or_b64 exec, exec, s[10:11]
.LBB83_51:                              ;   in Loop: Header=BB83_47 Depth=1
	v_ashrrev_i32_e32 v7, 31, v6
	v_lshlrev_b64 v[8:9], 2, v[6:7]
	v_add_co_u32_e32 v8, vcc, s16, v8
	v_addc_co_u32_e32 v9, vcc, v14, v9, vcc
	v_ashrrev_i32_e32 v3, 31, v2
	global_load_dword v7, v[8:9], off
	v_lshlrev_b64 v[8:9], 2, v[2:3]
	v_add_co_u32_e32 v18, vcc, s18, v8
	v_addc_co_u32_e32 v19, vcc, v15, v9, vcc
	global_load_dword v3, v[18:19], off
	s_waitcnt vmcnt(1)
	v_subrev_u32_e32 v7, s26, v7
	v_cmp_gt_i32_e32 vcc, v7, v2
	v_cndmask_b32_e32 v6, v6, v10, vcc
	s_waitcnt vmcnt(0)
	v_subrev_u32_e32 v10, s26, v3
	v_cmp_ne_u32_e32 vcc, v10, v6
	s_and_saveexec_b64 s[2:3], vcc
	s_cbranch_execz .LBB83_46
; %bb.52:                               ;   in Loop: Header=BB83_47 Depth=1
	v_mov_b32_e32 v7, s21
	v_add_co_u32_e32 v8, vcc, s20, v8
	v_addc_co_u32_e32 v9, vcc, v7, v9, vcc
	v_ashrrev_i32_e32 v7, 31, v6
	v_lshlrev_b64 v[6:7], 3, v[6:7]
	v_ashrrev_i32_e32 v11, 31, v10
	global_load_dword v17, v[8:9], off
	v_mov_b32_e32 v8, s23
	v_add_co_u32_e32 v6, vcc, s22, v6
	v_lshlrev_b64 v[10:11], 3, v[10:11]
	v_addc_co_u32_e32 v7, vcc, v8, v7, vcc
	v_mov_b32_e32 v3, s15
	global_load_dwordx2 v[8:9], v[6:7], off
	v_add_co_u32_e32 v6, vcc, s14, v10
	v_addc_co_u32_e32 v7, vcc, v3, v11, vcc
	global_load_dword v11, v[6:7], off
	s_mov_b64 s[10:11], 0
	s_waitcnt vmcnt(2)
	v_fma_f32 v3, v4, v17, v12
	v_fma_f32 v17, v5, v17, v13
	s_waitcnt vmcnt(1)
	v_mul_f32_e64 v18, v9, -v17
	v_fmac_f32_e32 v18, v3, v8
.LBB83_53:                              ;   Parent Loop BB83_47 Depth=1
                                        ; =>  This Inner Loop Header: Depth=2
	s_waitcnt vmcnt(0)
	v_add_f32_e32 v10, v11, v18
	global_atomic_cmpswap v10, v[6:7], v[10:11], off glc
	s_waitcnt vmcnt(0)
	v_cmp_eq_u32_e32 vcc, v10, v11
	s_or_b64 s[10:11], vcc, s[10:11]
	v_mov_b32_e32 v11, v10
	s_andn2_b64 exec, exec, s[10:11]
	s_cbranch_execnz .LBB83_53
; %bb.54:                               ;   in Loop: Header=BB83_47 Depth=1
	s_or_b64 exec, exec, s[10:11]
	global_load_dword v11, v[6:7], off offset:4
	v_mul_f32_e32 v3, v3, v9
	v_fmac_f32_e32 v3, v17, v8
	s_mov_b64 s[10:11], 0
.LBB83_55:                              ;   Parent Loop BB83_47 Depth=1
                                        ; =>  This Inner Loop Header: Depth=2
	s_waitcnt vmcnt(0)
	v_add_f32_e32 v10, v11, v3
	global_atomic_cmpswap v8, v[6:7], v[10:11], off offset:4 glc
	s_waitcnt vmcnt(0)
	v_cmp_eq_u32_e32 vcc, v8, v11
	s_or_b64 s[10:11], vcc, s[10:11]
	v_mov_b32_e32 v11, v8
	s_andn2_b64 exec, exec, s[10:11]
	s_cbranch_execnz .LBB83_55
	s_branch .LBB83_46
.LBB83_56:
	s_or_b64 exec, exec, s[6:7]
	s_mov_b64 s[0:1], 0
.LBB83_57:
	s_and_b64 vcc, exec, s[0:1]
	s_cbranch_vccz .LBB83_206
; %bb.58:
	v_cvt_f32_u32_e32 v2, s27
	s_ashr_i32 s1, s24, 31
	s_mov_b32 s0, s24
	s_sub_i32 s2, 0, s27
	v_rcp_iflag_f32_e32 v2, v2
	s_lshl_b64 s[0:1], s[0:1], 2
	s_add_u32 s6, s16, s0
	s_addc_u32 s7, s17, s1
	v_mul_f32_e32 v2, 0x4f7ffffe, v2
	v_cvt_u32_f32_e32 v2, v2
	s_load_dword s33, s[6:7], 0x0
	s_load_dwordx2 s[8:9], s[4:5], 0x4
	s_load_dword s38, s[4:5], 0x64
	v_readfirstlane_b32 s39, v2
	s_waitcnt lgkmcnt(0)
	v_add_u32_e32 v2, s33, v16
	s_mul_i32 s2, s2, s39
	v_add_u32_e32 v18, 0x300, v2
	s_mul_hi_u32 s40, s39, s2
	v_cmp_le_i32_e32 vcc, s8, v18
	s_and_saveexec_b64 s[0:1], vcc
	s_xor_b64 s[2:3], exec, s[0:1]
	s_cbranch_execz .LBB83_75
; %bb.59:
	s_ashr_i32 s1, s25, 31
	s_mov_b32 s0, s25
	s_lshl_b64 s[0:1], s[0:1], 2
	s_add_u32 s0, s16, s0
	s_addc_u32 s1, s17, s1
	s_load_dword s10, s[0:1], 0x0
	s_waitcnt lgkmcnt(0)
	s_sub_i32 s8, s10, s33
	v_cmp_gt_i32_e64 s[0:1], s8, v0
	s_and_saveexec_b64 s[4:5], s[0:1]
	s_cbranch_execz .LBB83_74
; %bb.60:
	s_mov_b32 s0, 0
	s_brev_b32 s1, 1
	v_xad_u32 v3, v0, -1, s10
	v_pk_mul_f32 v[6:7], v[4:5], s[0:1]
	v_subrev_u32_e32 v8, s33, v3
	s_movk_i32 s0, 0xd00
	v_cmp_gt_u32_e64 s[10:11], s0, v8
	s_movk_i32 s0, 0xcff
	v_cmp_lt_u32_e64 s[0:1], s0, v8
	v_mov_b32_e32 v3, 0
	s_and_saveexec_b64 s[12:13], s[0:1]
	s_cbranch_execz .LBB83_71
; %bb.61:
	v_and_b32_e32 v3, 0xffffff00, v8
	v_add_u32_e32 v3, v2, v3
	v_cmp_ge_i32_e64 s[0:1], v3, v2
	s_mov_b64 s[30:31], -1
	v_mov_b32_e32 v3, 0
	s_and_saveexec_b64 s[28:29], s[0:1]
	s_cbranch_execz .LBB83_70
; %bb.62:
	v_lshrrev_b32_e32 v3, 8, v8
	v_add_u32_e32 v16, -1, v3
	v_lshrrev_b32_e32 v17, 1, v16
	s_movk_i32 s31, 0x100
	s_mov_b32 s30, 0
	v_mov_b32_e32 v8, v4
	v_mov_b32_e32 v9, v4
	;; [unrolled: 1-line block ×8, first 2 shown]
	v_add_u32_e32 v19, 1, v17
	v_cmp_lt_u32_e64 s[0:1], 5, v16
	v_pk_mov_b32 v[16:17], s[30:31], s[30:31] op_sel:[0,1]
	s_and_saveexec_b64 s[34:35], s[0:1]
	s_cbranch_execz .LBB83_66
; %bb.63:
	v_and_b32_e32 v20, -4, v19
	s_mov_b64 s[36:37], 0
	v_mov_b32_e32 v21, s21
.LBB83_64:                              ; =>This Inner Loop Header: Depth=1
	v_add_u32_e32 v16, s30, v2
	v_ashrrev_i32_e32 v17, 31, v16
	v_add_u32_e32 v22, s31, v2
	v_lshlrev_b64 v[16:17], 2, v[16:17]
	s_add_i32 s42, s30, 0x200
	v_ashrrev_i32_e32 v23, 31, v22
	v_add_co_u32_e64 v16, s[0:1], s20, v16
	v_add_u32_e32 v24, s42, v2
	v_lshlrev_b64 v[22:23], 2, v[22:23]
	v_addc_co_u32_e64 v17, s[0:1], v21, v17, s[0:1]
	s_add_i32 s41, s31, 0x200
	v_ashrrev_i32_e32 v25, 31, v24
	v_add_co_u32_e64 v22, s[0:1], s20, v22
	v_add_u32_e32 v26, s41, v2
	v_addc_co_u32_e64 v23, s[0:1], v21, v23, s[0:1]
	v_lshlrev_b64 v[24:25], 2, v[24:25]
	s_add_i32 s44, s30, 0x400
	v_ashrrev_i32_e32 v27, 31, v26
	global_load_dword v36, v[16:17], off
	global_load_dword v37, v[22:23], off
	v_add_co_u32_e64 v16, s[0:1], s20, v24
	v_add_u32_e32 v28, s44, v2
	v_lshlrev_b64 v[26:27], 2, v[26:27]
	v_addc_co_u32_e64 v17, s[0:1], v21, v25, s[0:1]
	s_add_i32 s43, s31, 0x400
	v_ashrrev_i32_e32 v29, 31, v28
	v_add_co_u32_e64 v22, s[0:1], s20, v26
	v_add_u32_e32 v30, s43, v2
	v_lshlrev_b64 v[28:29], 2, v[28:29]
	v_addc_co_u32_e64 v23, s[0:1], v21, v27, s[0:1]
	s_add_i32 s46, s30, 0x600
	v_ashrrev_i32_e32 v31, 31, v30
	;; [unrolled: 6-line block ×3, first 2 shown]
	v_add_co_u32_e64 v26, s[0:1], s20, v30
	v_add_u32_e32 v34, s45, v2
	v_lshlrev_b64 v[32:33], 2, v[32:33]
	v_addc_co_u32_e64 v27, s[0:1], v21, v31, s[0:1]
	v_ashrrev_i32_e32 v35, 31, v34
	v_add_co_u32_e64 v28, s[0:1], s20, v32
	v_lshlrev_b64 v[34:35], 2, v[34:35]
	v_addc_co_u32_e64 v29, s[0:1], v21, v33, s[0:1]
	v_add_co_u32_e64 v30, s[0:1], s20, v34
	v_addc_co_u32_e64 v31, s[0:1], v21, v35, s[0:1]
	global_load_dword v32, v[16:17], off
	global_load_dword v33, v[22:23], off
	;; [unrolled: 1-line block ×6, first 2 shown]
	v_add_u32_e32 v20, -4, v20
	v_add_lshl_u32 v40, s30, v0, 3
	v_add_lshl_u32 v41, s31, v0, 3
	s_addk_i32 s31, 0x800
	s_addk_i32 s30, 0x800
	v_cmp_eq_u32_e64 s[0:1], 0, v20
	v_add_lshl_u32 v42, s42, v0, 3
	v_pk_mov_b32 v[16:17], s[30:31], s[30:31] op_sel:[0,1]
	s_or_b64 s[36:37], s[0:1], s[36:37]
	v_add_lshl_u32 v43, s41, v0, 3
	v_add_lshl_u32 v44, s44, v0, 3
	;; [unrolled: 1-line block ×5, first 2 shown]
	s_waitcnt vmcnt(6)
	v_pk_fma_f32 v[22:23], v[8:9], v[36:37], v[10:11]
	v_pk_fma_f32 v[24:25], v[12:13], v[36:37], v[14:15]
	v_mov_b32_e32 v26, v22
	v_mov_b32_e32 v27, v24
	;; [unrolled: 1-line block ×3, first 2 shown]
	ds_write_b64 v40, v[26:27]
	ds_write_b64 v41, v[24:25]
	s_waitcnt vmcnt(4)
	v_pk_fma_f32 v[22:23], v[8:9], v[32:33], v[10:11]
	v_pk_fma_f32 v[28:29], v[12:13], v[32:33], v[14:15]
	s_waitcnt vmcnt(2)
	v_pk_fma_f32 v[30:31], v[8:9], v[34:35], v[10:11]
	v_pk_fma_f32 v[32:33], v[12:13], v[34:35], v[14:15]
	;; [unrolled: 3-line block ×3, first 2 shown]
	v_mov_b32_e32 v24, v22
	v_mov_b32_e32 v25, v28
	;; [unrolled: 1-line block ×9, first 2 shown]
	ds_write_b64 v42, v[24:25]
	ds_write_b64 v43, v[28:29]
	ds_write_b64 v44, v[22:23]
	ds_write_b64 v45, v[32:33]
	ds_write_b64 v46, v[26:27]
	ds_write_b64 v47, v[36:37]
	s_andn2_b64 exec, exec, s[36:37]
	s_cbranch_execnz .LBB83_64
; %bb.65:
	s_or_b64 exec, exec, s[36:37]
.LBB83_66:
	s_or_b64 exec, exec, s[34:35]
	v_and_b32_e32 v19, 3, v19
	v_cmp_ne_u32_e64 s[0:1], 0, v19
	s_and_saveexec_b64 s[30:31], s[0:1]
	s_cbranch_execz .LBB83_69
; %bb.67:
	s_mov_b64 s[34:35], 0
	v_mov_b32_e32 v20, s21
.LBB83_68:                              ; =>This Inner Loop Header: Depth=1
	v_add_u32_e32 v22, v16, v2
	v_ashrrev_i32_e32 v23, 31, v22
	v_add_u32_e32 v24, v17, v2
	v_lshlrev_b64 v[22:23], 2, v[22:23]
	v_ashrrev_i32_e32 v25, 31, v24
	v_add_co_u32_e64 v22, s[0:1], s20, v22
	v_lshlrev_b64 v[24:25], 2, v[24:25]
	v_addc_co_u32_e64 v23, s[0:1], v20, v23, s[0:1]
	v_add_co_u32_e64 v24, s[0:1], s20, v24
	v_addc_co_u32_e64 v25, s[0:1], v20, v25, s[0:1]
	global_load_dword v26, v[22:23], off
	global_load_dword v27, v[24:25], off
	v_add_u32_e32 v19, -1, v19
	v_cmp_eq_u32_e64 s[0:1], 0, v19
	v_add_lshl_u32 v21, v16, v0, 3
	v_add_lshl_u32 v28, v17, v0, 3
	v_add_u32_e32 v17, 0x200, v17
	v_add_u32_e32 v16, 0x200, v16
	s_or_b64 s[34:35], s[0:1], s[34:35]
	s_waitcnt vmcnt(0)
	v_pk_fma_f32 v[22:23], v[8:9], v[26:27], v[10:11]
	v_pk_fma_f32 v[24:25], v[12:13], v[26:27], v[14:15]
	v_mov_b32_e32 v26, v22
	v_mov_b32_e32 v27, v24
	;; [unrolled: 1-line block ×3, first 2 shown]
	ds_write_b64 v21, v[26:27]
	ds_write_b64 v28, v[24:25]
	s_andn2_b64 exec, exec, s[34:35]
	s_cbranch_execnz .LBB83_68
.LBB83_69:
	s_or_b64 exec, exec, s[30:31]
	v_add_u32_e32 v8, 1, v3
	v_and_b32_e32 v9, 0x1fffffe, v8
	v_cmp_ne_u32_e64 s[0:1], v8, v9
	v_lshlrev_b32_e32 v3, 8, v9
	s_orn2_b64 s[30:31], s[0:1], exec
.LBB83_70:
	s_or_b64 exec, exec, s[28:29]
	s_andn2_b64 s[0:1], s[10:11], exec
	s_and_b64 s[10:11], s[30:31], exec
	s_or_b64 s[10:11], s[0:1], s[10:11]
.LBB83_71:
	s_or_b64 exec, exec, s[12:13]
	s_and_b64 exec, exec, s[10:11]
	s_cbranch_execz .LBB83_74
; %bb.72:
	v_mov_b32_e32 v9, v6
	v_lshlrev_b32_e32 v6, 3, v3
	v_mov_b32_e32 v8, v7
	v_lshl_add_u32 v6, v0, 3, v6
	v_add_u32_e32 v3, v0, v3
	s_sub_i32 s12, s33, s26
	s_mov_b64 s[10:11], 0
	v_mov_b32_e32 v7, s21
.LBB83_73:                              ; =>This Inner Loop Header: Depth=1
	v_add_u32_e32 v10, s12, v3
	v_ashrrev_i32_e32 v11, 31, v10
	v_lshlrev_b64 v[10:11], 2, v[10:11]
	v_add_co_u32_e64 v10, s[0:1], s20, v10
	v_addc_co_u32_e64 v11, s[0:1], v7, v11, s[0:1]
	global_load_dword v10, v[10:11], off
	v_add_u32_e32 v3, 0x100, v3
	v_cmp_le_i32_e64 s[0:1], s8, v3
	s_or_b64 s[10:11], s[0:1], s[10:11]
	s_waitcnt vmcnt(0)
	v_pk_fma_f32 v[10:11], v[4:5], v[10:11], v[8:9] op_sel_hi:[1,0,1]
	ds_write_b64 v6, v[10:11]
	v_add_u32_e32 v6, 0x800, v6
	s_andn2_b64 exec, exec, s[10:11]
	s_cbranch_execnz .LBB83_73
.LBB83_74:
	s_or_b64 exec, exec, s[4:5]
                                        ; implicit-def: $vgpr4_vgpr5
.LBB83_75:
	s_or_saveexec_b64 s[2:3], s[2:3]
	s_and_b32 s30, s38, 0xffff
	s_add_i32 s39, s39, s40
	v_ashrrev_i32_e32 v3, 31, v2
	s_xor_b64 exec, exec, s[2:3]
	s_cbranch_execz .LBB83_77
; %bb.76:
	v_lshlrev_b64 v[6:7], 2, v[2:3]
	v_mov_b32_e32 v8, s21
	v_add_co_u32_e64 v6, s[0:1], s20, v6
	v_addc_co_u32_e64 v7, s[0:1], v8, v7, s[0:1]
	global_load_dword v8, v[6:7], off
	global_load_dword v10, v[6:7], off offset:1024
	global_load_dword v12, v[6:7], off offset:2048
	;; [unrolled: 1-line block ×3, first 2 shown]
	s_mov_b32 s0, 0
	s_brev_b32 s1, 1
	v_pk_mul_f32 v[6:7], v[4:5], s[0:1]
	s_waitcnt vmcnt(3)
	v_pk_fma_f32 v[8:9], v[4:5], v[8:9], v[6:7] op_sel:[0,0,1] op_sel_hi:[1,0,0]
	s_waitcnt vmcnt(2)
	v_pk_fma_f32 v[10:11], v[4:5], v[10:11], v[6:7] op_sel:[0,0,1] op_sel_hi:[1,0,0]
	s_waitcnt vmcnt(1)
	v_pk_fma_f32 v[12:13], v[4:5], v[12:13], v[6:7] op_sel:[0,0,1] op_sel_hi:[1,0,0]
	s_waitcnt vmcnt(0)
	v_pk_fma_f32 v[4:5], v[4:5], v[14:15], v[6:7] op_sel:[0,0,1] op_sel_hi:[1,0,0]
	ds_write2st64_b64 v1, v[8:9], v[10:11] offset1:4
	ds_write2st64_b64 v1, v[12:13], v[4:5] offset0:8 offset1:12
.LBB83_77:
	s_or_b64 exec, exec, s[2:3]
	s_mul_hi_u32 s8, s30, s39
	v_cmp_gt_i32_e64 s[0:1], s9, v0
	s_and_saveexec_b64 s[2:3], s[0:1]
	s_cbranch_execz .LBB83_80
; %bb.78:
	v_mov_b32_e32 v4, 0x2000
	v_lshl_add_u32 v4, v0, 3, v4
	s_mov_b64 s[4:5], 0
	v_mov_b32_e32 v5, 0
	v_mov_b32_e32 v6, v0
.LBB83_79:                              ; =>This Inner Loop Header: Depth=1
	v_add_u32_e32 v6, 0x100, v6
	v_cmp_le_i32_e64 s[0:1], s9, v6
	ds_write2_b32 v4, v5, v5 offset1:1
	s_or_b64 s[4:5], s[0:1], s[4:5]
	v_add_u32_e32 v4, 0x800, v4
	s_andn2_b64 exec, exec, s[4:5]
	s_cbranch_execnz .LBB83_79
.LBB83_80:
	s_or_b64 exec, exec, s[2:3]
	s_sub_i32 s0, s25, s9
	s_cmp_ge_i32 s25, s9
	s_cselect_b32 s31, s0, 0
	s_waitcnt lgkmcnt(0)
	s_barrier
	s_and_saveexec_b64 s[0:1], vcc
	s_xor_b64 s[4:5], exec, s[0:1]
	s_cbranch_execz .LBB83_101
; %bb.81:
	s_ashr_i32 s1, s25, 31
	s_mov_b32 s0, s25
	s_lshl_b64 s[0:1], s[0:1], 2
	s_add_u32 s0, s16, s0
	s_addc_u32 s1, s17, s1
	s_load_dword s0, s[0:1], 0x0
	s_waitcnt lgkmcnt(0)
	s_sub_i32 s34, s0, s33
	v_cmp_gt_i32_e32 vcc, s34, v0
	s_and_saveexec_b64 s[10:11], vcc
	s_cbranch_execz .LBB83_100
; %bb.82:
	s_add_i32 s35, s25, -1
	s_cmp_gt_i32 s35, s24
	s_cselect_b64 s[2:3], -1, 0
	s_add_i32 s1, s25, -2
	s_cmp_lg_u32 s1, s24
	s_cselect_b64 s[20:21], -1, 0
	s_sub_i32 s36, s0, s26
	s_and_b64 s[0:1], s[2:3], s[20:21]
	v_cndmask_b32_e64 v3, 0, 1, s[0:1]
	s_mov_b32 s37, 0
	s_mov_b64 s[12:13], 0
	v_cmp_ne_u32_e64 s[0:1], 1, v3
	v_mov_b32_e32 v3, s17
	v_mov_b32_e32 v14, s19
	;; [unrolled: 1-line block ×3, first 2 shown]
	s_branch .LBB83_85
.LBB83_83:                              ;   in Loop: Header=BB83_85 Depth=1
	s_or_b64 exec, exec, s[2:3]
.LBB83_84:                              ;   in Loop: Header=BB83_85 Depth=1
	s_or_b64 exec, exec, s[20:21]
	v_ashrrev_i32_e32 v5, 31, v4
	v_lshlrev_b64 v[4:5], 3, v[4:5]
	v_mov_b32_e32 v9, s23
	v_add_co_u32_e32 v4, vcc, s22, v4
	v_addc_co_u32_e32 v5, vcc, v9, v5, vcc
	global_load_dwordx2 v[4:5], v[4:5], off
	s_addk_i32 s37, 0x100
	v_mov_b32_e32 v9, v6
	v_add_u32_e32 v10, s37, v0
	v_cmp_le_i32_e32 vcc, s34, v10
	s_or_b64 s[12:13], vcc, s[12:13]
	s_waitcnt vmcnt(0)
	v_pk_mul_f32 v[8:9], v[4:5], v[8:9] op_sel:[1,0]
	v_pk_fma_f32 v[4:5], v[6:7], v[4:5], v[8:9] op_sel_hi:[1,0,1]
	ds_write_b64 v16, v[4:5]
	s_andn2_b64 exec, exec, s[12:13]
	s_cbranch_execz .LBB83_100
.LBB83_85:                              ; =>This Loop Header: Depth=1
                                        ;     Child Loop BB83_87 Depth 2
                                        ;     Child Loop BB83_94 Depth 2
	;; [unrolled: 1-line block ×3, first 2 shown]
	v_add_u32_e32 v6, s37, v2
	s_and_b64 vcc, exec, s[0:1]
	v_mov_b32_e32 v5, s24
	v_mov_b32_e32 v8, s35
	s_cbranch_vccnz .LBB83_89
; %bb.86:                               ;   in Loop: Header=BB83_85 Depth=1
	s_mov_b64 s[20:21], 0
	v_mov_b32_e32 v5, s24
	v_mov_b32_e32 v8, s35
.LBB83_87:                              ;   Parent Loop BB83_85 Depth=1
                                        ; =>  This Inner Loop Header: Depth=2
	v_add_u32_e32 v4, v8, v5
	v_lshrrev_b32_e32 v9, 31, v4
	v_add_u32_e32 v4, v4, v9
	v_ashrrev_i32_e32 v10, 1, v4
	v_ashrrev_i32_e32 v11, 31, v10
	v_lshlrev_b64 v[12:13], 2, v[10:11]
	v_mov_b32_e32 v7, s17
	v_add_co_u32_e32 v12, vcc, s16, v12
	v_addc_co_u32_e32 v13, vcc, v7, v13, vcc
	global_load_dword v4, v[12:13], off
	s_waitcnt vmcnt(0)
	v_subrev_u32_e32 v4, s26, v4
	v_cmp_gt_i32_e32 vcc, v4, v6
	v_cndmask_b32_e32 v8, v8, v10, vcc
	v_cndmask_b32_e32 v5, v10, v5, vcc
	v_add_u32_e32 v4, -1, v8
	v_cmp_ge_i32_e32 vcc, v5, v8
	v_cmp_eq_u32_e64 s[2:3], v5, v4
	s_or_b64 s[2:3], vcc, s[2:3]
	s_and_b64 s[2:3], exec, s[2:3]
	s_or_b64 s[20:21], s[2:3], s[20:21]
	s_andn2_b64 exec, exec, s[20:21]
	s_cbranch_execnz .LBB83_87
; %bb.88:                               ;   in Loop: Header=BB83_85 Depth=1
	s_or_b64 exec, exec, s[20:21]
.LBB83_89:                              ;   in Loop: Header=BB83_85 Depth=1
	v_ashrrev_i32_e32 v9, 31, v8
	v_lshlrev_b64 v[10:11], 2, v[8:9]
	v_add_co_u32_e32 v10, vcc, s16, v10
	v_addc_co_u32_e32 v11, vcc, v3, v11, vcc
	v_ashrrev_i32_e32 v7, 31, v6
	global_load_dword v4, v[10:11], off
	v_lshlrev_b64 v[10:11], 2, v[6:7]
	v_add_co_u32_e32 v10, vcc, s18, v10
	v_addc_co_u32_e32 v11, vcc, v14, v11, vcc
	global_load_dword v7, v[10:11], off
	v_cmp_le_i32_e32 vcc, s36, v6
	v_lshl_add_u32 v16, s37, 3, v1
	s_waitcnt vmcnt(1)
	v_subrev_u32_e32 v9, s26, v4
	v_cmp_gt_i32_e64 s[2:3], v9, v6
	v_cndmask_b32_e64 v10, v8, v5, s[2:3]
                                        ; implicit-def: $vgpr8
	s_waitcnt vmcnt(0)
	v_subrev_u32_e32 v4, s26, v7
	v_cmp_eq_u32_e64 s[2:3], v4, v10
	s_or_b64 s[2:3], s[2:3], vcc
                                        ; implicit-def: $vgpr6_vgpr7
	s_and_saveexec_b64 s[20:21], s[2:3]
	s_xor_b64 s[2:3], exec, s[20:21]
	s_cbranch_execz .LBB83_91
; %bb.90:                               ;   in Loop: Header=BB83_85 Depth=1
	ds_read_b64 v[6:7], v16
                                        ; implicit-def: $vgpr10
	s_waitcnt lgkmcnt(0)
	v_xor_b32_e32 v8, 0x80000000, v7
.LBB83_91:                              ;   in Loop: Header=BB83_85 Depth=1
	s_andn2_saveexec_b64 s[20:21], s[2:3]
	s_cbranch_execz .LBB83_84
; %bb.92:                               ;   in Loop: Header=BB83_85 Depth=1
	v_ashrrev_i32_e32 v11, 31, v10
	v_lshlrev_b64 v[6:7], 3, v[10:11]
	v_mov_b32_e32 v5, s23
	v_add_co_u32_e32 v6, vcc, s22, v6
	v_addc_co_u32_e32 v7, vcc, v5, v7, vcc
	global_load_dwordx2 v[10:11], v[6:7], off
	ds_read_b64 v[6:7], v16
	v_cmp_gt_i32_e32 vcc, s31, v4
	v_cmp_le_i32_e64 s[2:3], s25, v4
	s_or_b64 s[2:3], vcc, s[2:3]
	s_waitcnt lgkmcnt(0)
	v_xor_b32_e32 v8, 0x80000000, v7
	s_waitcnt vmcnt(0)
	v_mul_f32_e64 v17, v11, -v7
	v_mul_f32_e32 v9, v11, v6
	v_fmac_f32_e32 v17, v6, v10
	v_fmac_f32_e32 v9, v7, v10
	s_and_saveexec_b64 s[28:29], s[2:3]
	s_xor_b64 s[2:3], exec, s[28:29]
	s_cbranch_execz .LBB83_98
; %bb.93:                               ;   in Loop: Header=BB83_85 Depth=1
	v_ashrrev_i32_e32 v5, 31, v4
	v_lshlrev_b64 v[10:11], 3, v[4:5]
	v_mov_b32_e32 v5, s15
	v_add_co_u32_e32 v10, vcc, s14, v10
	v_addc_co_u32_e32 v11, vcc, v5, v11, vcc
	global_load_dword v13, v[10:11], off
	s_mov_b64 s[28:29], 0
.LBB83_94:                              ;   Parent Loop BB83_85 Depth=1
                                        ; =>  This Inner Loop Header: Depth=2
	s_waitcnt vmcnt(0)
	v_add_f32_e32 v12, v13, v17
	global_atomic_cmpswap v5, v[10:11], v[12:13], off glc
	s_waitcnt vmcnt(0)
	v_cmp_eq_u32_e32 vcc, v5, v13
	s_or_b64 s[28:29], vcc, s[28:29]
	v_mov_b32_e32 v13, v5
	s_andn2_b64 exec, exec, s[28:29]
	s_cbranch_execnz .LBB83_94
; %bb.95:                               ;   in Loop: Header=BB83_85 Depth=1
	s_or_b64 exec, exec, s[28:29]
	global_load_dword v13, v[10:11], off offset:4
	s_mov_b64 s[28:29], 0
.LBB83_96:                              ;   Parent Loop BB83_85 Depth=1
                                        ; =>  This Inner Loop Header: Depth=2
	s_waitcnt vmcnt(0)
	v_add_f32_e32 v12, v13, v9
	global_atomic_cmpswap v5, v[10:11], v[12:13], off offset:4 glc
	s_waitcnt vmcnt(0)
	v_cmp_eq_u32_e32 vcc, v5, v13
	s_or_b64 s[28:29], vcc, s[28:29]
	v_mov_b32_e32 v13, v5
	s_andn2_b64 exec, exec, s[28:29]
	s_cbranch_execnz .LBB83_96
; %bb.97:                               ;   in Loop: Header=BB83_85 Depth=1
	s_or_b64 exec, exec, s[28:29]
                                        ; implicit-def: $vgpr17
                                        ; implicit-def: $vgpr9
.LBB83_98:                              ;   in Loop: Header=BB83_85 Depth=1
	s_andn2_saveexec_b64 s[2:3], s[2:3]
	s_cbranch_execz .LBB83_83
; %bb.99:                               ;   in Loop: Header=BB83_85 Depth=1
	v_subrev_u32_e32 v5, s31, v4
	v_lshl_add_u32 v5, v5, 3, v15
	ds_add_f32 v5, v17
	ds_add_f32 v5, v9 offset:4
	s_branch .LBB83_83
.LBB83_100:
	s_or_b64 exec, exec, s[10:11]
                                        ; implicit-def: $vgpr18
                                        ; implicit-def: $vgpr2
.LBB83_101:
	s_andn2_saveexec_b64 s[4:5], s[4:5]
	s_cbranch_execz .LBB83_159
; %bb.102:
	s_add_i32 s20, s25, -1
	s_cmp_le_i32 s20, s24
	s_cselect_b64 s[0:1], -1, 0
	s_add_i32 s2, s25, -2
	s_cmp_eq_u32 s2, s24
	s_cselect_b64 s[2:3], -1, 0
	s_or_b64 s[2:3], s[0:1], s[2:3]
	s_and_b64 vcc, exec, s[2:3]
	v_mov_b32_e32 v8, s24
	v_mov_b32_e32 v6, s20
	s_cbranch_vccnz .LBB83_106
; %bb.103:
	s_mov_b64 s[10:11], 0
	v_mov_b32_e32 v8, s24
	v_mov_b32_e32 v6, s20
	;; [unrolled: 1-line block ×3, first 2 shown]
.LBB83_104:                             ; =>This Inner Loop Header: Depth=1
	v_add_u32_e32 v5, v6, v8
	v_lshrrev_b32_e32 v7, 31, v5
	v_add_u32_e32 v5, v5, v7
	v_ashrrev_i32_e32 v10, 1, v5
	v_ashrrev_i32_e32 v11, 31, v10
	v_lshlrev_b64 v[12:13], 2, v[10:11]
	v_add_co_u32_e32 v12, vcc, s16, v12
	v_addc_co_u32_e32 v13, vcc, v4, v13, vcc
	global_load_dword v5, v[12:13], off
	s_waitcnt vmcnt(0)
	v_subrev_u32_e32 v5, s26, v5
	v_cmp_gt_i32_e32 vcc, v5, v2
	v_cndmask_b32_e32 v6, v6, v10, vcc
	v_cndmask_b32_e32 v8, v10, v8, vcc
	v_add_u32_e32 v5, -1, v6
	v_cmp_ge_i32_e32 vcc, v8, v6
	v_cmp_eq_u32_e64 s[0:1], v8, v5
	s_or_b64 s[0:1], vcc, s[0:1]
	s_and_b64 s[0:1], exec, s[0:1]
	s_or_b64 s[10:11], s[0:1], s[10:11]
	s_andn2_b64 exec, exec, s[10:11]
	s_cbranch_execnz .LBB83_104
; %bb.105:
	s_or_b64 exec, exec, s[10:11]
.LBB83_106:
	v_ashrrev_i32_e32 v7, 31, v6
	v_lshlrev_b64 v[4:5], 2, v[6:7]
	v_mov_b32_e32 v7, s17
	v_add_co_u32_e32 v4, vcc, s16, v4
	v_addc_co_u32_e32 v5, vcc, v7, v5, vcc
	global_load_dword v7, v[4:5], off
	v_lshlrev_b64 v[4:5], 2, v[2:3]
	v_mov_b32_e32 v3, s19
	v_add_co_u32_e32 v4, vcc, s18, v4
	v_addc_co_u32_e32 v5, vcc, v3, v5, vcc
	global_load_dword v3, v[4:5], off
	s_ashr_i32 s1, s25, 31
	s_mov_b32 s0, s25
	s_xor_b64 s[2:3], s[2:3], -1
	s_lshl_b64 s[0:1], s[0:1], 2
	s_add_u32 s10, s16, s0
	s_addc_u32 s11, s17, s1
	s_waitcnt vmcnt(1)
	v_subrev_u32_e32 v7, s26, v7
	v_cmp_gt_i32_e32 vcc, v7, v2
	v_cndmask_b32_e32 v8, v6, v8, vcc
	s_waitcnt vmcnt(0)
	v_subrev_u32_e32 v6, s26, v3
	v_cmp_ne_u32_e32 vcc, v6, v8
	s_and_saveexec_b64 s[12:13], vcc
	s_cbranch_execz .LBB83_116
; %bb.107:
	s_load_dword s0, s[10:11], 0x0
	s_waitcnt lgkmcnt(0)
	s_sub_i32 s0, s0, s26
	v_cmp_gt_i32_e32 vcc, s0, v2
	s_and_b64 exec, exec, vcc
	s_cbranch_execz .LBB83_116
; %bb.108:
	v_ashrrev_i32_e32 v9, 31, v8
	v_lshlrev_b64 v[8:9], 3, v[8:9]
	v_mov_b32_e32 v3, s23
	v_add_co_u32_e32 v8, vcc, s22, v8
	v_addc_co_u32_e32 v9, vcc, v3, v9, vcc
	global_load_dwordx2 v[8:9], v[8:9], off
	ds_read_b64 v[10:11], v1
	v_cmp_gt_i32_e32 vcc, s31, v6
	v_cmp_le_i32_e64 s[0:1], s25, v6
	s_or_b64 s[0:1], vcc, s[0:1]
	s_waitcnt vmcnt(0) lgkmcnt(0)
	v_mul_f32_e64 v12, v9, -v11
	v_mul_f32_e32 v3, v9, v10
	v_fmac_f32_e32 v12, v10, v8
	v_fmac_f32_e32 v3, v11, v8
	s_and_saveexec_b64 s[18:19], s[0:1]
	s_xor_b64 s[0:1], exec, s[18:19]
	s_cbranch_execz .LBB83_114
; %bb.109:
	v_ashrrev_i32_e32 v7, 31, v6
	v_lshlrev_b64 v[8:9], 3, v[6:7]
	v_mov_b32_e32 v7, s15
	v_add_co_u32_e32 v8, vcc, s14, v8
	v_addc_co_u32_e32 v9, vcc, v7, v9, vcc
	global_load_dword v11, v[8:9], off
	s_mov_b64 s[18:19], 0
.LBB83_110:                             ; =>This Inner Loop Header: Depth=1
	s_waitcnt vmcnt(0)
	v_add_f32_e32 v10, v11, v12
	global_atomic_cmpswap v7, v[8:9], v[10:11], off glc
	s_waitcnt vmcnt(0)
	v_cmp_eq_u32_e32 vcc, v7, v11
	s_or_b64 s[18:19], vcc, s[18:19]
	v_mov_b32_e32 v11, v7
	s_andn2_b64 exec, exec, s[18:19]
	s_cbranch_execnz .LBB83_110
; %bb.111:
	s_or_b64 exec, exec, s[18:19]
	global_load_dword v11, v[8:9], off offset:4
	s_mov_b64 s[18:19], 0
.LBB83_112:                             ; =>This Inner Loop Header: Depth=1
	s_waitcnt vmcnt(0)
	v_add_f32_e32 v10, v11, v3
	global_atomic_cmpswap v7, v[8:9], v[10:11], off offset:4 glc
	s_waitcnt vmcnt(0)
	v_cmp_eq_u32_e32 vcc, v7, v11
	s_or_b64 s[18:19], vcc, s[18:19]
	v_mov_b32_e32 v11, v7
	s_andn2_b64 exec, exec, s[18:19]
	s_cbranch_execnz .LBB83_112
; %bb.113:
	s_or_b64 exec, exec, s[18:19]
                                        ; implicit-def: $vgpr12
                                        ; implicit-def: $vgpr3
.LBB83_114:
	s_andn2_saveexec_b64 s[0:1], s[0:1]
	s_cbranch_execz .LBB83_116
; %bb.115:
	v_subrev_u32_e32 v7, s31, v6
	v_mov_b32_e32 v8, 0x2000
	v_lshl_add_u32 v7, v7, 3, v8
	ds_add_f32 v7, v12
	ds_add_f32 v7, v3 offset:4
.LBB83_116:
	s_or_b64 exec, exec, s[12:13]
	v_ashrrev_i32_e32 v7, 31, v6
	v_lshlrev_b64 v[6:7], 3, v[6:7]
	v_mov_b32_e32 v3, s23
	v_add_co_u32_e32 v6, vcc, s22, v6
	v_addc_co_u32_e32 v7, vcc, v3, v7, vcc
	global_load_dwordx2 v[6:7], v[6:7], off
	ds_read_b64 v[10:11], v1
	v_cndmask_b32_e64 v9, 0, 1, s[2:3]
	v_add_u32_e32 v3, 0x100, v2
	v_mov_b32_e32 v8, s24
	v_cmp_ne_u32_e64 s[0:1], 1, v9
	s_andn2_b64 vcc, exec, s[2:3]
	s_waitcnt vmcnt(0) lgkmcnt(0)
	v_pk_mul_f32 v[12:13], v[6:7], v[10:11] op_sel:[1,1] op_sel_hi:[1,0] neg_lo:[0,1]
	v_pk_fma_f32 v[6:7], v[10:11], v[6:7], v[12:13] op_sel_hi:[1,0,1]
	ds_write_b64 v1, v[6:7]
	v_mov_b32_e32 v6, s20
	s_cbranch_vccnz .LBB83_120
; %bb.117:
	s_mov_b64 s[12:13], 0
	v_mov_b32_e32 v8, s24
	v_mov_b32_e32 v6, s20
	;; [unrolled: 1-line block ×3, first 2 shown]
.LBB83_118:                             ; =>This Inner Loop Header: Depth=1
	v_add_u32_e32 v9, v6, v8
	v_lshrrev_b32_e32 v10, 31, v9
	v_add_u32_e32 v9, v9, v10
	v_ashrrev_i32_e32 v10, 1, v9
	v_ashrrev_i32_e32 v11, 31, v10
	v_lshlrev_b64 v[12:13], 2, v[10:11]
	v_add_co_u32_e32 v12, vcc, s16, v12
	v_addc_co_u32_e32 v13, vcc, v7, v13, vcc
	global_load_dword v9, v[12:13], off
	s_waitcnt vmcnt(0)
	v_subrev_u32_e32 v9, s26, v9
	v_cmp_gt_i32_e32 vcc, v9, v3
	v_cndmask_b32_e32 v6, v6, v10, vcc
	v_cndmask_b32_e32 v8, v10, v8, vcc
	v_add_u32_e32 v9, -1, v6
	v_cmp_ge_i32_e32 vcc, v8, v6
	v_cmp_eq_u32_e64 s[2:3], v8, v9
	s_or_b64 s[2:3], vcc, s[2:3]
	s_and_b64 s[2:3], exec, s[2:3]
	s_or_b64 s[12:13], s[2:3], s[12:13]
	s_andn2_b64 exec, exec, s[12:13]
	s_cbranch_execnz .LBB83_118
; %bb.119:
	s_or_b64 exec, exec, s[12:13]
.LBB83_120:
	v_ashrrev_i32_e32 v7, 31, v6
	v_lshlrev_b64 v[10:11], 2, v[6:7]
	v_mov_b32_e32 v7, s17
	v_add_co_u32_e32 v10, vcc, s16, v10
	v_addc_co_u32_e32 v11, vcc, v7, v11, vcc
	global_load_dword v7, v[10:11], off
	global_load_dword v9, v[4:5], off offset:1024
	s_waitcnt vmcnt(1)
	v_subrev_u32_e32 v7, s26, v7
	v_cmp_gt_i32_e32 vcc, v7, v3
	v_cndmask_b32_e32 v8, v6, v8, vcc
	s_waitcnt vmcnt(0)
	v_subrev_u32_e32 v6, s26, v9
	v_cmp_ne_u32_e32 vcc, v6, v8
	s_and_saveexec_b64 s[12:13], vcc
	s_cbranch_execz .LBB83_130
; %bb.121:
	s_load_dword s2, s[10:11], 0x0
	s_waitcnt lgkmcnt(0)
	s_sub_i32 s2, s2, s26
	v_cmp_gt_i32_e32 vcc, s2, v3
	s_and_b64 exec, exec, vcc
	s_cbranch_execz .LBB83_130
; %bb.122:
	v_ashrrev_i32_e32 v9, 31, v8
	v_lshlrev_b64 v[8:9], 3, v[8:9]
	v_mov_b32_e32 v3, s23
	v_add_co_u32_e32 v8, vcc, s22, v8
	v_addc_co_u32_e32 v9, vcc, v3, v9, vcc
	global_load_dwordx2 v[8:9], v[8:9], off
	ds_read_b64 v[10:11], v1 offset:2048
	v_cmp_gt_i32_e32 vcc, s31, v6
	v_cmp_le_i32_e64 s[2:3], s25, v6
	s_or_b64 s[2:3], vcc, s[2:3]
	s_waitcnt vmcnt(0) lgkmcnt(0)
	v_mul_f32_e64 v12, v9, -v11
	v_mul_f32_e32 v3, v9, v10
	v_fmac_f32_e32 v12, v10, v8
	v_fmac_f32_e32 v3, v11, v8
	s_and_saveexec_b64 s[18:19], s[2:3]
	s_xor_b64 s[2:3], exec, s[18:19]
	s_cbranch_execz .LBB83_128
; %bb.123:
	v_ashrrev_i32_e32 v7, 31, v6
	v_lshlrev_b64 v[8:9], 3, v[6:7]
	v_mov_b32_e32 v7, s15
	v_add_co_u32_e32 v8, vcc, s14, v8
	v_addc_co_u32_e32 v9, vcc, v7, v9, vcc
	global_load_dword v11, v[8:9], off
	s_mov_b64 s[18:19], 0
.LBB83_124:                             ; =>This Inner Loop Header: Depth=1
	s_waitcnt vmcnt(0)
	v_add_f32_e32 v10, v11, v12
	global_atomic_cmpswap v7, v[8:9], v[10:11], off glc
	s_waitcnt vmcnt(0)
	v_cmp_eq_u32_e32 vcc, v7, v11
	s_or_b64 s[18:19], vcc, s[18:19]
	v_mov_b32_e32 v11, v7
	s_andn2_b64 exec, exec, s[18:19]
	s_cbranch_execnz .LBB83_124
; %bb.125:
	s_or_b64 exec, exec, s[18:19]
	global_load_dword v11, v[8:9], off offset:4
	s_mov_b64 s[18:19], 0
.LBB83_126:                             ; =>This Inner Loop Header: Depth=1
	s_waitcnt vmcnt(0)
	v_add_f32_e32 v10, v11, v3
	global_atomic_cmpswap v7, v[8:9], v[10:11], off offset:4 glc
	s_waitcnt vmcnt(0)
	v_cmp_eq_u32_e32 vcc, v7, v11
	s_or_b64 s[18:19], vcc, s[18:19]
	v_mov_b32_e32 v11, v7
	s_andn2_b64 exec, exec, s[18:19]
	s_cbranch_execnz .LBB83_126
; %bb.127:
	s_or_b64 exec, exec, s[18:19]
                                        ; implicit-def: $vgpr12
                                        ; implicit-def: $vgpr3
.LBB83_128:
	s_andn2_saveexec_b64 s[2:3], s[2:3]
	s_cbranch_execz .LBB83_130
; %bb.129:
	v_subrev_u32_e32 v7, s31, v6
	v_mov_b32_e32 v8, 0x2000
	v_lshl_add_u32 v7, v7, 3, v8
	ds_add_f32 v7, v12
	ds_add_f32 v7, v3 offset:4
.LBB83_130:
	s_or_b64 exec, exec, s[12:13]
	v_ashrrev_i32_e32 v7, 31, v6
	v_lshlrev_b64 v[6:7], 3, v[6:7]
	v_mov_b32_e32 v3, s23
	v_add_co_u32_e32 v6, vcc, s22, v6
	v_addc_co_u32_e32 v7, vcc, v3, v7, vcc
	global_load_dwordx2 v[8:9], v[6:7], off
	ds_read_b64 v[10:11], v1 offset:2048
	v_add_u32_e32 v7, 0x200, v2
	s_and_b64 vcc, exec, s[0:1]
	v_mov_b32_e32 v6, s24
	s_waitcnt vmcnt(0) lgkmcnt(0)
	v_pk_mul_f32 v[2:3], v[8:9], v[10:11] op_sel:[1,1] op_sel_hi:[1,0] neg_lo:[0,1]
	v_pk_fma_f32 v[2:3], v[10:11], v[8:9], v[2:3] op_sel_hi:[1,0,1]
	ds_write_b64 v1, v[2:3] offset:2048
	v_mov_b32_e32 v2, s20
	s_cbranch_vccnz .LBB83_134
; %bb.131:
	s_mov_b64 s[12:13], 0
	v_mov_b32_e32 v6, s24
	v_mov_b32_e32 v2, s20
	;; [unrolled: 1-line block ×3, first 2 shown]
.LBB83_132:                             ; =>This Inner Loop Header: Depth=1
	v_add_u32_e32 v8, v2, v6
	v_lshrrev_b32_e32 v9, 31, v8
	v_add_u32_e32 v8, v8, v9
	v_ashrrev_i32_e32 v8, 1, v8
	v_ashrrev_i32_e32 v9, 31, v8
	v_lshlrev_b64 v[10:11], 2, v[8:9]
	v_add_co_u32_e32 v10, vcc, s16, v10
	v_addc_co_u32_e32 v11, vcc, v3, v11, vcc
	global_load_dword v9, v[10:11], off
	s_waitcnt vmcnt(0)
	v_subrev_u32_e32 v9, s26, v9
	v_cmp_gt_i32_e32 vcc, v9, v7
	v_cndmask_b32_e32 v2, v2, v8, vcc
	v_cndmask_b32_e32 v6, v8, v6, vcc
	v_add_u32_e32 v8, -1, v2
	v_cmp_ge_i32_e32 vcc, v6, v2
	v_cmp_eq_u32_e64 s[2:3], v6, v8
	s_or_b64 s[2:3], vcc, s[2:3]
	s_and_b64 s[2:3], exec, s[2:3]
	s_or_b64 s[12:13], s[2:3], s[12:13]
	s_andn2_b64 exec, exec, s[12:13]
	s_cbranch_execnz .LBB83_132
; %bb.133:
	s_or_b64 exec, exec, s[12:13]
.LBB83_134:
	v_ashrrev_i32_e32 v3, 31, v2
	v_lshlrev_b64 v[8:9], 2, v[2:3]
	v_mov_b32_e32 v3, s17
	v_add_co_u32_e32 v8, vcc, s16, v8
	v_addc_co_u32_e32 v9, vcc, v3, v9, vcc
	global_load_dword v3, v[8:9], off
	global_load_dword v10, v[4:5], off offset:2048
	s_waitcnt vmcnt(1)
	v_subrev_u32_e32 v3, s26, v3
	v_cmp_gt_i32_e32 vcc, v3, v7
	v_cndmask_b32_e32 v6, v2, v6, vcc
	s_waitcnt vmcnt(0)
	v_subrev_u32_e32 v2, s26, v10
	v_cmp_ne_u32_e32 vcc, v2, v6
	s_and_saveexec_b64 s[12:13], vcc
	s_cbranch_execz .LBB83_144
; %bb.135:
	s_load_dword s2, s[10:11], 0x0
	s_waitcnt lgkmcnt(0)
	s_sub_i32 s2, s2, s26
	v_cmp_gt_i32_e32 vcc, s2, v7
	s_and_b64 exec, exec, vcc
	s_cbranch_execz .LBB83_144
; %bb.136:
	v_ashrrev_i32_e32 v7, 31, v6
	v_lshlrev_b64 v[6:7], 3, v[6:7]
	v_mov_b32_e32 v3, s23
	v_add_co_u32_e32 v6, vcc, s22, v6
	v_addc_co_u32_e32 v7, vcc, v3, v7, vcc
	global_load_dwordx2 v[6:7], v[6:7], off
	ds_read_b64 v[8:9], v1 offset:4096
	v_cmp_gt_i32_e32 vcc, s31, v2
	v_cmp_le_i32_e64 s[2:3], s25, v2
	s_or_b64 s[2:3], vcc, s[2:3]
	s_waitcnt vmcnt(0) lgkmcnt(0)
	v_mul_f32_e64 v11, v7, -v9
	v_mul_f32_e32 v10, v7, v8
	v_fmac_f32_e32 v11, v8, v6
	v_fmac_f32_e32 v10, v9, v6
	s_and_saveexec_b64 s[18:19], s[2:3]
	s_xor_b64 s[2:3], exec, s[18:19]
	s_cbranch_execz .LBB83_142
; %bb.137:
	v_ashrrev_i32_e32 v3, 31, v2
	v_lshlrev_b64 v[6:7], 3, v[2:3]
	v_mov_b32_e32 v3, s15
	v_add_co_u32_e32 v6, vcc, s14, v6
	v_addc_co_u32_e32 v7, vcc, v3, v7, vcc
	global_load_dword v9, v[6:7], off
	s_mov_b64 s[18:19], 0
.LBB83_138:                             ; =>This Inner Loop Header: Depth=1
	s_waitcnt vmcnt(0)
	v_add_f32_e32 v8, v9, v11
	global_atomic_cmpswap v3, v[6:7], v[8:9], off glc
	s_waitcnt vmcnt(0)
	v_cmp_eq_u32_e32 vcc, v3, v9
	s_or_b64 s[18:19], vcc, s[18:19]
	v_mov_b32_e32 v9, v3
	s_andn2_b64 exec, exec, s[18:19]
	s_cbranch_execnz .LBB83_138
; %bb.139:
	s_or_b64 exec, exec, s[18:19]
	global_load_dword v9, v[6:7], off offset:4
	s_mov_b64 s[18:19], 0
.LBB83_140:                             ; =>This Inner Loop Header: Depth=1
	s_waitcnt vmcnt(0)
	v_add_f32_e32 v8, v9, v10
	global_atomic_cmpswap v3, v[6:7], v[8:9], off offset:4 glc
	s_waitcnt vmcnt(0)
	v_cmp_eq_u32_e32 vcc, v3, v9
	s_or_b64 s[18:19], vcc, s[18:19]
	v_mov_b32_e32 v9, v3
	s_andn2_b64 exec, exec, s[18:19]
	s_cbranch_execnz .LBB83_140
; %bb.141:
	s_or_b64 exec, exec, s[18:19]
                                        ; implicit-def: $vgpr11
                                        ; implicit-def: $vgpr10
.LBB83_142:
	s_andn2_saveexec_b64 s[2:3], s[2:3]
	s_cbranch_execz .LBB83_144
; %bb.143:
	v_subrev_u32_e32 v3, s31, v2
	v_mov_b32_e32 v6, 0x2000
	v_lshl_add_u32 v3, v3, 3, v6
	ds_add_f32 v3, v11
	ds_add_f32 v3, v10 offset:4
.LBB83_144:
	s_or_b64 exec, exec, s[12:13]
	v_ashrrev_i32_e32 v3, 31, v2
	v_lshlrev_b64 v[2:3], 3, v[2:3]
	v_mov_b32_e32 v6, s23
	v_add_co_u32_e32 v2, vcc, s22, v2
	v_addc_co_u32_e32 v3, vcc, v6, v3, vcc
	global_load_dwordx2 v[2:3], v[2:3], off
	ds_read_b64 v[8:9], v1 offset:4096
	s_and_b64 vcc, exec, s[0:1]
	v_mov_b32_e32 v6, s24
	s_waitcnt vmcnt(0) lgkmcnt(0)
	v_pk_mul_f32 v[10:11], v[2:3], v[8:9] op_sel:[1,1] op_sel_hi:[1,0] neg_lo:[0,1]
	v_pk_fma_f32 v[2:3], v[8:9], v[2:3], v[10:11] op_sel_hi:[1,0,1]
	ds_write_b64 v1, v[2:3] offset:4096
	v_mov_b32_e32 v2, s20
	s_cbranch_vccnz .LBB83_148
; %bb.145:
	s_mov_b64 s[2:3], 0
	v_mov_b32_e32 v6, s24
	v_mov_b32_e32 v2, s20
	;; [unrolled: 1-line block ×3, first 2 shown]
.LBB83_146:                             ; =>This Inner Loop Header: Depth=1
	v_add_u32_e32 v7, v2, v6
	v_lshrrev_b32_e32 v8, 31, v7
	v_add_u32_e32 v7, v7, v8
	v_ashrrev_i32_e32 v8, 1, v7
	v_ashrrev_i32_e32 v9, 31, v8
	v_lshlrev_b64 v[10:11], 2, v[8:9]
	v_add_co_u32_e32 v10, vcc, s16, v10
	v_addc_co_u32_e32 v11, vcc, v3, v11, vcc
	global_load_dword v7, v[10:11], off
	s_waitcnt vmcnt(0)
	v_subrev_u32_e32 v7, s26, v7
	v_cmp_gt_i32_e32 vcc, v7, v18
	v_cndmask_b32_e32 v2, v2, v8, vcc
	v_cndmask_b32_e32 v6, v8, v6, vcc
	v_add_u32_e32 v7, -1, v2
	v_cmp_ge_i32_e32 vcc, v6, v2
	v_cmp_eq_u32_e64 s[0:1], v6, v7
	s_or_b64 s[0:1], vcc, s[0:1]
	s_and_b64 s[0:1], exec, s[0:1]
	s_or_b64 s[2:3], s[0:1], s[2:3]
	s_andn2_b64 exec, exec, s[2:3]
	s_cbranch_execnz .LBB83_146
; %bb.147:
	s_or_b64 exec, exec, s[2:3]
.LBB83_148:
	v_ashrrev_i32_e32 v3, 31, v2
	v_lshlrev_b64 v[8:9], 2, v[2:3]
	v_mov_b32_e32 v3, s17
	v_add_co_u32_e32 v8, vcc, s16, v8
	v_addc_co_u32_e32 v9, vcc, v3, v9, vcc
	global_load_dword v3, v[8:9], off
	global_load_dword v7, v[4:5], off offset:3072
	s_waitcnt vmcnt(1)
	v_subrev_u32_e32 v3, s26, v3
	v_cmp_gt_i32_e32 vcc, v3, v18
	v_cndmask_b32_e32 v4, v2, v6, vcc
	s_waitcnt vmcnt(0)
	v_subrev_u32_e32 v2, s26, v7
	v_cmp_ne_u32_e32 vcc, v2, v4
	s_and_saveexec_b64 s[2:3], vcc
	s_cbranch_execz .LBB83_158
; %bb.149:
	s_load_dword s0, s[10:11], 0x0
	s_waitcnt lgkmcnt(0)
	s_sub_i32 s0, s0, s26
	v_cmp_gt_i32_e32 vcc, s0, v18
	s_and_b64 exec, exec, vcc
	s_cbranch_execz .LBB83_158
; %bb.150:
	v_ashrrev_i32_e32 v5, 31, v4
	v_lshlrev_b64 v[4:5], 3, v[4:5]
	v_mov_b32_e32 v3, s23
	v_add_co_u32_e32 v4, vcc, s22, v4
	v_addc_co_u32_e32 v5, vcc, v3, v5, vcc
	global_load_dwordx2 v[4:5], v[4:5], off
	ds_read_b64 v[6:7], v1 offset:6144
	v_cmp_gt_i32_e32 vcc, s31, v2
	v_cmp_le_i32_e64 s[0:1], s25, v2
	s_or_b64 s[0:1], vcc, s[0:1]
	s_waitcnt vmcnt(0) lgkmcnt(0)
	v_mul_f32_e64 v9, v5, -v7
	v_mul_f32_e32 v8, v5, v6
	v_fmac_f32_e32 v9, v6, v4
	v_fmac_f32_e32 v8, v7, v4
	s_and_saveexec_b64 s[10:11], s[0:1]
	s_xor_b64 s[0:1], exec, s[10:11]
	s_cbranch_execz .LBB83_156
; %bb.151:
	v_ashrrev_i32_e32 v3, 31, v2
	v_lshlrev_b64 v[4:5], 3, v[2:3]
	v_mov_b32_e32 v3, s15
	v_add_co_u32_e32 v4, vcc, s14, v4
	v_addc_co_u32_e32 v5, vcc, v3, v5, vcc
	global_load_dword v7, v[4:5], off
	s_mov_b64 s[10:11], 0
.LBB83_152:                             ; =>This Inner Loop Header: Depth=1
	s_waitcnt vmcnt(0)
	v_add_f32_e32 v6, v7, v9
	global_atomic_cmpswap v3, v[4:5], v[6:7], off glc
	s_waitcnt vmcnt(0)
	v_cmp_eq_u32_e32 vcc, v3, v7
	s_or_b64 s[10:11], vcc, s[10:11]
	v_mov_b32_e32 v7, v3
	s_andn2_b64 exec, exec, s[10:11]
	s_cbranch_execnz .LBB83_152
; %bb.153:
	s_or_b64 exec, exec, s[10:11]
	global_load_dword v7, v[4:5], off offset:4
	s_mov_b64 s[10:11], 0
.LBB83_154:                             ; =>This Inner Loop Header: Depth=1
	s_waitcnt vmcnt(0)
	v_add_f32_e32 v6, v7, v8
	global_atomic_cmpswap v3, v[4:5], v[6:7], off offset:4 glc
	s_waitcnt vmcnt(0)
	v_cmp_eq_u32_e32 vcc, v3, v7
	s_or_b64 s[10:11], vcc, s[10:11]
	v_mov_b32_e32 v7, v3
	s_andn2_b64 exec, exec, s[10:11]
	s_cbranch_execnz .LBB83_154
; %bb.155:
	s_or_b64 exec, exec, s[10:11]
                                        ; implicit-def: $vgpr9
                                        ; implicit-def: $vgpr8
.LBB83_156:
	s_andn2_saveexec_b64 s[0:1], s[0:1]
	s_cbranch_execz .LBB83_158
; %bb.157:
	v_subrev_u32_e32 v3, s31, v2
	v_mov_b32_e32 v4, 0x2000
	v_lshl_add_u32 v3, v3, 3, v4
	ds_add_f32 v3, v9
	ds_add_f32 v3, v8 offset:4
.LBB83_158:
	s_or_b64 exec, exec, s[2:3]
	v_ashrrev_i32_e32 v3, 31, v2
	v_lshlrev_b64 v[2:3], 3, v[2:3]
	v_mov_b32_e32 v4, s23
	v_add_co_u32_e32 v2, vcc, s22, v2
	v_addc_co_u32_e32 v3, vcc, v4, v3, vcc
	global_load_dwordx2 v[2:3], v[2:3], off
	ds_read_b64 v[4:5], v1 offset:6144
	s_waitcnt vmcnt(0) lgkmcnt(0)
	v_pk_mul_f32 v[6:7], v[2:3], v[4:5] op_sel:[1,1] op_sel_hi:[1,0] neg_lo:[0,1]
	v_pk_fma_f32 v[2:3], v[4:5], v[2:3], v[6:7] op_sel_hi:[1,0,1]
	ds_write_b64 v1, v[2:3] offset:6144
.LBB83_159:
	s_or_b64 exec, exec, s[4:5]
	s_min_i32 s9, s25, s9
	s_sub_i32 s10, s9, s27
	v_cmp_gt_i32_e32 vcc, s10, v0
	s_waitcnt lgkmcnt(0)
	s_barrier
	s_and_saveexec_b64 s[0:1], vcc
	s_cbranch_execz .LBB83_166
; %bb.160:
	s_mov_b64 s[2:3], 0
	v_mov_b32_e32 v8, s15
	v_mov_b32_e32 v9, 0x2000
	;; [unrolled: 1-line block ×3, first 2 shown]
.LBB83_161:                             ; =>This Loop Header: Depth=1
                                        ;     Child Loop BB83_162 Depth 2
                                        ;     Child Loop BB83_164 Depth 2
	v_add_u32_e32 v2, s31, v10
	v_ashrrev_i32_e32 v3, 31, v2
	v_lshlrev_b64 v[2:3], 3, v[2:3]
	v_add_co_u32_e32 v2, vcc, s14, v2
	v_addc_co_u32_e32 v3, vcc, v8, v3, vcc
	global_load_dword v7, v[2:3], off
	v_lshl_add_u32 v4, v10, 3, v9
	ds_read2_b32 v[4:5], v4 offset1:1
	s_mov_b64 s[4:5], 0
.LBB83_162:                             ;   Parent Loop BB83_161 Depth=1
                                        ; =>  This Inner Loop Header: Depth=2
	s_waitcnt vmcnt(0) lgkmcnt(0)
	v_add_f32_e32 v6, v7, v4
	global_atomic_cmpswap v6, v[2:3], v[6:7], off glc
	s_waitcnt vmcnt(0)
	v_cmp_eq_u32_e32 vcc, v6, v7
	s_or_b64 s[4:5], vcc, s[4:5]
	v_mov_b32_e32 v7, v6
	s_andn2_b64 exec, exec, s[4:5]
	s_cbranch_execnz .LBB83_162
; %bb.163:                              ;   in Loop: Header=BB83_161 Depth=1
	s_or_b64 exec, exec, s[4:5]
	global_load_dword v7, v[2:3], off offset:4
	s_mov_b64 s[4:5], 0
.LBB83_164:                             ;   Parent Loop BB83_161 Depth=1
                                        ; =>  This Inner Loop Header: Depth=2
	s_waitcnt vmcnt(0)
	v_add_f32_e32 v6, v7, v5
	global_atomic_cmpswap v4, v[2:3], v[6:7], off offset:4 glc
	s_waitcnt vmcnt(0)
	v_cmp_eq_u32_e32 vcc, v4, v7
	s_or_b64 s[4:5], vcc, s[4:5]
	v_mov_b32_e32 v7, v4
	s_andn2_b64 exec, exec, s[4:5]
	s_cbranch_execnz .LBB83_164
; %bb.165:                              ;   in Loop: Header=BB83_161 Depth=1
	s_or_b64 exec, exec, s[4:5]
	v_add_u32_e32 v10, 0x100, v10
	v_cmp_le_i32_e32 vcc, s10, v10
	s_or_b64 s[2:3], vcc, s[2:3]
	s_andn2_b64 exec, exec, s[2:3]
	s_cbranch_execnz .LBB83_161
.LBB83_166:
	s_or_b64 exec, exec, s[0:1]
	s_mul_i32 s0, s8, s27
	s_sub_i32 s0, s30, s0
	s_add_i32 s1, s8, 1
	s_sub_i32 s2, s0, s27
	s_cmp_ge_u32 s0, s27
	s_cselect_b32 s1, s1, s8
	s_cselect_b32 s0, s2, s0
	s_add_i32 s2, s1, 1
	s_cmp_ge_u32 s0, s27
	s_cselect_b32 s0, s2, s1
	s_add_i32 s0, s0, -1
	s_ashr_i32 s1, s0, 1
	s_or_b32 s0, s1, s0
	s_ashr_i32 s1, s0, 2
	s_or_b32 s0, s1, s0
	;; [unrolled: 2-line block ×5, first 2 shown]
	s_add_i32 s11, s11, 1
	s_ashr_i32 s12, s11, 1
	v_add_u32_e32 v2, s24, v0
	s_cmp_gt_i32 s12, 1
	s_mov_b64 s[0:1], -1
	s_barrier
	s_cbranch_scc1 .LBB83_179
; %bb.167:
	v_cmp_gt_i32_e32 vcc, s25, v2
	s_and_saveexec_b64 s[0:1], vcc
	s_cbranch_execz .LBB83_178
; %bb.168:
	s_sub_i32 s2, s9, s25
	s_lshl_b32 s2, s2, 3
	s_add_i32 s13, s2, 0x2000
	s_lshl_b32 s2, s33, 3
	s_sub_i32 s18, 0, s2
	s_mov_b64 s[2:3], 0
	v_mov_b32_e32 v3, s17
	v_mov_b32_e32 v14, s15
	;; [unrolled: 1-line block ×3, first 2 shown]
.LBB83_169:                             ; =>This Loop Header: Depth=1
                                        ;     Child Loop BB83_171 Depth 2
                                        ;     Child Loop BB83_174 Depth 2
	;; [unrolled: 1-line block ×3, first 2 shown]
	v_ashrrev_i32_e32 v5, 31, v4
	v_lshlrev_b64 v[6:7], 2, v[4:5]
	v_add_co_u32_e32 v6, vcc, s16, v6
	v_addc_co_u32_e32 v7, vcc, v3, v7, vcc
	global_load_dwordx2 v[8:9], v[6:7], off
	v_mov_b32_e32 v7, 0
	v_mov_b32_e32 v6, v7
	s_waitcnt vmcnt(0)
	v_cmp_lt_i32_e32 vcc, v8, v9
	s_and_saveexec_b64 s[4:5], vcc
	s_cbranch_execz .LBB83_173
; %bb.170:                              ;   in Loop: Header=BB83_169 Depth=1
	v_mov_b32_e32 v6, 0
	v_subrev_u32_e32 v9, s33, v9
	v_subrev_u32_e32 v10, s33, v8
	v_lshl_add_u32 v8, v8, 3, s18
	s_mov_b64 s[8:9], 0
	v_mov_b32_e32 v7, v6
.LBB83_171:                             ;   Parent Loop BB83_169 Depth=1
                                        ; =>  This Inner Loop Header: Depth=2
	ds_read_b64 v[12:13], v8
	v_add_u32_e32 v10, 1, v10
	v_cmp_ge_i32_e32 vcc, v10, v9
	v_add_u32_e32 v8, 8, v8
	s_or_b64 s[8:9], vcc, s[8:9]
	s_waitcnt lgkmcnt(0)
	v_pk_add_f32 v[6:7], v[6:7], v[12:13]
	s_andn2_b64 exec, exec, s[8:9]
	s_cbranch_execnz .LBB83_171
; %bb.172:                              ;   in Loop: Header=BB83_169 Depth=1
	s_or_b64 exec, exec, s[8:9]
.LBB83_173:                             ;   in Loop: Header=BB83_169 Depth=1
	s_or_b64 exec, exec, s[4:5]
	v_lshlrev_b64 v[8:9], 3, v[4:5]
	v_add_co_u32_e32 v8, vcc, s14, v8
	v_addc_co_u32_e32 v9, vcc, v14, v9, vcc
	global_load_dword v13, v[8:9], off
	v_lshl_add_u32 v5, v4, 3, s13
	ds_read2_b32 v[10:11], v5 offset1:1
	s_mov_b64 s[4:5], 0
	s_waitcnt lgkmcnt(0)
	v_add_f32_e32 v5, v6, v10
.LBB83_174:                             ;   Parent Loop BB83_169 Depth=1
                                        ; =>  This Inner Loop Header: Depth=2
	s_waitcnt vmcnt(0)
	v_add_f32_e32 v12, v13, v5
	global_atomic_cmpswap v6, v[8:9], v[12:13], off glc
	s_waitcnt vmcnt(0)
	v_cmp_eq_u32_e32 vcc, v6, v13
	s_or_b64 s[4:5], vcc, s[4:5]
	v_mov_b32_e32 v13, v6
	s_andn2_b64 exec, exec, s[4:5]
	s_cbranch_execnz .LBB83_174
; %bb.175:                              ;   in Loop: Header=BB83_169 Depth=1
	s_or_b64 exec, exec, s[4:5]
	global_load_dword v13, v[8:9], off offset:4
	v_add_f32_e32 v5, v7, v11
	s_mov_b64 s[4:5], 0
.LBB83_176:                             ;   Parent Loop BB83_169 Depth=1
                                        ; =>  This Inner Loop Header: Depth=2
	s_waitcnt vmcnt(0)
	v_add_f32_e32 v12, v13, v5
	global_atomic_cmpswap v6, v[8:9], v[12:13], off offset:4 glc
	s_waitcnt vmcnt(0)
	v_cmp_eq_u32_e32 vcc, v6, v13
	s_or_b64 s[4:5], vcc, s[4:5]
	v_mov_b32_e32 v13, v6
	s_andn2_b64 exec, exec, s[4:5]
	s_cbranch_execnz .LBB83_176
; %bb.177:                              ;   in Loop: Header=BB83_169 Depth=1
	s_or_b64 exec, exec, s[4:5]
	v_add_u32_e32 v4, s30, v4
	v_cmp_le_i32_e32 vcc, s25, v4
	s_or_b64 s[2:3], vcc, s[2:3]
	s_andn2_b64 exec, exec, s[2:3]
	s_cbranch_execnz .LBB83_169
.LBB83_178:
	s_or_b64 exec, exec, s[0:1]
	s_mov_b64 s[0:1], 0
.LBB83_179:
	s_andn2_b64 vcc, exec, s[0:1]
	s_cbranch_vccnz .LBB83_206
; %bb.180:
	v_cvt_f32_u32_e32 v3, s12
	s_sub_i32 s0, 0, s12
	v_mov_b32_e32 v7, 0
	v_mov_b32_e32 v6, 0
	v_rcp_iflag_f32_e32 v3, v3
	v_mul_f32_e32 v3, 0x4f7ffffe, v3
	v_cvt_u32_f32_e32 v3, v3
	v_mul_lo_u32 v4, s0, v3
	v_mul_hi_u32 v4, v3, v4
	v_add_u32_e32 v3, v3, v4
	v_mul_hi_u32 v3, v0, v3
	v_mul_lo_u32 v4, v3, s12
	v_sub_u32_e32 v4, v0, v4
	v_add_u32_e32 v5, 1, v3
	v_cmp_le_u32_e32 vcc, s12, v4
	v_cndmask_b32_e32 v3, v3, v5, vcc
	v_subrev_u32_e32 v5, s12, v4
	v_cndmask_b32_e32 v4, v4, v5, vcc
	v_add_u32_e32 v5, 1, v3
	v_cmp_le_u32_e32 vcc, s12, v4
	v_cndmask_b32_e32 v3, v3, v5, vcc
	v_lshlrev_b32_e32 v4, 2, v3
	global_load_dwordx2 v[8:9], v4, s[6:7]
	v_cmp_gt_i32_e32 vcc, s27, v3
	s_and_saveexec_b64 s[0:1], vcc
	s_cbranch_execz .LBB83_194
; %bb.181:
	s_abs_i32 s4, s12
	v_cvt_f32_u32_e32 v5, s4
	s_waitcnt vmcnt(0)
	v_subrev_u32_e32 v4, s33, v8
	v_subrev_u32_e32 v3, s33, v9
	v_sub_u32_e32 v6, v3, v4
	v_rcp_iflag_f32_e32 v5, v5
	s_sub_i32 s2, 0, s4
	v_sub_u32_e32 v7, 0, v6
	v_ashrrev_i32_e32 v9, 31, v6
	v_mul_f32_e32 v5, 0x4f7ffffe, v5
	v_cvt_u32_f32_e32 v5, v5
	v_max_i32_e32 v10, v6, v7
	s_ashr_i32 s5, s12, 31
	v_mul_lo_u32 v6, s2, v5
	v_mul_hi_u32 v6, v5, v6
	v_add_u32_e32 v5, v5, v6
	v_mad_u64_u32 v[6:7], s[2:3], v10, v5, 0
	v_mul_lo_u32 v6, v7, s4
	v_sub_u32_e32 v6, v10, v6
	v_xor_b32_e32 v5, s5, v9
	v_add_u32_e32 v9, 1, v7
	v_cmp_le_u32_e32 vcc, s4, v6
	v_cndmask_b32_e32 v7, v7, v9, vcc
	v_subrev_u32_e32 v9, s4, v6
	v_cndmask_b32_e32 v6, v6, v9, vcc
	v_add_u32_e32 v9, 1, v7
	v_cmp_le_u32_e32 vcc, s4, v6
	v_cndmask_b32_e32 v6, v7, v9, vcc
	v_xor_b32_e32 v6, v6, v5
	v_sub_u32_e32 v5, v6, v5
	s_add_i32 s2, s12, -1
	v_and_b32_e32 v9, s2, v0
	v_cmp_lt_i32_e32 vcc, 0, v5
	s_mov_b32 s4, 0
	v_mov_b32_e32 v7, 0
	v_mov_b32_e32 v6, 0
	s_and_saveexec_b64 s[2:3], vcc
	s_cbranch_execz .LBB83_191
; %bb.182:
	s_mov_b32 s5, s4
	v_cmp_lt_u32_e32 vcc, 7, v5
	v_pk_mov_b32 v[6:7], s[4:5], s[4:5] op_sel:[0,1]
	v_mov_b32_e32 v10, 0
	s_and_saveexec_b64 s[4:5], vcc
	s_cbranch_execz .LBB83_186
; %bb.183:
	v_add_u32_e32 v6, v8, v9
	v_subrev_u32_e32 v6, s33, v6
	v_lshlrev_b32_e32 v11, 3, v6
	v_mov_b32_e32 v6, 0
	v_and_b32_e32 v10, 0x7ffffff8, v5
	s_lshl_b32 s8, s12, 6
	s_lshl_b32 s9, s12, 3
	s_mov_b32 s13, 0
	s_mov_b64 s[6:7], 0
	v_mov_b32_e32 v7, v6
.LBB83_184:                             ; =>This Inner Loop Header: Depth=1
	ds_read_b64 v[12:13], v11
	v_add_u32_e32 v14, s9, v11
	v_add_u32_e32 v16, s9, v14
	ds_read_b64 v[14:15], v14
	v_add_u32_e32 v18, s9, v16
	ds_read_b64 v[16:17], v16
	;; [unrolled: 2-line block ×3, first 2 shown]
	ds_read_b64 v[20:21], v22
	v_add_u32_e32 v22, s9, v22
	s_waitcnt lgkmcnt(4)
	v_pk_add_f32 v[6:7], v[6:7], v[12:13]
	v_add_u32_e32 v23, s9, v22
	ds_read_b64 v[12:13], v22
	s_waitcnt lgkmcnt(4)
	v_pk_add_f32 v[6:7], v[6:7], v[14:15]
	ds_read_b64 v[14:15], v23
	v_add_u32_e32 v22, s9, v23
	s_waitcnt lgkmcnt(4)
	v_pk_add_f32 v[6:7], v[6:7], v[16:17]
	ds_read_b64 v[16:17], v22
	s_waitcnt lgkmcnt(4)
	v_pk_add_f32 v[6:7], v[6:7], v[18:19]
	s_waitcnt lgkmcnt(3)
	v_pk_add_f32 v[6:7], v[6:7], v[20:21]
	s_add_i32 s13, s13, 8
	s_waitcnt lgkmcnt(2)
	v_pk_add_f32 v[6:7], v[6:7], v[12:13]
	v_cmp_eq_u32_e32 vcc, s13, v10
	s_waitcnt lgkmcnt(1)
	v_pk_add_f32 v[6:7], v[6:7], v[14:15]
	v_add_u32_e32 v11, s8, v11
	s_or_b64 s[6:7], vcc, s[6:7]
	s_waitcnt lgkmcnt(0)
	v_pk_add_f32 v[6:7], v[6:7], v[16:17]
	s_andn2_b64 exec, exec, s[6:7]
	s_cbranch_execnz .LBB83_184
; %bb.185:
	s_or_b64 exec, exec, s[6:7]
.LBB83_186:
	s_or_b64 exec, exec, s[4:5]
	v_and_b32_e32 v11, 7, v5
	v_cmp_ne_u32_e32 vcc, 0, v11
	s_and_saveexec_b64 s[4:5], vcc
	s_cbranch_execz .LBB83_190
; %bb.187:
	v_mul_lo_u32 v10, v10, s12
	v_add3_u32 v8, v8, v9, v10
	v_subrev_u32_e32 v8, s33, v8
	v_lshlrev_b32_e32 v8, 3, v8
	s_lshl_b32 s8, s12, 3
	s_mov_b64 s[6:7], 0
.LBB83_188:                             ; =>This Inner Loop Header: Depth=1
	ds_read_b64 v[12:13], v8
	v_add_u32_e32 v11, -1, v11
	v_cmp_eq_u32_e32 vcc, 0, v11
	v_add_u32_e32 v8, s8, v8
	s_or_b64 s[6:7], vcc, s[6:7]
	s_waitcnt lgkmcnt(0)
	v_pk_add_f32 v[6:7], v[6:7], v[12:13]
	s_andn2_b64 exec, exec, s[6:7]
	s_cbranch_execnz .LBB83_188
; %bb.189:
	s_or_b64 exec, exec, s[6:7]
.LBB83_190:
	s_or_b64 exec, exec, s[4:5]
.LBB83_191:
	s_or_b64 exec, exec, s[2:3]
	v_mad_u64_u32 v[4:5], s[2:3], v5, s12, v[4:5]
	v_sub_u32_e32 v3, v3, v4
	v_cmp_lt_i32_e32 vcc, v9, v3
	s_and_saveexec_b64 s[2:3], vcc
	s_cbranch_execz .LBB83_193
; %bb.192:
	v_add_lshl_u32 v3, v4, v9, 3
	ds_read_b64 v[4:5], v3
	s_waitcnt lgkmcnt(0)
	v_pk_add_f32 v[6:7], v[6:7], v[4:5]
.LBB83_193:
	s_or_b64 exec, exec, s[2:3]
.LBB83_194:
	s_or_b64 exec, exec, s[0:1]
	v_cmp_gt_i32_e32 vcc, s27, v0
	s_barrier
	ds_write_b64 v1, v[6:7]
	s_waitcnt lgkmcnt(0)
	s_barrier
	s_and_b64 exec, exec, vcc
	s_cbranch_execz .LBB83_206
; %bb.195:
	v_mul_lo_u32 v1, s12, v0
	s_mov_b32 s0, 0
	s_cmp_lt_u32 s12, 8
	s_cbranch_scc1 .LBB83_198
; %bb.196:
	v_mov_b32_e32 v4, 0
	s_and_b32 s0, s12, 0x7ffffff8
	v_lshlrev_b32_e32 v3, 3, v1
	s_mov_b32 s1, 0
	v_mov_b32_e32 v5, v4
.LBB83_197:                             ; =>This Inner Loop Header: Depth=1
	s_waitcnt vmcnt(0)
	ds_read2_b64 v[6:9], v3 offset1:1
	ds_read2_b64 v[10:13], v3 offset0:2 offset1:3
	ds_read2_b64 v[14:17], v3 offset0:4 offset1:5
	;; [unrolled: 1-line block ×3, first 2 shown]
	s_add_i32 s1, s1, 8
	s_waitcnt lgkmcnt(3)
	v_pk_add_f32 v[4:5], v[4:5], v[6:7]
	v_pk_add_f32 v[4:5], v[4:5], v[8:9]
	s_waitcnt lgkmcnt(2)
	v_pk_add_f32 v[4:5], v[4:5], v[10:11]
	v_pk_add_f32 v[4:5], v[4:5], v[12:13]
	;; [unrolled: 3-line block ×3, first 2 shown]
	s_waitcnt lgkmcnt(0)
	v_pk_add_f32 v[4:5], v[4:5], v[18:19]
	v_add_u32_e32 v3, 64, v3
	s_cmp_eq_u32 s0, s1
	v_pk_add_f32 v[4:5], v[4:5], v[20:21]
	s_cbranch_scc0 .LBB83_197
	s_branch .LBB83_199
.LBB83_198:
	s_mov_b32 s1, s0
	v_pk_mov_b32 v[4:5], s[0:1], s[0:1] op_sel:[0,1]
.LBB83_199:
	s_bfe_u32 s1, s11, 0x30001
	s_cmp_eq_u32 s1, 0
	s_cbranch_scc1 .LBB83_202
; %bb.200:
	v_add_lshl_u32 v1, s0, v1, 3
.LBB83_201:                             ; =>This Inner Loop Header: Depth=1
	ds_read_b64 v[6:7], v1
	s_add_i32 s1, s1, -1
	v_add_u32_e32 v1, 8, v1
	s_cmp_lg_u32 s1, 0
	s_waitcnt lgkmcnt(0)
	v_pk_add_f32 v[4:5], v[4:5], v[6:7]
	s_cbranch_scc1 .LBB83_201
.LBB83_202:
	v_ashrrev_i32_e32 v3, 31, v2
	v_lshlrev_b64 v[2:3], 3, v[2:3]
	v_mov_b32_e32 v1, s15
	v_add_co_u32_e32 v2, vcc, s14, v2
	v_addc_co_u32_e32 v3, vcc, v1, v3, vcc
	global_load_dword v7, v[2:3], off
	s_lshl_b32 s0, s10, 3
	s_addk_i32 s0, 0x2000
	v_lshl_add_u32 v0, v0, 3, s0
	ds_read2_b32 v[0:1], v0 offset1:1
	s_mov_b64 s[0:1], 0
	s_waitcnt lgkmcnt(0)
	v_add_f32_e32 v0, v4, v0
.LBB83_203:                             ; =>This Inner Loop Header: Depth=1
	s_waitcnt vmcnt(0)
	v_add_f32_e32 v6, v7, v0
	global_atomic_cmpswap v4, v[2:3], v[6:7], off glc
	s_waitcnt vmcnt(0)
	v_cmp_eq_u32_e32 vcc, v4, v7
	s_or_b64 s[0:1], vcc, s[0:1]
	v_mov_b32_e32 v7, v4
	s_andn2_b64 exec, exec, s[0:1]
	s_cbranch_execnz .LBB83_203
; %bb.204:
	s_or_b64 exec, exec, s[0:1]
	global_load_dword v7, v[2:3], off offset:4
	v_add_f32_e32 v0, v5, v1
	s_mov_b64 s[0:1], 0
.LBB83_205:                             ; =>This Inner Loop Header: Depth=1
	s_waitcnt vmcnt(0)
	v_add_f32_e32 v6, v7, v0
	global_atomic_cmpswap v1, v[2:3], v[6:7], off offset:4 glc
	s_waitcnt vmcnt(0)
	v_cmp_eq_u32_e32 vcc, v1, v7
	s_or_b64 s[0:1], vcc, s[0:1]
	v_mov_b32_e32 v7, v1
	s_andn2_b64 exec, exec, s[0:1]
	s_cbranch_execnz .LBB83_205
.LBB83_206:
	s_endpgm
	.section	.rodata,"a",@progbits
	.p2align	6, 0x0
	.amdhsa_kernel _ZN9rocsparseL27csrmvn_symm_adaptive_kernelIiif21rocsparse_complex_numIfES2_S2_EEvbT_S3_PKS3_NS_24const_host_device_scalarIT4_EES5_PKT0_PKT1_PKT2_S8_PT3_21rocsparse_index_base_b
		.amdhsa_group_segment_fixed_size 8192
		.amdhsa_private_segment_fixed_size 0
		.amdhsa_kernarg_size 344
		.amdhsa_user_sgpr_count 6
		.amdhsa_user_sgpr_private_segment_buffer 1
		.amdhsa_user_sgpr_dispatch_ptr 0
		.amdhsa_user_sgpr_queue_ptr 0
		.amdhsa_user_sgpr_kernarg_segment_ptr 1
		.amdhsa_user_sgpr_dispatch_id 0
		.amdhsa_user_sgpr_flat_scratch_init 0
		.amdhsa_user_sgpr_kernarg_preload_length 0
		.amdhsa_user_sgpr_kernarg_preload_offset 0
		.amdhsa_user_sgpr_private_segment_size 0
		.amdhsa_uses_dynamic_stack 0
		.amdhsa_system_sgpr_private_segment_wavefront_offset 0
		.amdhsa_system_sgpr_workgroup_id_x 1
		.amdhsa_system_sgpr_workgroup_id_y 0
		.amdhsa_system_sgpr_workgroup_id_z 0
		.amdhsa_system_sgpr_workgroup_info 0
		.amdhsa_system_vgpr_workitem_id 0
		.amdhsa_next_free_vgpr 48
		.amdhsa_next_free_sgpr 47
		.amdhsa_accum_offset 48
		.amdhsa_reserve_vcc 1
		.amdhsa_reserve_flat_scratch 0
		.amdhsa_float_round_mode_32 0
		.amdhsa_float_round_mode_16_64 0
		.amdhsa_float_denorm_mode_32 3
		.amdhsa_float_denorm_mode_16_64 3
		.amdhsa_dx10_clamp 1
		.amdhsa_ieee_mode 1
		.amdhsa_fp16_overflow 0
		.amdhsa_tg_split 0
		.amdhsa_exception_fp_ieee_invalid_op 0
		.amdhsa_exception_fp_denorm_src 0
		.amdhsa_exception_fp_ieee_div_zero 0
		.amdhsa_exception_fp_ieee_overflow 0
		.amdhsa_exception_fp_ieee_underflow 0
		.amdhsa_exception_fp_ieee_inexact 0
		.amdhsa_exception_int_div_zero 0
	.end_amdhsa_kernel
	.section	.text._ZN9rocsparseL27csrmvn_symm_adaptive_kernelIiif21rocsparse_complex_numIfES2_S2_EEvbT_S3_PKS3_NS_24const_host_device_scalarIT4_EES5_PKT0_PKT1_PKT2_S8_PT3_21rocsparse_index_base_b,"axG",@progbits,_ZN9rocsparseL27csrmvn_symm_adaptive_kernelIiif21rocsparse_complex_numIfES2_S2_EEvbT_S3_PKS3_NS_24const_host_device_scalarIT4_EES5_PKT0_PKT1_PKT2_S8_PT3_21rocsparse_index_base_b,comdat
.Lfunc_end83:
	.size	_ZN9rocsparseL27csrmvn_symm_adaptive_kernelIiif21rocsparse_complex_numIfES2_S2_EEvbT_S3_PKS3_NS_24const_host_device_scalarIT4_EES5_PKT0_PKT1_PKT2_S8_PT3_21rocsparse_index_base_b, .Lfunc_end83-_ZN9rocsparseL27csrmvn_symm_adaptive_kernelIiif21rocsparse_complex_numIfES2_S2_EEvbT_S3_PKS3_NS_24const_host_device_scalarIT4_EES5_PKT0_PKT1_PKT2_S8_PT3_21rocsparse_index_base_b
                                        ; -- End function
	.section	.AMDGPU.csdata,"",@progbits
; Kernel info:
; codeLenInByte = 9060
; NumSgprs: 51
; NumVgprs: 48
; NumAgprs: 0
; TotalNumVgprs: 48
; ScratchSize: 0
; MemoryBound: 0
; FloatMode: 240
; IeeeMode: 1
; LDSByteSize: 8192 bytes/workgroup (compile time only)
; SGPRBlocks: 6
; VGPRBlocks: 5
; NumSGPRsForWavesPerEU: 51
; NumVGPRsForWavesPerEU: 48
; AccumOffset: 48
; Occupancy: 8
; WaveLimiterHint : 1
; COMPUTE_PGM_RSRC2:SCRATCH_EN: 0
; COMPUTE_PGM_RSRC2:USER_SGPR: 6
; COMPUTE_PGM_RSRC2:TRAP_HANDLER: 0
; COMPUTE_PGM_RSRC2:TGID_X_EN: 1
; COMPUTE_PGM_RSRC2:TGID_Y_EN: 0
; COMPUTE_PGM_RSRC2:TGID_Z_EN: 0
; COMPUTE_PGM_RSRC2:TIDIG_COMP_CNT: 0
; COMPUTE_PGM_RSRC3_GFX90A:ACCUM_OFFSET: 11
; COMPUTE_PGM_RSRC3_GFX90A:TG_SPLIT: 0
	.section	.text._ZL33csrmvn_symm_large_adaptive_kernelIiif21rocsparse_complex_numIfES1_S1_EvbT_PKS2_N9rocsparse24const_host_device_scalarIT4_EES4_PKT0_PKT1_PKT2_S8_PT3_21rocsparse_index_base_b,"axG",@progbits,_ZL33csrmvn_symm_large_adaptive_kernelIiif21rocsparse_complex_numIfES1_S1_EvbT_PKS2_N9rocsparse24const_host_device_scalarIT4_EES4_PKT0_PKT1_PKT2_S8_PT3_21rocsparse_index_base_b,comdat
	.globl	_ZL33csrmvn_symm_large_adaptive_kernelIiif21rocsparse_complex_numIfES1_S1_EvbT_PKS2_N9rocsparse24const_host_device_scalarIT4_EES4_PKT0_PKT1_PKT2_S8_PT3_21rocsparse_index_base_b ; -- Begin function _ZL33csrmvn_symm_large_adaptive_kernelIiif21rocsparse_complex_numIfES1_S1_EvbT_PKS2_N9rocsparse24const_host_device_scalarIT4_EES4_PKT0_PKT1_PKT2_S8_PT3_21rocsparse_index_base_b
	.p2align	8
	.type	_ZL33csrmvn_symm_large_adaptive_kernelIiif21rocsparse_complex_numIfES1_S1_EvbT_PKS2_N9rocsparse24const_host_device_scalarIT4_EES4_PKT0_PKT1_PKT2_S8_PT3_21rocsparse_index_base_b,@function
_ZL33csrmvn_symm_large_adaptive_kernelIiif21rocsparse_complex_numIfES1_S1_EvbT_PKS2_N9rocsparse24const_host_device_scalarIT4_EES4_PKT0_PKT1_PKT2_S8_PT3_21rocsparse_index_base_b: ; @_ZL33csrmvn_symm_large_adaptive_kernelIiif21rocsparse_complex_numIfES1_S1_EvbT_PKS2_N9rocsparse24const_host_device_scalarIT4_EES4_PKT0_PKT1_PKT2_S8_PT3_21rocsparse_index_base_b
; %bb.0:
	s_load_dwordx2 s[20:21], s[4:5], 0x48
	s_load_dwordx2 s[8:9], s[4:5], 0x10
	s_load_dwordx2 s[2:3], s[4:5], 0x38
	s_waitcnt lgkmcnt(0)
	s_bitcmp1_b32 s21, 0
	s_cselect_b64 s[0:1], -1, 0
	s_xor_b64 s[10:11], s[0:1], -1
	s_and_b64 vcc, exec, s[0:1]
	v_mov_b32_e32 v12, s8
	s_cbranch_vccnz .LBB84_2
; %bb.1:
	v_pk_mov_b32 v[2:3], s[8:9], s[8:9] op_sel:[0,1]
	flat_load_dword v12, v[2:3]
.LBB84_2:
	v_cndmask_b32_e64 v1, 0, 1, s[10:11]
	v_cmp_ne_u32_e64 s[0:1], 1, v1
	s_andn2_b64 vcc, exec, s[10:11]
	v_mov_b32_e32 v13, s9
	s_cbranch_vccz .LBB84_11
; %bb.3:
	s_and_b64 vcc, exec, s[0:1]
	v_mov_b32_e32 v1, s2
	s_cbranch_vccz .LBB84_12
.LBB84_4:
	s_and_b64 vcc, exec, s[0:1]
	v_mov_b32_e32 v2, s3
	s_cbranch_vccnz .LBB84_6
.LBB84_5:
	v_pk_mov_b32 v[2:3], s[2:3], s[2:3] op_sel:[0,1]
	flat_load_dword v2, v[2:3] offset:4
.LBB84_6:
	s_waitcnt vmcnt(0) lgkmcnt(0)
	v_cmp_eq_f32_e32 vcc, 0, v12
	v_cmp_eq_f32_e64 s[0:1], 0, v13
	s_and_b64 s[8:9], vcc, s[0:1]
	s_mov_b64 s[0:1], -1
	s_and_saveexec_b64 s[2:3], s[8:9]
; %bb.7:
	v_cmp_neq_f32_e32 vcc, 1.0, v1
	v_and_b32_e32 v1, 0x7fffffff, v2
	v_cmp_ne_u32_e64 s[0:1], 0, v1
	s_or_b64 s[0:1], vcc, s[0:1]
	s_orn2_b64 s[0:1], s[0:1], exec
; %bb.8:
	s_or_b64 exec, exec, s[2:3]
	s_and_saveexec_b64 s[2:3], s[0:1]
	s_cbranch_execz .LBB84_55
; %bb.9:
	s_load_dwordx2 s[0:1], s[4:5], 0x8
	s_mov_b32 s2, 0
	s_mov_b32 s3, s2
	s_ashr_i32 s7, s6, 31
	v_pk_mov_b32 v[2:3], s[2:3], s[2:3] op_sel:[0,1]
	s_lshl_b64 s[2:3], s[6:7], 2
	s_waitcnt lgkmcnt(0)
	s_add_u32 s0, s0, s2
	v_lshlrev_b32_e32 v14, 3, v0
	s_addc_u32 s1, s1, s3
	ds_write2st64_b64 v14, v[2:3], v[2:3] offset1:4
	ds_write2st64_b64 v14, v[2:3], v[2:3] offset0:8 offset1:12
	s_waitcnt lgkmcnt(0)
	s_barrier
	s_load_dwordx2 s[22:23], s[0:1], 0x0
	s_load_dwordx8 s[12:19], s[4:5], 0x18
	s_load_dwordx2 s[24:25], s[4:5], 0x40
	s_waitcnt lgkmcnt(0)
	s_cmp_lt_i32 s22, s23
	s_cbranch_scc1 .LBB84_13
; %bb.10:
	s_ashr_i32 s1, s22, 31
	s_mov_b32 s0, s22
	s_lshl_b64 s[0:1], s[0:1], 2
	s_add_u32 s0, s12, s0
	s_addc_u32 s1, s13, s1
	s_load_dword s21, s[0:1], 0x0
	v_subrev_u32_e32 v15, s20, v0
	s_cbranch_execz .LBB84_14
	s_branch .LBB84_43
.LBB84_11:
	v_pk_mov_b32 v[2:3], s[8:9], s[8:9] op_sel:[0,1]
	flat_load_dword v13, v[2:3] offset:4
	s_and_b64 vcc, exec, s[0:1]
	v_mov_b32_e32 v1, s2
	s_cbranch_vccnz .LBB84_4
.LBB84_12:
	v_pk_mov_b32 v[2:3], s[2:3], s[2:3] op_sel:[0,1]
	flat_load_dword v1, v[2:3]
	s_and_b64 vcc, exec, s[0:1]
	v_mov_b32_e32 v2, s3
	s_cbranch_vccz .LBB84_5
	s_branch .LBB84_6
.LBB84_13:
                                        ; implicit-def: $sgpr21
	v_subrev_u32_e32 v15, s20, v0
.LBB84_14:
	s_ashr_i32 s11, s22, 31
	s_mov_b32 s10, s22
	s_lshl_b64 s[10:11], s[10:11], 2
	s_add_u32 s10, s12, s10
	s_addc_u32 s11, s13, s11
	s_waitcnt lgkmcnt(0)
	s_load_dword s21, s[10:11], 0x0
	s_movk_i32 s0, 0x100
	s_add_u32 s33, s12, 4
	v_cmp_gt_u32_e64 s[0:1], s0, v0
	v_cmp_gt_u32_e64 s[2:3], 64, v0
	;; [unrolled: 1-line block ×4, first 2 shown]
	v_cmp_eq_u32_e64 s[8:9], 0, v0
	s_addc_u32 s36, s13, 0
	v_mov_b32_e32 v16, s19
	v_mov_b32_e32 v1, 0
	v_bfrev_b32_e32 v2, 1
	s_waitcnt lgkmcnt(0)
	s_mov_b32 s37, s21
	s_mov_b32 s26, s22
	s_branch .LBB84_16
.LBB84_15:                              ;   in Loop: Header=BB84_16 Depth=1
	s_or_b64 exec, exec, s[10:11]
	s_add_i32 s26, s26, 1
	s_cmp_ge_i32 s26, s23
	s_cbranch_scc1 .LBB84_43
.LBB84_16:                              ; =>This Loop Header: Depth=1
                                        ;     Child Loop BB84_18 Depth 2
                                        ;     Child Loop BB84_32 Depth 2
	;; [unrolled: 1-line block ×5, first 2 shown]
	s_ashr_i32 s27, s26, 31
	s_lshl_b64 s[10:11], s[26:27], 2
	s_add_u32 s10, s33, s10
	s_addc_u32 s11, s36, s11
	s_mov_b32 s28, s37
	s_load_dword s37, s[10:11], 0x0
	v_add_u32_e32 v4, s28, v15
	v_mov_b32_e32 v7, v1
	v_mov_b32_e32 v6, v1
	s_waitcnt lgkmcnt(0)
	s_sub_i32 s34, s37, s20
	v_cmp_gt_i32_e32 vcc, s34, v4
	s_and_saveexec_b64 s[28:29], vcc
	s_cbranch_execz .LBB84_20
; %bb.17:                               ;   in Loop: Header=BB84_16 Depth=1
	v_ashrrev_i32_e32 v5, 31, v4
	v_lshlrev_b64 v[6:7], 2, v[4:5]
	v_mov_b32_e32 v0, s15
	v_add_co_u32_e32 v8, vcc, s14, v6
	v_addc_co_u32_e32 v9, vcc, v0, v7, vcc
	v_mov_b32_e32 v0, s17
	v_add_co_u32_e32 v10, vcc, s16, v6
	v_mov_b32_e32 v6, 0
	v_addc_co_u32_e32 v11, vcc, v0, v7, vcc
	s_mov_b64 s[30:31], 0
	v_mov_b32_e32 v7, v6
.LBB84_18:                              ;   Parent Loop BB84_16 Depth=1
                                        ; =>  This Inner Loop Header: Depth=2
	global_load_dword v3, v[8:9], off
	global_load_dword v0, v[10:11], off
	v_add_u32_e32 v4, 0x100, v4
	v_cmp_le_i32_e64 s[10:11], s34, v4
	s_or_b64 s[30:31], s[10:11], s[30:31]
	s_waitcnt vmcnt(1)
	v_subrev_u32_e32 v18, s20, v3
	v_ashrrev_i32_e32 v19, 31, v18
	v_lshlrev_b64 v[18:19], 3, v[18:19]
	v_add_co_u32_e32 v18, vcc, s18, v18
	v_addc_co_u32_e32 v19, vcc, v16, v19, vcc
	global_load_dwordx2 v[18:19], v[18:19], off
	v_add_co_u32_e32 v8, vcc, 0x400, v8
	v_addc_co_u32_e32 v9, vcc, 0, v9, vcc
	v_add_co_u32_e32 v10, vcc, 0x400, v10
	s_waitcnt vmcnt(1)
	v_mov_b32_e32 v3, v0
	v_addc_co_u32_e32 v11, vcc, 0, v11, vcc
	s_waitcnt vmcnt(0)
	v_pk_fma_f32 v[6:7], v[18:19], v[0:1], v[6:7] op_sel_hi:[0,1,1]
	v_pk_fma_f32 v[6:7], v[18:19], v[2:3], v[6:7] op_sel:[1,0,0]
	s_andn2_b64 exec, exec, s[30:31]
	s_cbranch_execnz .LBB84_18
; %bb.19:                               ;   in Loop: Header=BB84_16 Depth=1
	s_or_b64 exec, exec, s[30:31]
.LBB84_20:                              ;   in Loop: Header=BB84_16 Depth=1
	s_or_b64 exec, exec, s[28:29]
	ds_write_b64 v14, v[6:7]
	s_waitcnt lgkmcnt(0)
	s_barrier
	s_and_saveexec_b64 s[10:11], s[0:1]
	s_cbranch_execz .LBB84_22
; %bb.21:                               ;   in Loop: Header=BB84_16 Depth=1
	ds_read2st64_b64 v[4:7], v14 offset1:4
	ds_read2st64_b64 v[8:11], v14 offset0:8 offset1:12
	s_waitcnt lgkmcnt(0)
	v_pk_add_f32 v[6:7], v[8:9], v[6:7]
	v_pk_add_f32 v[6:7], v[6:7], v[10:11]
	v_pk_add_f32 v[4:5], v[6:7], v[4:5]
	ds_write_b64 v14, v[4:5]
.LBB84_22:                              ;   in Loop: Header=BB84_16 Depth=1
	s_or_b64 exec, exec, s[10:11]
	s_waitcnt lgkmcnt(0)
	s_barrier
	s_and_saveexec_b64 s[10:11], s[2:3]
	s_cbranch_execz .LBB84_24
; %bb.23:                               ;   in Loop: Header=BB84_16 Depth=1
	ds_read2st64_b64 v[4:7], v14 offset1:1
	ds_read2st64_b64 v[8:11], v14 offset0:2 offset1:3
	s_waitcnt lgkmcnt(0)
	v_pk_add_f32 v[6:7], v[8:9], v[6:7]
	v_pk_add_f32 v[6:7], v[6:7], v[10:11]
	;; [unrolled: 1-line block ×3, first 2 shown]
	ds_write_b64 v14, v[4:5]
.LBB84_24:                              ;   in Loop: Header=BB84_16 Depth=1
	s_or_b64 exec, exec, s[10:11]
	s_waitcnt lgkmcnt(0)
	s_barrier
	s_and_saveexec_b64 s[10:11], s[4:5]
	s_cbranch_execz .LBB84_26
; %bb.25:                               ;   in Loop: Header=BB84_16 Depth=1
	ds_read2_b64 v[4:7], v14 offset1:16
	ds_read2_b64 v[8:11], v14 offset0:32 offset1:48
	s_waitcnt lgkmcnt(0)
	v_pk_add_f32 v[6:7], v[8:9], v[6:7]
	v_pk_add_f32 v[6:7], v[6:7], v[10:11]
	;; [unrolled: 1-line block ×3, first 2 shown]
	ds_write_b64 v14, v[4:5]
.LBB84_26:                              ;   in Loop: Header=BB84_16 Depth=1
	s_or_b64 exec, exec, s[10:11]
	s_waitcnt lgkmcnt(0)
	s_barrier
	s_and_saveexec_b64 s[10:11], s[6:7]
	s_cbranch_execz .LBB84_28
; %bb.27:                               ;   in Loop: Header=BB84_16 Depth=1
	ds_read2_b64 v[4:7], v14 offset1:4
	ds_read2_b64 v[8:11], v14 offset0:8 offset1:12
	s_waitcnt lgkmcnt(0)
	v_pk_add_f32 v[6:7], v[8:9], v[6:7]
	v_pk_add_f32 v[6:7], v[6:7], v[10:11]
	;; [unrolled: 1-line block ×3, first 2 shown]
	ds_write_b64 v14, v[4:5]
.LBB84_28:                              ;   in Loop: Header=BB84_16 Depth=1
	s_or_b64 exec, exec, s[10:11]
	s_waitcnt lgkmcnt(0)
	s_barrier
	s_and_saveexec_b64 s[10:11], s[8:9]
	s_cbranch_execz .LBB84_30
; %bb.29:                               ;   in Loop: Header=BB84_16 Depth=1
	ds_read_b128 v[4:7], v1 offset:16
	ds_read_b64 v[8:9], v1 offset:8
	ds_read_b64 v[10:11], v14
	s_waitcnt lgkmcnt(1)
	v_pk_add_f32 v[4:5], v[4:5], v[8:9]
	v_pk_add_f32 v[4:5], v[4:5], v[6:7]
	s_waitcnt lgkmcnt(0)
	v_pk_add_f32 v[4:5], v[4:5], v[10:11]
	ds_write_b64 v14, v[4:5]
.LBB84_30:                              ;   in Loop: Header=BB84_16 Depth=1
	s_or_b64 exec, exec, s[10:11]
	s_waitcnt lgkmcnt(0)
	s_barrier
	s_and_saveexec_b64 s[10:11], s[8:9]
	s_cbranch_execz .LBB84_15
; %bb.31:                               ;   in Loop: Header=BB84_16 Depth=1
	ds_read_b64 v[4:5], v1
	s_mov_b64 s[28:29], exec
	v_bfrev_b32_e32 v0, 1
	s_waitcnt lgkmcnt(0)
	v_mul_f32_e64 v3, v5, -v13
	v_fmac_f32_e32 v3, v12, v4
.LBB84_32:                              ;   Parent Loop BB84_16 Depth=1
                                        ; =>  This Inner Loop Header: Depth=2
	s_ff1_i32_b64 s30, s[28:29]
	v_readlane_b32 s34, v3, s30
	s_lshl_b64 s[30:31], 1, s30
	s_andn2_b64 s[28:29], s[28:29], s[30:31]
	s_cmp_lg_u64 s[28:29], 0
	v_add_f32_e32 v0, s34, v0
	s_cbranch_scc1 .LBB84_32
; %bb.33:                               ;   in Loop: Header=BB84_16 Depth=1
	s_lshl_b64 s[28:29], s[26:27], 3
	v_mbcnt_lo_u32_b32 v3, exec_lo, 0
	s_add_u32 s28, s24, s28
	v_mbcnt_hi_u32_b32 v3, exec_hi, v3
	s_addc_u32 s29, s25, s29
	v_cmp_eq_u32_e32 vcc, 0, v3
	s_and_saveexec_b64 s[30:31], vcc
	s_xor_b64 s[30:31], exec, s[30:31]
	s_cbranch_execz .LBB84_37
; %bb.34:                               ;   in Loop: Header=BB84_16 Depth=1
	global_load_dword v7, v1, s[28:29]
	s_mov_b64 s[34:35], 0
.LBB84_35:                              ;   Parent Loop BB84_16 Depth=1
                                        ; =>  This Inner Loop Header: Depth=2
	s_waitcnt vmcnt(0)
	v_add_f32_e32 v6, v7, v0
	global_atomic_cmpswap v3, v1, v[6:7], s[28:29] glc
	s_waitcnt vmcnt(0)
	v_cmp_eq_u32_e32 vcc, v3, v7
	s_or_b64 s[34:35], vcc, s[34:35]
	v_mov_b32_e32 v7, v3
	s_andn2_b64 exec, exec, s[34:35]
	s_cbranch_execnz .LBB84_35
; %bb.36:                               ;   in Loop: Header=BB84_16 Depth=1
	s_or_b64 exec, exec, s[34:35]
.LBB84_37:                              ;   in Loop: Header=BB84_16 Depth=1
	s_or_b64 exec, exec, s[30:31]
	v_mul_f32_e32 v3, v5, v12
	s_mov_b64 s[30:31], exec
	v_fmac_f32_e32 v3, v13, v4
	v_bfrev_b32_e32 v0, 1
.LBB84_38:                              ;   Parent Loop BB84_16 Depth=1
                                        ; =>  This Inner Loop Header: Depth=2
	s_ff1_i32_b64 s27, s[30:31]
	s_lshl_b64 s[34:35], 1, s27
	v_readlane_b32 s38, v3, s27
	s_andn2_b64 s[30:31], s[30:31], s[34:35]
	s_cmp_lg_u64 s[30:31], 0
	v_add_f32_e32 v0, s38, v0
	s_cbranch_scc1 .LBB84_38
; %bb.39:                               ;   in Loop: Header=BB84_16 Depth=1
	v_mbcnt_lo_u32_b32 v3, exec_lo, 0
	v_mbcnt_hi_u32_b32 v3, exec_hi, v3
	v_cmp_eq_u32_e32 vcc, 0, v3
	s_and_saveexec_b64 s[30:31], vcc
	s_xor_b64 s[30:31], exec, s[30:31]
	s_cbranch_execz .LBB84_15
; %bb.40:                               ;   in Loop: Header=BB84_16 Depth=1
	global_load_dword v5, v1, s[28:29] offset:4
	s_mov_b64 s[30:31], 0
.LBB84_41:                              ;   Parent Loop BB84_16 Depth=1
                                        ; =>  This Inner Loop Header: Depth=2
	s_waitcnt vmcnt(0)
	v_add_f32_e32 v4, v5, v0
	global_atomic_cmpswap v3, v1, v[4:5], s[28:29] offset:4 glc
	s_waitcnt vmcnt(0)
	v_cmp_eq_u32_e32 vcc, v3, v5
	s_or_b64 s[30:31], vcc, s[30:31]
	v_mov_b32_e32 v5, v3
	s_andn2_b64 exec, exec, s[30:31]
	s_cbranch_execnz .LBB84_41
; %bb.42:                               ;   in Loop: Header=BB84_16 Depth=1
	s_or_b64 exec, exec, s[30:31]
	s_branch .LBB84_15
.LBB84_43:
	s_ashr_i32 s1, s23, 31
	s_mov_b32 s0, s23
	s_lshl_b64 s[0:1], s[0:1], 2
	s_add_u32 s0, s12, s0
	s_addc_u32 s1, s13, s1
	s_load_dword s0, s[0:1], 0x0
	s_waitcnt lgkmcnt(0)
	v_add_u32_e32 v0, s21, v15
	s_sub_i32 s8, s0, s20
	v_cmp_gt_i32_e32 vcc, s8, v0
	s_and_b64 exec, exec, vcc
	s_cbranch_execz .LBB84_55
; %bb.44:
	s_add_i32 s9, s23, -1
	s_cmp_gt_i32 s9, s22
	s_cselect_b64 s[0:1], -1, 0
	s_add_i32 s2, s23, -2
	s_cmp_lg_u32 s2, s22
	s_cselect_b64 s[2:3], -1, 0
	s_and_b64 s[0:1], s[0:1], s[2:3]
	v_cndmask_b32_e64 v1, 0, 1, s[0:1]
	v_mul_f32_e32 v8, 0x80000000, v13
	v_mul_f32_e32 v9, 0, v12
	s_mov_b64 s[4:5], 0
	v_cmp_ne_u32_e64 s[0:1], 1, v1
	v_mov_b32_e32 v10, s13
	v_mov_b32_e32 v11, s15
	s_branch .LBB84_46
.LBB84_45:                              ;   in Loop: Header=BB84_46 Depth=1
	s_or_b64 exec, exec, s[2:3]
	v_add_u32_e32 v0, 0x100, v0
	v_cmp_le_i32_e32 vcc, s8, v0
	s_or_b64 s[4:5], vcc, s[4:5]
	s_andn2_b64 exec, exec, s[4:5]
	s_cbranch_execz .LBB84_55
.LBB84_46:                              ; =>This Loop Header: Depth=1
                                        ;     Child Loop BB84_48 Depth 2
                                        ;     Child Loop BB84_52 Depth 2
	;; [unrolled: 1-line block ×3, first 2 shown]
	s_and_b64 vcc, exec, s[0:1]
	v_mov_b32_e32 v6, s22
	v_mov_b32_e32 v2, s9
	s_cbranch_vccnz .LBB84_50
; %bb.47:                               ;   in Loop: Header=BB84_46 Depth=1
	s_mov_b64 s[6:7], 0
	v_mov_b32_e32 v6, s22
	v_mov_b32_e32 v2, s9
.LBB84_48:                              ;   Parent Loop BB84_46 Depth=1
                                        ; =>  This Inner Loop Header: Depth=2
	v_add_u32_e32 v1, v2, v6
	v_lshrrev_b32_e32 v4, 31, v1
	v_add_u32_e32 v1, v1, v4
	v_ashrrev_i32_e32 v4, 1, v1
	v_ashrrev_i32_e32 v5, 31, v4
	v_lshlrev_b64 v[14:15], 2, v[4:5]
	v_mov_b32_e32 v3, s13
	v_add_co_u32_e32 v14, vcc, s12, v14
	v_addc_co_u32_e32 v15, vcc, v3, v15, vcc
	global_load_dword v1, v[14:15], off
	s_waitcnt vmcnt(0)
	v_subrev_u32_e32 v1, s20, v1
	v_cmp_gt_i32_e32 vcc, v1, v0
	v_cndmask_b32_e32 v2, v2, v4, vcc
	v_cndmask_b32_e32 v6, v4, v6, vcc
	v_add_u32_e32 v1, -1, v2
	v_cmp_ge_i32_e32 vcc, v6, v2
	v_cmp_eq_u32_e64 s[2:3], v6, v1
	s_or_b64 s[2:3], vcc, s[2:3]
	s_and_b64 s[2:3], exec, s[2:3]
	s_or_b64 s[6:7], s[2:3], s[6:7]
	s_andn2_b64 exec, exec, s[6:7]
	s_cbranch_execnz .LBB84_48
; %bb.49:                               ;   in Loop: Header=BB84_46 Depth=1
	s_or_b64 exec, exec, s[6:7]
.LBB84_50:                              ;   in Loop: Header=BB84_46 Depth=1
	v_ashrrev_i32_e32 v3, 31, v2
	v_lshlrev_b64 v[4:5], 2, v[2:3]
	v_add_co_u32_e32 v4, vcc, s12, v4
	v_addc_co_u32_e32 v5, vcc, v10, v5, vcc
	v_ashrrev_i32_e32 v1, 31, v0
	global_load_dword v3, v[4:5], off
	v_lshlrev_b64 v[4:5], 2, v[0:1]
	v_add_co_u32_e32 v14, vcc, s14, v4
	v_addc_co_u32_e32 v15, vcc, v11, v5, vcc
	global_load_dword v1, v[14:15], off
	s_waitcnt vmcnt(1)
	v_subrev_u32_e32 v3, s20, v3
	v_cmp_gt_i32_e32 vcc, v3, v0
	v_cndmask_b32_e32 v2, v2, v6, vcc
	s_waitcnt vmcnt(0)
	v_subrev_u32_e32 v6, s20, v1
	v_cmp_ne_u32_e32 vcc, v6, v2
	s_and_saveexec_b64 s[2:3], vcc
	s_cbranch_execz .LBB84_45
; %bb.51:                               ;   in Loop: Header=BB84_46 Depth=1
	v_mov_b32_e32 v3, s17
	v_add_co_u32_e32 v4, vcc, s16, v4
	v_addc_co_u32_e32 v5, vcc, v3, v5, vcc
	v_ashrrev_i32_e32 v3, 31, v2
	v_lshlrev_b64 v[2:3], 3, v[2:3]
	v_ashrrev_i32_e32 v7, 31, v6
	global_load_dword v14, v[4:5], off
	v_mov_b32_e32 v4, s19
	v_add_co_u32_e32 v2, vcc, s18, v2
	v_lshlrev_b64 v[6:7], 3, v[6:7]
	v_addc_co_u32_e32 v3, vcc, v4, v3, vcc
	v_mov_b32_e32 v1, s25
	global_load_dwordx2 v[4:5], v[2:3], off
	v_add_co_u32_e32 v2, vcc, s24, v6
	v_addc_co_u32_e32 v3, vcc, v1, v7, vcc
	global_load_dword v7, v[2:3], off
	s_mov_b64 s[6:7], 0
	s_waitcnt vmcnt(2)
	v_fma_f32 v1, v12, v14, v8
	v_fma_f32 v14, v13, v14, v9
	s_waitcnt vmcnt(1)
	v_mul_f32_e64 v15, v5, -v14
	v_fmac_f32_e32 v15, v1, v4
.LBB84_52:                              ;   Parent Loop BB84_46 Depth=1
                                        ; =>  This Inner Loop Header: Depth=2
	s_waitcnt vmcnt(0)
	v_add_f32_e32 v6, v7, v15
	global_atomic_cmpswap v6, v[2:3], v[6:7], off glc
	s_waitcnt vmcnt(0)
	v_cmp_eq_u32_e32 vcc, v6, v7
	s_or_b64 s[6:7], vcc, s[6:7]
	v_mov_b32_e32 v7, v6
	s_andn2_b64 exec, exec, s[6:7]
	s_cbranch_execnz .LBB84_52
; %bb.53:                               ;   in Loop: Header=BB84_46 Depth=1
	s_or_b64 exec, exec, s[6:7]
	global_load_dword v7, v[2:3], off offset:4
	v_mul_f32_e32 v1, v1, v5
	v_fmac_f32_e32 v1, v14, v4
	s_mov_b64 s[6:7], 0
.LBB84_54:                              ;   Parent Loop BB84_46 Depth=1
                                        ; =>  This Inner Loop Header: Depth=2
	s_waitcnt vmcnt(0)
	v_add_f32_e32 v6, v7, v1
	global_atomic_cmpswap v4, v[2:3], v[6:7], off offset:4 glc
	s_waitcnt vmcnt(0)
	v_cmp_eq_u32_e32 vcc, v4, v7
	s_or_b64 s[6:7], vcc, s[6:7]
	v_mov_b32_e32 v7, v4
	s_andn2_b64 exec, exec, s[6:7]
	s_cbranch_execnz .LBB84_54
	s_branch .LBB84_45
.LBB84_55:
	s_endpgm
	.section	.rodata,"a",@progbits
	.p2align	6, 0x0
	.amdhsa_kernel _ZL33csrmvn_symm_large_adaptive_kernelIiif21rocsparse_complex_numIfES1_S1_EvbT_PKS2_N9rocsparse24const_host_device_scalarIT4_EES4_PKT0_PKT1_PKT2_S8_PT3_21rocsparse_index_base_b
		.amdhsa_group_segment_fixed_size 8192
		.amdhsa_private_segment_fixed_size 0
		.amdhsa_kernarg_size 80
		.amdhsa_user_sgpr_count 6
		.amdhsa_user_sgpr_private_segment_buffer 1
		.amdhsa_user_sgpr_dispatch_ptr 0
		.amdhsa_user_sgpr_queue_ptr 0
		.amdhsa_user_sgpr_kernarg_segment_ptr 1
		.amdhsa_user_sgpr_dispatch_id 0
		.amdhsa_user_sgpr_flat_scratch_init 0
		.amdhsa_user_sgpr_kernarg_preload_length 0
		.amdhsa_user_sgpr_kernarg_preload_offset 0
		.amdhsa_user_sgpr_private_segment_size 0
		.amdhsa_uses_dynamic_stack 0
		.amdhsa_system_sgpr_private_segment_wavefront_offset 0
		.amdhsa_system_sgpr_workgroup_id_x 1
		.amdhsa_system_sgpr_workgroup_id_y 0
		.amdhsa_system_sgpr_workgroup_id_z 0
		.amdhsa_system_sgpr_workgroup_info 0
		.amdhsa_system_vgpr_workitem_id 0
		.amdhsa_next_free_vgpr 20
		.amdhsa_next_free_sgpr 39
		.amdhsa_accum_offset 20
		.amdhsa_reserve_vcc 1
		.amdhsa_reserve_flat_scratch 0
		.amdhsa_float_round_mode_32 0
		.amdhsa_float_round_mode_16_64 0
		.amdhsa_float_denorm_mode_32 3
		.amdhsa_float_denorm_mode_16_64 3
		.amdhsa_dx10_clamp 1
		.amdhsa_ieee_mode 1
		.amdhsa_fp16_overflow 0
		.amdhsa_tg_split 0
		.amdhsa_exception_fp_ieee_invalid_op 0
		.amdhsa_exception_fp_denorm_src 0
		.amdhsa_exception_fp_ieee_div_zero 0
		.amdhsa_exception_fp_ieee_overflow 0
		.amdhsa_exception_fp_ieee_underflow 0
		.amdhsa_exception_fp_ieee_inexact 0
		.amdhsa_exception_int_div_zero 0
	.end_amdhsa_kernel
	.section	.text._ZL33csrmvn_symm_large_adaptive_kernelIiif21rocsparse_complex_numIfES1_S1_EvbT_PKS2_N9rocsparse24const_host_device_scalarIT4_EES4_PKT0_PKT1_PKT2_S8_PT3_21rocsparse_index_base_b,"axG",@progbits,_ZL33csrmvn_symm_large_adaptive_kernelIiif21rocsparse_complex_numIfES1_S1_EvbT_PKS2_N9rocsparse24const_host_device_scalarIT4_EES4_PKT0_PKT1_PKT2_S8_PT3_21rocsparse_index_base_b,comdat
.Lfunc_end84:
	.size	_ZL33csrmvn_symm_large_adaptive_kernelIiif21rocsparse_complex_numIfES1_S1_EvbT_PKS2_N9rocsparse24const_host_device_scalarIT4_EES4_PKT0_PKT1_PKT2_S8_PT3_21rocsparse_index_base_b, .Lfunc_end84-_ZL33csrmvn_symm_large_adaptive_kernelIiif21rocsparse_complex_numIfES1_S1_EvbT_PKS2_N9rocsparse24const_host_device_scalarIT4_EES4_PKT0_PKT1_PKT2_S8_PT3_21rocsparse_index_base_b
                                        ; -- End function
	.section	.AMDGPU.csdata,"",@progbits
; Kernel info:
; codeLenInByte = 2112
; NumSgprs: 43
; NumVgprs: 20
; NumAgprs: 0
; TotalNumVgprs: 20
; ScratchSize: 0
; MemoryBound: 0
; FloatMode: 240
; IeeeMode: 1
; LDSByteSize: 8192 bytes/workgroup (compile time only)
; SGPRBlocks: 5
; VGPRBlocks: 2
; NumSGPRsForWavesPerEU: 43
; NumVGPRsForWavesPerEU: 20
; AccumOffset: 20
; Occupancy: 8
; WaveLimiterHint : 1
; COMPUTE_PGM_RSRC2:SCRATCH_EN: 0
; COMPUTE_PGM_RSRC2:USER_SGPR: 6
; COMPUTE_PGM_RSRC2:TRAP_HANDLER: 0
; COMPUTE_PGM_RSRC2:TGID_X_EN: 1
; COMPUTE_PGM_RSRC2:TGID_Y_EN: 0
; COMPUTE_PGM_RSRC2:TGID_Z_EN: 0
; COMPUTE_PGM_RSRC2:TIDIG_COMP_CNT: 0
; COMPUTE_PGM_RSRC3_GFX90A:ACCUM_OFFSET: 4
; COMPUTE_PGM_RSRC3_GFX90A:TG_SPLIT: 0
	.section	.text._ZN9rocsparseL22csrmvn_adaptive_kernelIlif21rocsparse_complex_numIfES2_S2_EEvbT_PKS3_PjPKT0_NS_24const_host_device_scalarIT4_EES5_S9_PKT1_PKT2_SC_PT3_21rocsparse_index_base_b,"axG",@progbits,_ZN9rocsparseL22csrmvn_adaptive_kernelIlif21rocsparse_complex_numIfES2_S2_EEvbT_PKS3_PjPKT0_NS_24const_host_device_scalarIT4_EES5_S9_PKT1_PKT2_SC_PT3_21rocsparse_index_base_b,comdat
	.globl	_ZN9rocsparseL22csrmvn_adaptive_kernelIlif21rocsparse_complex_numIfES2_S2_EEvbT_PKS3_PjPKT0_NS_24const_host_device_scalarIT4_EES5_S9_PKT1_PKT2_SC_PT3_21rocsparse_index_base_b ; -- Begin function _ZN9rocsparseL22csrmvn_adaptive_kernelIlif21rocsparse_complex_numIfES2_S2_EEvbT_PKS3_PjPKT0_NS_24const_host_device_scalarIT4_EES5_S9_PKT1_PKT2_SC_PT3_21rocsparse_index_base_b
	.p2align	8
	.type	_ZN9rocsparseL22csrmvn_adaptive_kernelIlif21rocsparse_complex_numIfES2_S2_EEvbT_PKS3_PjPKT0_NS_24const_host_device_scalarIT4_EES5_S9_PKT1_PKT2_SC_PT3_21rocsparse_index_base_b,@function
_ZN9rocsparseL22csrmvn_adaptive_kernelIlif21rocsparse_complex_numIfES2_S2_EEvbT_PKS3_PjPKT0_NS_24const_host_device_scalarIT4_EES5_S9_PKT1_PKT2_SC_PT3_21rocsparse_index_base_b: ; @_ZN9rocsparseL22csrmvn_adaptive_kernelIlif21rocsparse_complex_numIfES2_S2_EEvbT_PKS3_PjPKT0_NS_24const_host_device_scalarIT4_EES5_S9_PKT1_PKT2_SC_PT3_21rocsparse_index_base_b
; %bb.0:
	s_load_dwordx2 s[42:43], s[4:5], 0x60
	s_load_dwordx2 s[8:9], s[4:5], 0x28
	;; [unrolled: 1-line block ×3, first 2 shown]
	s_waitcnt lgkmcnt(0)
	s_bitcmp1_b32 s43, 0
	s_cselect_b64 s[0:1], -1, 0
	s_xor_b64 s[10:11], s[0:1], -1
	s_and_b64 vcc, exec, s[0:1]
	v_mov_b32_e32 v4, s8
	s_cbranch_vccnz .LBB85_2
; %bb.1:
	v_pk_mov_b32 v[2:3], s[8:9], s[8:9] op_sel:[0,1]
	flat_load_dword v4, v[2:3]
.LBB85_2:
	v_cndmask_b32_e64 v1, 0, 1, s[10:11]
	v_cmp_ne_u32_e64 s[0:1], 1, v1
	s_andn2_b64 vcc, exec, s[10:11]
	v_mov_b32_e32 v5, s9
	s_cbranch_vccz .LBB85_38
; %bb.3:
	s_and_b64 vcc, exec, s[0:1]
	v_mov_b32_e32 v6, s2
	s_cbranch_vccz .LBB85_39
.LBB85_4:
	s_and_b64 vcc, exec, s[0:1]
	v_mov_b32_e32 v7, s3
	s_cbranch_vccnz .LBB85_6
.LBB85_5:
	v_pk_mov_b32 v[2:3], s[2:3], s[2:3] op_sel:[0,1]
	flat_load_dword v7, v[2:3] offset:4
.LBB85_6:
	s_waitcnt vmcnt(0) lgkmcnt(0)
	v_or_b32_e32 v1, v4, v5
	v_and_b32_e32 v1, 0x7fffffff, v1
	v_cmp_eq_u32_e32 vcc, 0, v1
	s_mov_b64 s[0:1], -1
	s_and_saveexec_b64 s[2:3], vcc
; %bb.7:
	v_and_b32_e32 v1, 0x7fffffff, v7
	v_cmp_neq_f32_e32 vcc, 1.0, v6
	v_cmp_ne_u32_e64 s[0:1], 0, v1
	s_or_b64 s[0:1], vcc, s[0:1]
	s_orn2_b64 s[0:1], s[0:1], exec
; %bb.8:
	s_or_b64 exec, exec, s[2:3]
	s_and_saveexec_b64 s[2:3], s[0:1]
	s_cbranch_execz .LBB85_132
; %bb.9:
	s_load_dwordx2 s[0:1], s[4:5], 0x10
	s_load_dwordx2 s[8:9], s[4:5], 0x20
	s_ashr_i32 s7, s6, 31
	s_lshl_b64 s[2:3], s[6:7], 3
	s_waitcnt lgkmcnt(0)
	s_add_u32 s0, s0, s2
	s_addc_u32 s1, s1, s3
	s_load_dwordx4 s[36:39], s[0:1], 0x0
	s_load_dwordx2 s[22:23], s[4:5], 0x58
	s_load_dwordx8 s[24:31], s[4:5], 0x30
	s_lshl_b64 s[46:47], s[6:7], 2
	s_waitcnt lgkmcnt(0)
	s_sub_i32 s2, s38, s36
	s_add_u32 s0, s8, s46
	s_addc_u32 s1, s9, s47
	s_lshl_b64 s[44:45], s[36:37], 3
	s_add_u32 s34, s24, s44
	s_addc_u32 s35, s25, s45
	s_load_dword s33, s[0:1], 0x0
	s_load_dwordx2 s[40:41], s[34:35], 0x0
	s_cmp_lt_i32 s2, 2
	s_mov_b64 s[0:1], -1
	s_cbranch_scc0 .LBB85_81
; %bb.10:
	s_cmp_lg_u32 s2, 1
	s_cselect_b64 s[0:1], -1, 0
	s_waitcnt lgkmcnt(0)
	s_cmp_lg_u32 s33, 0
	s_cselect_b64 s[2:3], -1, 0
	s_or_b64 s[2:3], s[0:1], s[2:3]
	s_mov_b64 s[0:1], -1
	s_and_b64 vcc, exec, s[2:3]
	s_cbranch_vccnz .LBB85_41
; %bb.11:
	v_pk_mov_b32 v[2:3], s[36:37], s[36:37] op_sel:[0,1]
	v_cmp_le_i64_e32 vcc, s[38:39], v[2:3]
	s_cbranch_vccnz .LBB85_40
; %bb.12:
	s_mov_b32 s0, 0
	s_brev_b32 s1, 1
	v_pk_mul_f32 v[8:9], v[4:5], s[0:1]
	v_subrev_co_u32_e32 v1, vcc, s42, v0
	v_mov_b32_e32 v3, v8
	v_and_b32_e32 v8, 0x7fffffff, v6
	v_subb_co_u32_e64 v20, s[2:3], 0, 0, vcc
	v_cmp_ne_u32_e32 vcc, 0, v8
	v_cmp_neq_f32_e64 s[20:21], 0, v7
	s_or_b64 s[48:49], vcc, s[20:21]
	s_movk_i32 s0, 0x80
	s_add_u32 s7, s24, 8
	v_mov_b32_e32 v2, v9
	v_lshlrev_b32_e32 v21, 3, v0
	v_cmp_gt_u32_e64 s[0:1], s0, v0
	v_cmp_gt_u32_e64 s[2:3], 64, v0
	;; [unrolled: 1-line block ×7, first 2 shown]
	v_cmp_eq_u32_e64 s[18:19], 0, v0
	v_xor_b32_e32 v8, 0x80000000, v7
	v_mov_b32_e32 v9, v6
	s_addc_u32 s43, s25, 0
	v_mov_b32_e32 v22, s31
	s_movk_i32 s62, 0x100
	v_mov_b32_e32 v23, 0
	v_pk_mov_b32 v[10:11], s[38:39], s[38:39] op_sel:[0,1]
	s_mov_b64 s[52:53], s[40:41]
	s_mov_b64 s[50:51], s[36:37]
	s_branch .LBB85_15
.LBB85_13:                              ;   in Loop: Header=BB85_15 Depth=1
	s_or_b64 exec, exec, s[56:57]
	s_add_u32 s54, s22, s54
	s_addc_u32 s55, s23, s55
	s_waitcnt lgkmcnt(0)
	global_store_dwordx2 v23, v[12:13], s[54:55]
.LBB85_14:                              ;   in Loop: Header=BB85_15 Depth=1
	s_or_b64 exec, exec, s[20:21]
	s_add_u32 s50, s50, 1
	s_addc_u32 s51, s51, 0
	v_cmp_ge_i64_e32 vcc, s[50:51], v[10:11]
	s_cbranch_vccnz .LBB85_40
.LBB85_15:                              ; =>This Loop Header: Depth=1
                                        ;     Child Loop BB85_17 Depth 2
	s_lshl_b64 s[54:55], s[50:51], 3
	s_mov_b64 s[20:21], s[52:53]
	s_add_u32 s52, s7, s54
	s_addc_u32 s53, s43, s55
	s_load_dwordx2 s[52:53], s[52:53], 0x0
	v_mov_b32_e32 v13, s21
	v_add_co_u32_e32 v12, vcc, s20, v1
	v_addc_co_u32_e32 v13, vcc, v13, v20, vcc
	s_waitcnt lgkmcnt(0)
	s_sub_u32 s56, s52, s42
	s_subb_u32 s57, s53, 0
	v_cmp_gt_i64_e32 vcc, s[56:57], v[12:13]
	v_mov_b32_e32 v15, 0
	v_mov_b32_e32 v14, 0
	s_and_saveexec_b64 s[58:59], vcc
	s_cbranch_execz .LBB85_19
; %bb.16:                               ;   in Loop: Header=BB85_15 Depth=1
	v_lshlrev_b64 v[14:15], 2, v[12:13]
	v_mov_b32_e32 v17, s29
	v_add_co_u32_e32 v16, vcc, s28, v14
	v_addc_co_u32_e32 v17, vcc, v17, v15, vcc
	v_mov_b32_e32 v19, s27
	v_add_co_u32_e32 v18, vcc, s26, v14
	v_mov_b32_e32 v14, 0
	v_addc_co_u32_e32 v19, vcc, v19, v15, vcc
	s_mov_b64 s[60:61], 0
	v_mov_b32_e32 v15, v14
.LBB85_17:                              ;   Parent Loop BB85_15 Depth=1
                                        ; =>  This Inner Loop Header: Depth=2
	global_load_dword v25, v[18:19], off
	global_load_dword v24, v[16:17], off
	s_waitcnt vmcnt(1)
	v_subrev_u32_e32 v26, s42, v25
	v_ashrrev_i32_e32 v27, 31, v26
	v_lshlrev_b64 v[26:27], 3, v[26:27]
	v_add_co_u32_e32 v26, vcc, s30, v26
	v_addc_co_u32_e32 v27, vcc, v22, v27, vcc
	global_load_dwordx2 v[26:27], v[26:27], off
	v_add_co_u32_e32 v12, vcc, s62, v12
	v_addc_co_u32_e32 v13, vcc, 0, v13, vcc
	v_add_co_u32_e32 v16, vcc, 0x400, v16
	v_addc_co_u32_e32 v17, vcc, 0, v17, vcc
	s_waitcnt vmcnt(1)
	v_pk_fma_f32 v[24:25], v[4:5], v[24:25], v[2:3] op_sel_hi:[1,0,1]
	v_add_co_u32_e32 v18, vcc, 0x400, v18
	v_cmp_le_i64_e64 s[20:21], s[56:57], v[12:13]
	v_addc_co_u32_e32 v19, vcc, 0, v19, vcc
	s_or_b64 s[60:61], s[20:21], s[60:61]
	s_waitcnt vmcnt(0)
	v_pk_fma_f32 v[14:15], v[24:25], v[26:27], v[14:15] op_sel_hi:[1,0,1]
	v_pk_fma_f32 v[14:15], v[24:25], v[26:27], v[14:15] op_sel:[1,1,0] op_sel_hi:[0,1,1] neg_lo:[1,0,0]
	s_andn2_b64 exec, exec, s[60:61]
	s_cbranch_execnz .LBB85_17
; %bb.18:                               ;   in Loop: Header=BB85_15 Depth=1
	s_or_b64 exec, exec, s[60:61]
.LBB85_19:                              ;   in Loop: Header=BB85_15 Depth=1
	s_or_b64 exec, exec, s[58:59]
	ds_write_b64 v21, v[14:15]
	s_waitcnt lgkmcnt(0)
	s_barrier
	s_and_saveexec_b64 s[20:21], s[0:1]
	s_cbranch_execz .LBB85_21
; %bb.20:                               ;   in Loop: Header=BB85_15 Depth=1
	ds_read2st64_b64 v[12:15], v21 offset1:2
	s_waitcnt lgkmcnt(0)
	v_pk_add_f32 v[12:13], v[14:15], v[12:13]
	ds_write_b64 v21, v[12:13]
.LBB85_21:                              ;   in Loop: Header=BB85_15 Depth=1
	s_or_b64 exec, exec, s[20:21]
	s_waitcnt lgkmcnt(0)
	s_barrier
	s_and_saveexec_b64 s[20:21], s[2:3]
	s_cbranch_execz .LBB85_23
; %bb.22:                               ;   in Loop: Header=BB85_15 Depth=1
	ds_read2st64_b64 v[12:15], v21 offset1:1
	s_waitcnt lgkmcnt(0)
	v_pk_add_f32 v[12:13], v[14:15], v[12:13]
	ds_write_b64 v21, v[12:13]
.LBB85_23:                              ;   in Loop: Header=BB85_15 Depth=1
	s_or_b64 exec, exec, s[20:21]
	s_waitcnt lgkmcnt(0)
	s_barrier
	s_and_saveexec_b64 s[20:21], s[8:9]
	s_cbranch_execz .LBB85_25
; %bb.24:                               ;   in Loop: Header=BB85_15 Depth=1
	ds_read2_b64 v[12:15], v21 offset1:32
	s_waitcnt lgkmcnt(0)
	v_pk_add_f32 v[12:13], v[14:15], v[12:13]
	ds_write_b64 v21, v[12:13]
.LBB85_25:                              ;   in Loop: Header=BB85_15 Depth=1
	s_or_b64 exec, exec, s[20:21]
	s_waitcnt lgkmcnt(0)
	s_barrier
	s_and_saveexec_b64 s[20:21], s[10:11]
	s_cbranch_execz .LBB85_27
; %bb.26:                               ;   in Loop: Header=BB85_15 Depth=1
	ds_read2_b64 v[12:15], v21 offset1:16
	s_waitcnt lgkmcnt(0)
	v_pk_add_f32 v[12:13], v[14:15], v[12:13]
	ds_write_b64 v21, v[12:13]
.LBB85_27:                              ;   in Loop: Header=BB85_15 Depth=1
	;; [unrolled: 11-line block ×6, first 2 shown]
	s_or_b64 exec, exec, s[20:21]
	s_waitcnt lgkmcnt(0)
	s_barrier
	s_and_saveexec_b64 s[20:21], s[18:19]
	s_cbranch_execz .LBB85_14
; %bb.36:                               ;   in Loop: Header=BB85_15 Depth=1
	ds_read_b64 v[12:13], v23
	s_and_saveexec_b64 s[56:57], s[48:49]
	s_cbranch_execz .LBB85_13
; %bb.37:                               ;   in Loop: Header=BB85_15 Depth=1
	s_add_u32 s58, s22, s54
	s_addc_u32 s59, s23, s55
	global_load_dwordx2 v[14:15], v23, s[58:59]
	s_waitcnt vmcnt(0) lgkmcnt(0)
	v_pk_fma_f32 v[12:13], v[6:7], v[14:15], v[12:13] op_sel_hi:[1,0,1]
	v_pk_fma_f32 v[12:13], v[8:9], v[14:15], v[12:13] op_sel:[0,1,0]
	s_branch .LBB85_13
.LBB85_38:
	v_pk_mov_b32 v[2:3], s[8:9], s[8:9] op_sel:[0,1]
	flat_load_dword v5, v[2:3] offset:4
	s_and_b64 vcc, exec, s[0:1]
	v_mov_b32_e32 v6, s2
	s_cbranch_vccnz .LBB85_4
.LBB85_39:
	v_pk_mov_b32 v[2:3], s[2:3], s[2:3] op_sel:[0,1]
	flat_load_dword v6, v[2:3]
	s_and_b64 vcc, exec, s[0:1]
	v_mov_b32_e32 v7, s3
	s_cbranch_vccz .LBB85_5
	s_branch .LBB85_6
.LBB85_40:
	s_mov_b64 s[0:1], 0
.LBB85_41:
	s_andn2_b64 vcc, exec, s[0:1]
	s_cbranch_vccnz .LBB85_80
; %bb.42:
	s_load_dwordx2 s[8:9], s[4:5], 0x18
	s_sub_i32 s6, s6, s33
	s_mov_b32 s0, 0
	v_or_b32_e32 v1, s33, v0
	s_mov_b32 s1, s0
	s_waitcnt lgkmcnt(0)
	s_add_u32 s2, s8, s46
	s_addc_u32 s3, s9, s47
	s_load_dword s16, s[2:3], 0x0
	v_cmp_eq_u32_e32 vcc, 0, v1
	v_pk_mov_b32 v[2:3], s[0:1], s[0:1] op_sel:[0,1]
	s_and_saveexec_b64 s[0:1], vcc
	s_cbranch_execz .LBB85_46
; %bb.43:
	s_add_u32 s12, s22, s44
	s_addc_u32 s13, s23, s45
	v_mov_b32_e32 v1, 0
	global_load_dwordx2 v[2:3], v1, s[12:13]
	s_mov_b64 s[10:11], exec
	v_mbcnt_lo_u32_b32 v12, s10, 0
	v_add_f32_e32 v11, -1.0, v6
	v_xor_b32_e32 v10, 0x80000000, v7
	v_mbcnt_hi_u32_b32 v12, s11, v12
	v_mov_b32_e32 v9, v7
	v_mov_b32_e32 v8, v11
	v_cmp_eq_u32_e32 vcc, 0, v12
	s_waitcnt vmcnt(0) expcnt(0) lgkmcnt(0)
	v_pk_mul_f32 v[10:11], v[2:3], v[10:11] op_sel:[1,0]
	s_and_saveexec_b64 s[12:13], vcc
	s_cbranch_execz .LBB85_45
; %bb.44:
	s_ashr_i32 s7, s6, 31
	s_lshl_b64 s[14:15], s[6:7], 2
	s_add_u32 s14, s8, s14
	s_addc_u32 s15, s9, s15
	s_bcnt1_i32_b64 s7, s[10:11]
	s_and_b32 s7, s7, 1
	v_mov_b32_e32 v12, s7
	global_atomic_xor v1, v12, s[14:15]
.LBB85_45:
	s_or_b64 exec, exec, s[12:13]
	v_pk_fma_f32 v[2:3], v[8:9], v[2:3], v[10:11] op_sel_hi:[1,0,1]
.LBB85_46:
	s_or_b64 exec, exec, s[0:1]
	s_load_dwordx2 s[0:1], s[34:35], 0x8
	s_sub_u32 s11, s40, s42
	s_mul_i32 s7, s33, 0xc00
	s_subb_u32 s12, s41, 0
	s_mul_hi_i32 s10, s33, 0xc00
	s_add_u32 s7, s11, s7
	s_addc_u32 s12, s12, s10
	s_waitcnt lgkmcnt(0)
	s_sub_u32 s0, s0, s42
	v_mov_b32_e32 v1, s12
	v_add_co_u32_e32 v8, vcc, s7, v0
	s_subb_u32 s1, s1, 0
	v_addc_co_u32_e32 v9, vcc, 0, v1, vcc
	v_cmp_gt_i64_e32 vcc, s[0:1], v[8:9]
	s_and_saveexec_b64 s[10:11], vcc
	s_cbranch_execz .LBB85_50
; %bb.47:
	s_add_u32 s14, s7, 0xc00
	s_addc_u32 s15, s12, 0
	v_pk_mov_b32 v[10:11], s[0:1], s[0:1] op_sel:[0,1]
	v_cmp_lt_i64_e32 vcc, s[14:15], v[10:11]
	s_and_b64 s[12:13], vcc, exec
	s_cselect_b32 s13, s15, s1
	s_cselect_b32 s12, s14, s0
	s_mov_b32 s0, 0
	s_brev_b32 s1, 1
	v_pk_mul_f32 v[12:13], v[4:5], s[0:1]
	v_lshlrev_b64 v[14:15], 2, v[8:9]
	v_mov_b32_e32 v11, v12
	v_mov_b32_e32 v1, s29
	v_add_co_u32_e32 v12, vcc, s28, v14
	v_mov_b32_e32 v10, v13
	v_addc_co_u32_e32 v13, vcc, v1, v15, vcc
	v_mov_b32_e32 v1, s27
	v_add_co_u32_e32 v14, vcc, s26, v14
	v_addc_co_u32_e32 v15, vcc, v1, v15, vcc
	s_mov_b64 s[14:15], 0
	v_mov_b32_e32 v1, s31
	s_movk_i32 s7, 0x100
.LBB85_48:                              ; =>This Inner Loop Header: Depth=1
	global_load_dword v17, v[14:15], off
	global_load_dword v16, v[12:13], off
	s_waitcnt vmcnt(1)
	v_subrev_u32_e32 v18, s42, v17
	v_ashrrev_i32_e32 v19, 31, v18
	v_lshlrev_b64 v[18:19], 3, v[18:19]
	v_add_co_u32_e32 v18, vcc, s30, v18
	v_addc_co_u32_e32 v19, vcc, v1, v19, vcc
	global_load_dwordx2 v[18:19], v[18:19], off
	v_add_co_u32_e32 v8, vcc, s7, v8
	v_addc_co_u32_e32 v9, vcc, 0, v9, vcc
	v_add_co_u32_e32 v12, vcc, 0x400, v12
	v_addc_co_u32_e32 v13, vcc, 0, v13, vcc
	s_waitcnt vmcnt(1)
	v_pk_fma_f32 v[16:17], v[4:5], v[16:17], v[10:11] op_sel_hi:[1,0,1]
	v_add_co_u32_e32 v14, vcc, 0x400, v14
	v_cmp_le_i64_e64 s[0:1], s[12:13], v[8:9]
	v_addc_co_u32_e32 v15, vcc, 0, v15, vcc
	s_or_b64 s[14:15], s[0:1], s[14:15]
	s_waitcnt vmcnt(0)
	v_pk_fma_f32 v[2:3], v[16:17], v[18:19], v[2:3] op_sel_hi:[1,0,1]
	v_pk_fma_f32 v[2:3], v[16:17], v[18:19], v[2:3] op_sel:[1,1,0] op_sel_hi:[0,1,1] neg_lo:[1,0,0]
	s_andn2_b64 exec, exec, s[14:15]
	s_cbranch_execnz .LBB85_48
; %bb.49:
	s_or_b64 exec, exec, s[14:15]
.LBB85_50:
	s_or_b64 exec, exec, s[10:11]
	s_movk_i32 s0, 0x80
	v_lshlrev_b32_e32 v1, 3, v0
	v_cmp_gt_u32_e32 vcc, s0, v0
	ds_write_b64 v1, v[2:3]
	s_waitcnt lgkmcnt(0)
	s_barrier
	s_and_saveexec_b64 s[0:1], vcc
	s_cbranch_execz .LBB85_52
; %bb.51:
	ds_read2st64_b64 v[8:11], v1 offset1:2
	s_waitcnt lgkmcnt(0)
	v_pk_add_f32 v[2:3], v[10:11], v[8:9]
	ds_write_b64 v1, v[2:3]
.LBB85_52:
	s_or_b64 exec, exec, s[0:1]
	v_cmp_gt_u32_e32 vcc, 64, v0
	s_waitcnt lgkmcnt(0)
	s_barrier
	s_and_saveexec_b64 s[0:1], vcc
	s_cbranch_execz .LBB85_54
; %bb.53:
	ds_read2st64_b64 v[8:11], v1 offset1:1
	s_waitcnt lgkmcnt(0)
	v_pk_add_f32 v[2:3], v[10:11], v[8:9]
	ds_write_b64 v1, v[2:3]
.LBB85_54:
	s_or_b64 exec, exec, s[0:1]
	v_cmp_gt_u32_e32 vcc, 32, v0
	s_waitcnt lgkmcnt(0)
	s_barrier
	s_and_saveexec_b64 s[0:1], vcc
	s_cbranch_execz .LBB85_56
; %bb.55:
	ds_read2_b64 v[8:11], v1 offset1:32
	s_waitcnt lgkmcnt(0)
	v_pk_add_f32 v[2:3], v[10:11], v[8:9]
	ds_write_b64 v1, v[2:3]
.LBB85_56:
	s_or_b64 exec, exec, s[0:1]
	v_cmp_gt_u32_e32 vcc, 16, v0
	s_waitcnt lgkmcnt(0)
	s_barrier
	s_and_saveexec_b64 s[0:1], vcc
	s_cbranch_execz .LBB85_58
; %bb.57:
	ds_read2_b64 v[8:11], v1 offset1:16
	s_waitcnt lgkmcnt(0)
	v_pk_add_f32 v[2:3], v[10:11], v[8:9]
	ds_write_b64 v1, v[2:3]
.LBB85_58:
	;; [unrolled: 12-line block ×5, first 2 shown]
	s_or_b64 exec, exec, s[0:1]
	v_cmp_eq_u32_e32 vcc, 0, v0
	s_waitcnt lgkmcnt(0)
	s_barrier
	s_and_saveexec_b64 s[0:1], vcc
	s_cbranch_execz .LBB85_66
; %bb.65:
	v_mov_b32_e32 v1, 0
	ds_read2_b64 v[8:11], v1 offset1:1
	s_waitcnt lgkmcnt(0)
	v_pk_add_f32 v[2:3], v[10:11], v[8:9]
	ds_write_b64 v1, v[2:3]
.LBB85_66:
	s_or_b64 exec, exec, s[0:1]
	s_waitcnt lgkmcnt(0)
	s_barrier
	s_and_saveexec_b64 s[0:1], vcc
	s_cbranch_execz .LBB85_79
; %bb.67:
	s_cmp_eq_u32 s33, 0
	s_cbranch_scc1 .LBB85_73
; %bb.68:
	s_ashr_i32 s7, s6, 31
	s_lshl_b64 s[6:7], s[6:7], 2
	s_add_u32 s6, s8, s6
	s_addc_u32 s7, s9, s7
	v_mov_b32_e32 v1, 0
	s_branch .LBB85_70
.LBB85_69:                              ;   in Loop: Header=BB85_70 Depth=1
	s_or_b64 exec, exec, s[8:9]
	s_waitcnt vmcnt(0)
	v_readfirstlane_b32 s8, v2
	s_cmp_eq_u32 s8, s16
	s_cbranch_scc0 .LBB85_72
.LBB85_70:                              ; =>This Inner Loop Header: Depth=1
	v_mbcnt_lo_u32_b32 v2, exec_lo, 0
	v_mbcnt_hi_u32_b32 v2, exec_hi, v2
	v_cmp_eq_u32_e32 vcc, 0, v2
                                        ; implicit-def: $vgpr2
	s_and_saveexec_b64 s[8:9], vcc
	s_cbranch_execz .LBB85_69
; %bb.71:                               ;   in Loop: Header=BB85_70 Depth=1
	global_load_dword v2, v1, s[6:7] glc
	s_branch .LBB85_69
.LBB85_72:
	v_mov_b32_e32 v1, 0
	global_load_dword v2, v1, s[2:3]
	s_waitcnt vmcnt(0)
	v_xor_b32_e32 v2, 1, v2
	global_store_dword v1, v2, s[2:3]
.LBB85_73:
	v_mov_b32_e32 v1, 0
	ds_read_b64 v[2:3], v1
	s_mov_b64 s[8:9], exec
	v_mbcnt_lo_u32_b32 v8, s8, 0
	s_add_u32 s2, s22, s44
	v_mbcnt_hi_u32_b32 v8, s9, v8
	s_addc_u32 s3, s23, s45
	v_cmp_eq_u32_e32 vcc, 0, v8
	s_and_saveexec_b64 s[6:7], vcc
	s_cbranch_execz .LBB85_76
; %bb.74:
	global_load_dword v9, v1, s[2:3]
	s_bcnt1_i32_b64 s8, s[8:9]
	v_cvt_f32_ubyte0_e32 v8, s8
	s_waitcnt lgkmcnt(0)
	v_mul_f32_e32 v2, v2, v8
	s_mov_b64 s[8:9], 0
.LBB85_75:                              ; =>This Inner Loop Header: Depth=1
	s_waitcnt vmcnt(0)
	v_add_f32_e32 v8, v9, v2
	global_atomic_cmpswap v8, v1, v[8:9], s[2:3] glc
	s_waitcnt vmcnt(0)
	v_cmp_eq_u32_e32 vcc, v8, v9
	s_or_b64 s[8:9], vcc, s[8:9]
	v_mov_b32_e32 v9, v8
	s_andn2_b64 exec, exec, s[8:9]
	s_cbranch_execnz .LBB85_75
.LBB85_76:
	s_or_b64 exec, exec, s[6:7]
	s_mov_b64 s[6:7], exec
	v_mbcnt_lo_u32_b32 v1, s6, 0
	v_mbcnt_hi_u32_b32 v1, s7, v1
	v_cmp_eq_u32_e32 vcc, 0, v1
	s_and_b64 s[8:9], exec, vcc
	s_mov_b64 exec, s[8:9]
	s_cbranch_execz .LBB85_79
; %bb.77:
	v_mov_b32_e32 v1, 0
	global_load_dword v9, v1, s[2:3] offset:4
	s_bcnt1_i32_b64 s6, s[6:7]
	s_waitcnt lgkmcnt(0)
	v_cvt_f32_ubyte0_e32 v2, s6
	v_mul_f32_e32 v2, v3, v2
	s_mov_b64 s[6:7], 0
.LBB85_78:                              ; =>This Inner Loop Header: Depth=1
	s_waitcnt vmcnt(0)
	v_add_f32_e32 v8, v9, v2
	global_atomic_cmpswap v3, v1, v[8:9], s[2:3] offset:4 glc
	s_waitcnt vmcnt(0)
	v_cmp_eq_u32_e32 vcc, v3, v9
	s_or_b64 s[6:7], vcc, s[6:7]
	v_mov_b32_e32 v9, v3
	s_andn2_b64 exec, exec, s[6:7]
	s_cbranch_execnz .LBB85_78
.LBB85_79:
	s_or_b64 exec, exec, s[0:1]
.LBB85_80:
	s_mov_b64 s[0:1], 0
.LBB85_81:
	s_andn2_b64 vcc, exec, s[0:1]
	s_cbranch_vccnz .LBB85_132
; %bb.82:
	s_load_dwordx2 s[0:1], s[4:5], 0x8
	v_subrev_co_u32_e32 v1, vcc, s42, v0
	s_waitcnt lgkmcnt(0)
	v_subb_co_u32_e64 v2, s[2:3], 0, 0, vcc
	v_mov_b32_e32 v3, s41
	v_add_co_u32_e32 v8, vcc, s40, v1
	v_addc_co_u32_e32 v9, vcc, v3, v2, vcc
	v_add_co_u32_e32 v2, vcc, 0x300, v8
	v_addc_co_u32_e32 v3, vcc, 0, v9, vcc
	s_mov_b32 s20, 0
	v_cmp_le_i64_e32 vcc, s[0:1], v[2:3]
	s_and_saveexec_b64 s[0:1], vcc
	s_xor_b64 s[6:7], exec, s[0:1]
	s_cbranch_execz .LBB85_94
; %bb.83:
	s_lshl_b64 s[0:1], s[38:39], 3
	s_add_u32 s0, s24, s0
	s_addc_u32 s1, s25, s1
	s_load_dwordx2 s[0:1], s[0:1], 0x0
	s_waitcnt lgkmcnt(0)
	s_sub_u32 s8, s0, s42
	s_subb_u32 s9, s1, 0
	v_cmp_gt_i64_e32 vcc, s[8:9], v[8:9]
	s_and_saveexec_b64 s[10:11], vcc
	s_cbranch_execz .LBB85_93
; %bb.84:
	v_mov_b32_e32 v1, s41
	v_add_co_u32_e32 v2, vcc, s40, v0
	v_addc_co_u32_e32 v1, vcc, 0, v1, vcc
	v_mov_b32_e32 v3, s20
	v_subrev_co_u32_e32 v2, vcc, s42, v2
	v_subb_co_u32_e32 v1, vcc, v1, v3, vcc
	s_mov_b32 s0, 0
	v_add_co_u32_e32 v2, vcc, 0x100, v2
	s_brev_b32 s1, 1
	v_addc_co_u32_e32 v3, vcc, 0, v1, vcc
	v_pk_mul_f32 v[10:11], v[4:5], s[0:1]
	v_mov_b32_e32 v1, s9
	v_cmp_lt_i64_e32 vcc, s[8:9], v[2:3]
	s_not_b64 s[0:1], s[40:41]
	v_cndmask_b32_e32 v1, v1, v3, vcc
	v_mov_b32_e32 v3, s8
	s_add_u32 s0, s0, s42
	v_cndmask_b32_e32 v2, v3, v2, vcc
	s_addc_u32 s1, s1, 0
	v_mov_b32_e32 v3, s1
	v_add_co_u32_e32 v2, vcc, s0, v2
	v_addc_co_u32_e32 v1, vcc, v3, v1, vcc
	v_sub_co_u32_e32 v2, vcc, v2, v0
	v_subbrev_co_u32_e32 v3, vcc, 0, v1, vcc
	s_mov_b64 s[0:1], 0x1700
	v_cmp_gt_u64_e32 vcc, s[0:1], v[2:3]
	s_mov_b64 s[0:1], 0x16ff
	v_cmp_lt_u64_e64 s[0:1], s[0:1], v[2:3]
	v_pk_mov_b32 v[16:17], 0, 0
	s_and_saveexec_b64 s[12:13], s[0:1]
	s_cbranch_execz .LBB85_90
; %bb.85:
	v_lshlrev_b32_e32 v1, 3, v0
	v_alignbit_b32 v12, v3, v2, 8
	s_mov_b32 s0, 0x1fffff
	s_mov_b32 s4, -1
	v_cmp_lt_u32_e64 s[0:1], s0, v12
	v_lshl_or_b32 v12, v12, 11, v1
	s_movk_i32 s5, 0xff
	v_cmp_lt_u32_e64 s[2:3], v12, v1
	v_or_b32_e32 v1, 4, v1
	v_or_b32_e32 v12, 4, v12
	v_cmp_lt_u64_e64 s[4:5], s[4:5], v[2:3]
	s_or_b64 s[14:15], s[2:3], s[0:1]
	v_cmp_lt_u32_e64 s[2:3], v12, v1
	s_or_b64 s[0:1], s[0:1], s[4:5]
	s_or_b64 s[0:1], s[0:1], s[2:3]
	;; [unrolled: 1-line block ×3, first 2 shown]
	s_mov_b64 s[0:1], -1
	s_xor_b64 s[2:3], s[2:3], -1
	v_pk_mov_b32 v[16:17], 0, 0
	s_and_saveexec_b64 s[4:5], s[2:3]
	s_cbranch_execz .LBB85_89
; %bb.86:
	v_lshrrev_b64 v[2:3], 8, v[2:3]
	v_add_co_u32_e64 v12, s[0:1], 1, v2
	v_addc_co_u32_e64 v13, s[0:1], 0, v3, s[0:1]
	v_and_b32_e32 v14, -2, v12
	v_mov_b32_e32 v15, v13
	v_mov_b32_e32 v2, v8
	;; [unrolled: 1-line block ×11, first 2 shown]
	s_mov_b32 s21, s42
	s_mov_b32 s43, s42
	v_mov_b32_e32 v1, v0
	s_mov_b64 s[16:17], 0x100
	s_mov_b64 s[14:15], 0
	v_mov_b32_e32 v26, s29
	v_mov_b32_e32 v27, s27
	;; [unrolled: 1-line block ×3, first 2 shown]
	v_pk_mov_b32 v[24:25], v[14:15], v[14:15] op_sel:[0,1]
	s_mov_b64 s[18:19], 0
.LBB85_87:                              ; =>This Inner Loop Header: Depth=1
	v_mov_b32_e32 v31, s19
	v_add_co_u32_e64 v30, s[0:1], s18, v8
	v_addc_co_u32_e64 v31, s[0:1], v31, v9, s[0:1]
	v_mov_b32_e32 v29, s17
	v_add_co_u32_e64 v32, s[2:3], s16, v2
	v_lshlrev_b64 v[30:31], 2, v[30:31]
	v_addc_co_u32_e64 v33, s[2:3], v29, v3, s[2:3]
	v_add_co_u32_e64 v34, s[0:1], s26, v30
	v_lshlrev_b64 v[32:33], 2, v[32:33]
	v_addc_co_u32_e64 v35, s[0:1], v27, v31, s[0:1]
	v_add_co_u32_e64 v36, s[0:1], s26, v32
	v_addc_co_u32_e64 v37, s[0:1], v27, v33, s[0:1]
	global_load_dword v29, v[34:35], off
	global_load_dword v38, v[36:37], off
	v_add_co_u32_e64 v30, s[0:1], s28, v30
	v_addc_co_u32_e64 v31, s[0:1], v26, v31, s[0:1]
	v_add_co_u32_e64 v32, s[0:1], s28, v32
	v_addc_co_u32_e64 v33, s[0:1], v26, v33, s[0:1]
	global_load_dword v34, v[30:31], off
	global_load_dword v35, v[32:33], off
	v_add_lshl_u32 v40, v1, s16, 3
	s_waitcnt vmcnt(3)
	v_subrev_u32_e32 v30, s21, v29
	v_ashrrev_i32_e32 v31, 31, v30
	s_waitcnt vmcnt(2)
	v_subrev_u32_e32 v32, s43, v38
	v_lshlrev_b64 v[30:31], 3, v[30:31]
	v_ashrrev_i32_e32 v33, 31, v32
	v_add_co_u32_e64 v30, s[0:1], s30, v30
	v_lshlrev_b64 v[32:33], 3, v[32:33]
	v_addc_co_u32_e64 v31, s[0:1], v28, v31, s[0:1]
	v_add_co_u32_e64 v32, s[0:1], s30, v32
	v_addc_co_u32_e64 v33, s[0:1], v28, v33, s[0:1]
	global_load_dwordx2 v[36:37], v[30:31], off
	global_load_dwordx2 v[38:39], v[32:33], off
	v_add_lshl_u32 v29, v0, s18, 3
	s_add_u32 s18, s18, 0x200
	v_add_co_u32_e64 v24, s[0:1], -2, v24
	s_addc_u32 s19, s19, 0
	s_waitcnt vmcnt(2)
	v_pk_fma_f32 v[30:31], v[16:17], v[34:35], v[18:19]
	v_pk_fma_f32 v[32:33], v[20:21], v[34:35], v[22:23]
	v_addc_co_u32_e64 v25, s[0:1], -1, v25, s[0:1]
	s_add_u32 s16, s16, 0x200
	v_cmp_eq_u64_e64 s[0:1], 0, v[24:25]
	s_addc_u32 s17, s17, 0
	s_or_b64 s[14:15], s[0:1], s[14:15]
	s_waitcnt vmcnt(1)
	v_mov_b32_e32 v34, v36
	s_waitcnt vmcnt(0)
	v_mov_b32_e32 v35, v38
	v_mov_b32_e32 v38, v37
	v_pk_mul_f32 v[36:37], v[38:39], v[32:33] neg_lo:[0,1] neg_hi:[0,1]
	v_pk_mul_f32 v[38:39], v[30:31], v[38:39]
	v_pk_fma_f32 v[30:31], v[30:31], v[34:35], v[36:37]
	v_pk_fma_f32 v[32:33], v[32:33], v[34:35], v[38:39]
	v_mov_b32_e32 v34, v30
	v_mov_b32_e32 v35, v32
	;; [unrolled: 1-line block ×3, first 2 shown]
	ds_write_b64 v29, v[34:35]
	ds_write_b64 v40, v[32:33]
	s_andn2_b64 exec, exec, s[14:15]
	s_cbranch_execnz .LBB85_87
; %bb.88:
	s_or_b64 exec, exec, s[14:15]
	v_cmp_ne_u64_e64 s[0:1], v[12:13], v[14:15]
	v_lshlrev_b64 v[16:17], 8, v[14:15]
	s_orn2_b64 s[0:1], s[0:1], exec
.LBB85_89:
	s_or_b64 exec, exec, s[4:5]
	s_andn2_b64 s[2:3], vcc, exec
	s_and_b64 s[0:1], s[0:1], exec
	s_or_b64 vcc, s[2:3], s[0:1]
.LBB85_90:
	s_or_b64 exec, exec, s[12:13]
	s_and_b64 exec, exec, vcc
	s_cbranch_execz .LBB85_93
; %bb.91:
	v_mov_b32_e32 v1, s41
	v_add_co_u32_e32 v8, vcc, s40, v16
	v_addc_co_u32_e32 v1, vcc, v17, v1, vcc
	v_add_co_u32_e32 v8, vcc, v8, v0
	v_addc_co_u32_e32 v1, vcc, 0, v1, vcc
	v_mov_b32_e32 v9, s20
	v_subrev_co_u32_e32 v8, vcc, s42, v8
	v_subb_co_u32_e32 v9, vcc, v1, v9, vcc
	v_lshlrev_b64 v[12:13], 2, v[8:9]
	v_mov_b32_e32 v2, v11
	v_mov_b32_e32 v3, v10
	;; [unrolled: 1-line block ×3, first 2 shown]
	v_add_co_u32_e32 v10, vcc, s28, v12
	v_addc_co_u32_e32 v11, vcc, v11, v13, vcc
	v_mov_b32_e32 v14, s27
	v_add_co_u32_e32 v12, vcc, s26, v12
	v_add_lshl_u32 v1, v0, v16, 3
	v_addc_co_u32_e32 v13, vcc, v14, v13, vcc
	s_mov_b64 s[2:3], 0
	v_mov_b32_e32 v14, s31
	s_movk_i32 s4, 0x100
.LBB85_92:                              ; =>This Inner Loop Header: Depth=1
	global_load_dword v15, v[12:13], off
	global_load_dword v16, v[10:11], off
	s_waitcnt vmcnt(1)
	v_subrev_u32_e32 v18, s42, v15
	v_ashrrev_i32_e32 v19, 31, v18
	v_lshlrev_b64 v[18:19], 3, v[18:19]
	v_add_co_u32_e32 v18, vcc, s30, v18
	v_addc_co_u32_e32 v19, vcc, v14, v19, vcc
	global_load_dwordx2 v[18:19], v[18:19], off
	v_add_co_u32_e32 v8, vcc, s4, v8
	v_addc_co_u32_e32 v9, vcc, 0, v9, vcc
	v_add_co_u32_e32 v10, vcc, 0x400, v10
	s_waitcnt vmcnt(1)
	v_pk_fma_f32 v[16:17], v[4:5], v[16:17], v[2:3] op_sel_hi:[1,0,1]
	v_addc_co_u32_e32 v11, vcc, 0, v11, vcc
	v_add_co_u32_e32 v12, vcc, 0x400, v12
	v_cmp_le_i64_e64 s[0:1], s[8:9], v[8:9]
	v_addc_co_u32_e32 v13, vcc, 0, v13, vcc
	s_or_b64 s[2:3], s[0:1], s[2:3]
	s_waitcnt vmcnt(0)
	v_pk_mul_f32 v[20:21], v[18:19], v[16:17] op_sel:[1,1] op_sel_hi:[1,0] neg_lo:[0,1]
	v_pk_fma_f32 v[16:17], v[16:17], v[18:19], v[20:21] op_sel_hi:[1,0,1]
	ds_write_b64 v1, v[16:17]
	v_add_u32_e32 v1, 0x800, v1
	s_andn2_b64 exec, exec, s[2:3]
	s_cbranch_execnz .LBB85_92
.LBB85_93:
	s_or_b64 exec, exec, s[10:11]
                                        ; implicit-def: $vgpr4_vgpr5
                                        ; implicit-def: $vgpr8_vgpr9
.LBB85_94:
	s_or_saveexec_b64 s[0:1], s[6:7]
	v_lshlrev_b32_e32 v14, 3, v0
	s_xor_b64 exec, exec, s[0:1]
	s_cbranch_execz .LBB85_96
; %bb.95:
	v_lshlrev_b64 v[2:3], 2, v[8:9]
	v_mov_b32_e32 v1, s27
	v_add_co_u32_e32 v8, vcc, s26, v2
	v_addc_co_u32_e32 v9, vcc, v1, v3, vcc
	global_load_dword v1, v[8:9], off
	global_load_dword v11, v[8:9], off offset:1024
	global_load_dword v13, v[8:9], off offset:2048
	;; [unrolled: 1-line block ×3, first 2 shown]
	v_mov_b32_e32 v8, s29
	v_add_co_u32_e32 v2, vcc, s28, v2
	v_addc_co_u32_e32 v3, vcc, v8, v3, vcc
	global_load_dword v8, v[2:3], off
	global_load_dword v10, v[2:3], off offset:1024
	global_load_dword v12, v[2:3], off offset:2048
	;; [unrolled: 1-line block ×3, first 2 shown]
	v_mov_b32_e32 v9, s31
	s_mov_b32 s2, 0
	s_brev_b32 s3, 1
	s_waitcnt vmcnt(7)
	v_subrev_u32_e32 v2, s42, v1
	v_ashrrev_i32_e32 v3, 31, v2
	s_waitcnt vmcnt(6)
	v_subrev_u32_e32 v18, s42, v11
	v_lshlrev_b64 v[2:3], 3, v[2:3]
	v_ashrrev_i32_e32 v19, 31, v18
	v_add_co_u32_e32 v2, vcc, s30, v2
	s_waitcnt vmcnt(5)
	v_subrev_u32_e32 v20, s42, v13
	v_lshlrev_b64 v[18:19], 3, v[18:19]
	v_addc_co_u32_e32 v3, vcc, v9, v3, vcc
	v_ashrrev_i32_e32 v21, 31, v20
	v_add_co_u32_e32 v18, vcc, s30, v18
	s_waitcnt vmcnt(4)
	v_subrev_u32_e32 v22, s42, v15
	v_lshlrev_b64 v[20:21], 3, v[20:21]
	v_addc_co_u32_e32 v19, vcc, v9, v19, vcc
	v_ashrrev_i32_e32 v23, 31, v22
	v_add_co_u32_e32 v20, vcc, s30, v20
	v_lshlrev_b64 v[22:23], 3, v[22:23]
	v_addc_co_u32_e32 v21, vcc, v9, v21, vcc
	v_add_co_u32_e32 v22, vcc, s30, v22
	v_addc_co_u32_e32 v23, vcc, v9, v23, vcc
	global_load_dwordx2 v[24:25], v[2:3], off
	global_load_dwordx2 v[26:27], v[18:19], off
	;; [unrolled: 1-line block ×4, first 2 shown]
	v_pk_mul_f32 v[2:3], v[4:5], s[2:3]
	s_waitcnt vmcnt(7)
	v_pk_fma_f32 v[8:9], v[4:5], v[8:9], v[2:3] op_sel:[0,0,1] op_sel_hi:[1,0,0]
	s_waitcnt vmcnt(6)
	v_pk_fma_f32 v[10:11], v[4:5], v[10:11], v[2:3] op_sel:[0,0,1] op_sel_hi:[1,0,0]
	;; [unrolled: 2-line block ×4, first 2 shown]
	s_waitcnt vmcnt(3)
	v_pk_mul_f32 v[4:5], v[24:25], v[8:9] op_sel:[1,1] op_sel_hi:[1,0] neg_lo:[0,1]
	s_waitcnt vmcnt(2)
	v_pk_mul_f32 v[16:17], v[26:27], v[10:11] op_sel:[1,1] op_sel_hi:[1,0] neg_lo:[0,1]
	;; [unrolled: 2-line block ×4, first 2 shown]
	v_pk_fma_f32 v[4:5], v[8:9], v[24:25], v[4:5] op_sel_hi:[1,0,1]
	v_pk_fma_f32 v[8:9], v[10:11], v[26:27], v[16:17] op_sel_hi:[1,0,1]
	;; [unrolled: 1-line block ×4, first 2 shown]
	ds_write2st64_b64 v14, v[4:5], v[8:9] offset1:4
	ds_write2st64_b64 v14, v[10:11], v[2:3] offset0:8 offset1:12
.LBB85_96:
	s_or_b64 exec, exec, s[0:1]
	s_cmp_lt_i32 s33, 2
	s_mov_b64 s[0:1], -1
	s_waitcnt lgkmcnt(0)
	s_barrier
	s_cbranch_scc0 .LBB85_107
; %bb.97:
	v_mov_b32_e32 v1, s37
	v_add_co_u32_e32 v8, vcc, s36, v0
	v_addc_co_u32_e32 v9, vcc, 0, v1, vcc
	v_cmp_gt_i64_e32 vcc, s[38:39], v[8:9]
	s_and_saveexec_b64 s[2:3], vcc
	s_cbranch_execz .LBB85_106
; %bb.98:
	v_and_b32_e32 v1, 0x7fffffff, v6
	v_cmp_ne_u32_e32 vcc, 0, v1
	v_cmp_neq_f32_e64 s[0:1], 0, v7
	s_lshl_b32 s5, s40, 3
	s_mov_b32 s4, 0
	s_or_b64 s[0:1], vcc, s[0:1]
	v_xor_b32_e32 v10, 0x80000000, v7
	v_mov_b32_e32 v11, v6
	s_sub_i32 s12, 0, s5
	s_mov_b64 s[6:7], 0
	v_mov_b32_e32 v1, s25
	v_mov_b32_e32 v15, s23
	s_branch .LBB85_100
.LBB85_99:                              ;   in Loop: Header=BB85_100 Depth=1
	s_or_b64 exec, exec, s[8:9]
	v_add_co_u32_e32 v2, vcc, s22, v12
	v_addc_co_u32_e32 v3, vcc, v15, v13, vcc
	v_add_co_u32_e32 v8, vcc, 0x100, v8
	v_addc_co_u32_e32 v9, vcc, 0, v9, vcc
	v_cmp_le_i64_e32 vcc, s[38:39], v[8:9]
	s_or_b64 s[6:7], vcc, s[6:7]
	global_store_dwordx2 v[2:3], v[4:5], off
	s_andn2_b64 exec, exec, s[6:7]
	s_cbranch_execz .LBB85_106
.LBB85_100:                             ; =>This Loop Header: Depth=1
                                        ;     Child Loop BB85_102 Depth 2
	v_lshlrev_b64 v[12:13], 3, v[8:9]
	v_add_co_u32_e32 v2, vcc, s24, v12
	v_addc_co_u32_e32 v3, vcc, v1, v13, vcc
	global_load_dwordx4 v[2:5], v[2:3], off
	s_mov_b32 s5, s4
	s_waitcnt vmcnt(0)
	v_subrev_u32_e32 v3, s40, v2
	v_subrev_u32_e32 v16, s40, v4
	v_cmp_lt_i32_e32 vcc, v3, v16
	v_pk_mov_b32 v[4:5], s[4:5], s[4:5] op_sel:[0,1]
	s_and_saveexec_b64 s[8:9], vcc
	s_cbranch_execz .LBB85_104
; %bb.101:                              ;   in Loop: Header=BB85_100 Depth=1
	v_mov_b32_e32 v4, 0
	v_lshl_add_u32 v2, v2, 3, s12
	s_mov_b64 s[10:11], 0
	v_mov_b32_e32 v5, v4
.LBB85_102:                             ;   Parent Loop BB85_100 Depth=1
                                        ; =>  This Inner Loop Header: Depth=2
	ds_read_b64 v[18:19], v2
	v_add_u32_e32 v3, 1, v3
	v_cmp_ge_i32_e32 vcc, v3, v16
	v_add_u32_e32 v2, 8, v2
	s_or_b64 s[10:11], vcc, s[10:11]
	s_waitcnt lgkmcnt(0)
	v_pk_add_f32 v[4:5], v[4:5], v[18:19]
	s_andn2_b64 exec, exec, s[10:11]
	s_cbranch_execnz .LBB85_102
; %bb.103:                              ;   in Loop: Header=BB85_100 Depth=1
	s_or_b64 exec, exec, s[10:11]
.LBB85_104:                             ;   in Loop: Header=BB85_100 Depth=1
	s_or_b64 exec, exec, s[8:9]
	s_and_saveexec_b64 s[8:9], s[0:1]
	s_cbranch_execz .LBB85_99
; %bb.105:                              ;   in Loop: Header=BB85_100 Depth=1
	v_mov_b32_e32 v3, s23
	v_add_co_u32_e32 v2, vcc, s22, v12
	v_addc_co_u32_e32 v3, vcc, v3, v13, vcc
	global_load_dwordx2 v[2:3], v[2:3], off
	s_waitcnt vmcnt(0)
	v_pk_fma_f32 v[4:5], v[6:7], v[2:3], v[4:5] op_sel_hi:[1,0,1]
	v_pk_fma_f32 v[4:5], v[10:11], v[2:3], v[4:5] op_sel:[0,1,0]
	s_branch .LBB85_99
.LBB85_106:
	s_or_b64 exec, exec, s[2:3]
	s_mov_b64 s[0:1], 0
.LBB85_107:
	s_andn2_b64 vcc, exec, s[0:1]
	s_cbranch_vccnz .LBB85_132
; %bb.108:
	s_flbit_i32_b32 s0, s33
	s_xor_b32 s0, s0, 31
	v_lshrrev_b32_e32 v4, s0, v0
	v_mov_b32_e32 v1, s37
	v_add_co_u32_e32 v2, vcc, s36, v4
	s_mov_b32 s4, 0
	v_addc_co_u32_e32 v3, vcc, 0, v1, vcc
	s_add_i32 s0, s33, -1
	s_mov_b32 s5, s4
	v_and_b32_e32 v5, s0, v0
	v_cmp_le_i64_e32 vcc, s[38:39], v[2:3]
	v_cmp_gt_i64_e64 s[0:1], s[38:39], v[2:3]
	v_pk_mov_b32 v[0:1], s[4:5], s[4:5] op_sel:[0,1]
	s_and_saveexec_b64 s[2:3], s[0:1]
	s_cbranch_execz .LBB85_114
; %bb.109:
	v_lshlrev_b32_e32 v0, 3, v4
	global_load_dword v1, v0, s[34:35] offset:8
	global_load_dword v8, v0, s[34:35]
	s_waitcnt vmcnt(1)
	v_subrev_u32_e32 v4, s40, v1
	s_waitcnt vmcnt(0)
	v_subrev_u32_e32 v0, s40, v8
	v_add_u32_e32 v8, v5, v0
	v_cmp_lt_i32_e64 s[0:1], v8, v4
	v_pk_mov_b32 v[0:1], s[4:5], s[4:5] op_sel:[0,1]
	s_and_saveexec_b64 s[4:5], s[0:1]
	s_cbranch_execz .LBB85_113
; %bb.110:
	v_mov_b32_e32 v0, 0
	v_lshlrev_b32_e32 v9, 3, v8
	s_lshl_b32 s8, s33, 3
	s_mov_b64 s[6:7], 0
	v_mov_b32_e32 v1, v0
.LBB85_111:                             ; =>This Inner Loop Header: Depth=1
	ds_read_b64 v[10:11], v9
	v_add_u32_e32 v8, s33, v8
	v_cmp_ge_i32_e64 s[0:1], v8, v4
	v_add_u32_e32 v9, s8, v9
	s_or_b64 s[6:7], s[0:1], s[6:7]
	s_waitcnt lgkmcnt(0)
	v_pk_add_f32 v[0:1], v[0:1], v[10:11]
	s_andn2_b64 exec, exec, s[6:7]
	s_cbranch_execnz .LBB85_111
; %bb.112:
	s_or_b64 exec, exec, s[6:7]
.LBB85_113:
	s_or_b64 exec, exec, s[4:5]
.LBB85_114:
	s_or_b64 exec, exec, s[2:3]
	s_cmpk_lt_i32 s33, 0x81
	s_barrier
	ds_write_b64 v14, v[0:1]
	s_waitcnt lgkmcnt(0)
	s_barrier
	s_cbranch_scc1 .LBB85_116
; %bb.115:
	ds_read_b64 v[8:9], v14 offset:1024
	s_waitcnt lgkmcnt(0)
	s_barrier
	v_pk_add_f32 v[0:1], v[0:1], v[8:9]
	ds_write_b64 v14, v[0:1]
.LBB85_116:
	s_cmpk_lt_i32 s33, 0x41
	s_waitcnt lgkmcnt(0)
	s_barrier
	s_cbranch_scc1 .LBB85_118
; %bb.117:
	ds_read_b64 v[8:9], v14 offset:512
	s_waitcnt lgkmcnt(0)
	s_barrier
	v_pk_add_f32 v[0:1], v[0:1], v[8:9]
	ds_write_b64 v14, v[0:1]
.LBB85_118:
	s_cmp_lt_i32 s33, 33
	s_waitcnt lgkmcnt(0)
	s_barrier
	s_cbranch_scc1 .LBB85_120
; %bb.119:
	ds_read_b64 v[8:9], v14 offset:256
	s_waitcnt lgkmcnt(0)
	s_barrier
	v_pk_add_f32 v[0:1], v[0:1], v[8:9]
	ds_write_b64 v14, v[0:1]
.LBB85_120:
	s_cmp_lt_i32 s33, 17
	;; [unrolled: 11-line block ×4, first 2 shown]
	s_waitcnt lgkmcnt(0)
	s_barrier
	s_cbranch_scc1 .LBB85_126
; %bb.125:
	ds_read_b64 v[8:9], v14 offset:32
	s_waitcnt lgkmcnt(0)
	s_barrier
	v_pk_add_f32 v[0:1], v[0:1], v[8:9]
	ds_write_b64 v14, v[0:1]
.LBB85_126:
	s_cmp_eq_u32 s33, 2
	s_waitcnt lgkmcnt(0)
	s_barrier
	s_cbranch_scc1 .LBB85_128
; %bb.127:
	ds_read_b64 v[8:9], v14 offset:16
	s_waitcnt lgkmcnt(0)
	s_barrier
	v_pk_add_f32 v[0:1], v[0:1], v[8:9]
	ds_write_b64 v14, v[0:1]
.LBB85_128:
	s_waitcnt lgkmcnt(0)
	s_barrier
	ds_read_b64 v[8:9], v14 offset:8
	v_cmp_eq_u32_e64 s[0:1], 0, v5
	s_xor_b64 s[2:3], vcc, -1
	s_and_b64 s[0:1], s[0:1], s[2:3]
	s_waitcnt lgkmcnt(0)
	v_pk_add_f32 v[0:1], v[0:1], v[8:9]
	s_barrier
	ds_write_b64 v14, v[0:1]
	s_and_b64 exec, exec, s[0:1]
	s_cbranch_execz .LBB85_132
; %bb.129:
	v_and_b32_e32 v4, 0x7fffffff, v6
	v_cmp_ne_u32_e32 vcc, 0, v4
	v_cmp_neq_f32_e64 s[0:1], 0, v7
	s_or_b64 s[2:3], vcc, s[0:1]
	v_lshlrev_b64 v[2:3], 3, v[2:3]
	s_and_saveexec_b64 s[0:1], s[2:3]
	s_cbranch_execz .LBB85_131
; %bb.130:
	v_mov_b32_e32 v5, s23
	v_add_co_u32_e32 v4, vcc, s22, v2
	v_addc_co_u32_e32 v5, vcc, v5, v3, vcc
	global_load_dwordx2 v[4:5], v[4:5], off
	v_xor_b32_e32 v8, 0x80000000, v7
	v_mov_b32_e32 v9, v6
	s_waitcnt vmcnt(0)
	v_pk_fma_f32 v[0:1], v[6:7], v[4:5], v[0:1] op_sel_hi:[1,0,1]
	v_pk_fma_f32 v[0:1], v[8:9], v[4:5], v[0:1] op_sel:[0,1,0]
.LBB85_131:
	s_or_b64 exec, exec, s[0:1]
	v_mov_b32_e32 v4, s23
	v_add_co_u32_e32 v2, vcc, s22, v2
	v_addc_co_u32_e32 v3, vcc, v4, v3, vcc
	global_store_dwordx2 v[2:3], v[0:1], off
.LBB85_132:
	s_endpgm
	.section	.rodata,"a",@progbits
	.p2align	6, 0x0
	.amdhsa_kernel _ZN9rocsparseL22csrmvn_adaptive_kernelIlif21rocsparse_complex_numIfES2_S2_EEvbT_PKS3_PjPKT0_NS_24const_host_device_scalarIT4_EES5_S9_PKT1_PKT2_SC_PT3_21rocsparse_index_base_b
		.amdhsa_group_segment_fixed_size 8192
		.amdhsa_private_segment_fixed_size 0
		.amdhsa_kernarg_size 104
		.amdhsa_user_sgpr_count 6
		.amdhsa_user_sgpr_private_segment_buffer 1
		.amdhsa_user_sgpr_dispatch_ptr 0
		.amdhsa_user_sgpr_queue_ptr 0
		.amdhsa_user_sgpr_kernarg_segment_ptr 1
		.amdhsa_user_sgpr_dispatch_id 0
		.amdhsa_user_sgpr_flat_scratch_init 0
		.amdhsa_user_sgpr_kernarg_preload_length 0
		.amdhsa_user_sgpr_kernarg_preload_offset 0
		.amdhsa_user_sgpr_private_segment_size 0
		.amdhsa_uses_dynamic_stack 0
		.amdhsa_system_sgpr_private_segment_wavefront_offset 0
		.amdhsa_system_sgpr_workgroup_id_x 1
		.amdhsa_system_sgpr_workgroup_id_y 0
		.amdhsa_system_sgpr_workgroup_id_z 0
		.amdhsa_system_sgpr_workgroup_info 0
		.amdhsa_system_vgpr_workitem_id 0
		.amdhsa_next_free_vgpr 41
		.amdhsa_next_free_sgpr 63
		.amdhsa_accum_offset 44
		.amdhsa_reserve_vcc 1
		.amdhsa_reserve_flat_scratch 0
		.amdhsa_float_round_mode_32 0
		.amdhsa_float_round_mode_16_64 0
		.amdhsa_float_denorm_mode_32 3
		.amdhsa_float_denorm_mode_16_64 3
		.amdhsa_dx10_clamp 1
		.amdhsa_ieee_mode 1
		.amdhsa_fp16_overflow 0
		.amdhsa_tg_split 0
		.amdhsa_exception_fp_ieee_invalid_op 0
		.amdhsa_exception_fp_denorm_src 0
		.amdhsa_exception_fp_ieee_div_zero 0
		.amdhsa_exception_fp_ieee_overflow 0
		.amdhsa_exception_fp_ieee_underflow 0
		.amdhsa_exception_fp_ieee_inexact 0
		.amdhsa_exception_int_div_zero 0
	.end_amdhsa_kernel
	.section	.text._ZN9rocsparseL22csrmvn_adaptive_kernelIlif21rocsparse_complex_numIfES2_S2_EEvbT_PKS3_PjPKT0_NS_24const_host_device_scalarIT4_EES5_S9_PKT1_PKT2_SC_PT3_21rocsparse_index_base_b,"axG",@progbits,_ZN9rocsparseL22csrmvn_adaptive_kernelIlif21rocsparse_complex_numIfES2_S2_EEvbT_PKS3_PjPKT0_NS_24const_host_device_scalarIT4_EES5_S9_PKT1_PKT2_SC_PT3_21rocsparse_index_base_b,comdat
.Lfunc_end85:
	.size	_ZN9rocsparseL22csrmvn_adaptive_kernelIlif21rocsparse_complex_numIfES2_S2_EEvbT_PKS3_PjPKT0_NS_24const_host_device_scalarIT4_EES5_S9_PKT1_PKT2_SC_PT3_21rocsparse_index_base_b, .Lfunc_end85-_ZN9rocsparseL22csrmvn_adaptive_kernelIlif21rocsparse_complex_numIfES2_S2_EEvbT_PKS3_PjPKT0_NS_24const_host_device_scalarIT4_EES5_S9_PKT1_PKT2_SC_PT3_21rocsparse_index_base_b
                                        ; -- End function
	.section	.AMDGPU.csdata,"",@progbits
; Kernel info:
; codeLenInByte = 5476
; NumSgprs: 67
; NumVgprs: 41
; NumAgprs: 0
; TotalNumVgprs: 41
; ScratchSize: 0
; MemoryBound: 0
; FloatMode: 240
; IeeeMode: 1
; LDSByteSize: 8192 bytes/workgroup (compile time only)
; SGPRBlocks: 8
; VGPRBlocks: 5
; NumSGPRsForWavesPerEU: 67
; NumVGPRsForWavesPerEU: 41
; AccumOffset: 44
; Occupancy: 8
; WaveLimiterHint : 1
; COMPUTE_PGM_RSRC2:SCRATCH_EN: 0
; COMPUTE_PGM_RSRC2:USER_SGPR: 6
; COMPUTE_PGM_RSRC2:TRAP_HANDLER: 0
; COMPUTE_PGM_RSRC2:TGID_X_EN: 1
; COMPUTE_PGM_RSRC2:TGID_Y_EN: 0
; COMPUTE_PGM_RSRC2:TGID_Z_EN: 0
; COMPUTE_PGM_RSRC2:TIDIG_COMP_CNT: 0
; COMPUTE_PGM_RSRC3_GFX90A:ACCUM_OFFSET: 10
; COMPUTE_PGM_RSRC3_GFX90A:TG_SPLIT: 0
	.section	.text._ZN9rocsparseL27csrmvn_symm_adaptive_kernelIlif21rocsparse_complex_numIfES2_S2_EEvbT_S3_PKS3_NS_24const_host_device_scalarIT4_EES5_PKT0_PKT1_PKT2_S8_PT3_21rocsparse_index_base_b,"axG",@progbits,_ZN9rocsparseL27csrmvn_symm_adaptive_kernelIlif21rocsparse_complex_numIfES2_S2_EEvbT_S3_PKS3_NS_24const_host_device_scalarIT4_EES5_PKT0_PKT1_PKT2_S8_PT3_21rocsparse_index_base_b,comdat
	.globl	_ZN9rocsparseL27csrmvn_symm_adaptive_kernelIlif21rocsparse_complex_numIfES2_S2_EEvbT_S3_PKS3_NS_24const_host_device_scalarIT4_EES5_PKT0_PKT1_PKT2_S8_PT3_21rocsparse_index_base_b ; -- Begin function _ZN9rocsparseL27csrmvn_symm_adaptive_kernelIlif21rocsparse_complex_numIfES2_S2_EEvbT_S3_PKS3_NS_24const_host_device_scalarIT4_EES5_PKT0_PKT1_PKT2_S8_PT3_21rocsparse_index_base_b
	.p2align	8
	.type	_ZN9rocsparseL27csrmvn_symm_adaptive_kernelIlif21rocsparse_complex_numIfES2_S2_EEvbT_S3_PKS3_NS_24const_host_device_scalarIT4_EES5_PKT0_PKT1_PKT2_S8_PT3_21rocsparse_index_base_b,@function
_ZN9rocsparseL27csrmvn_symm_adaptive_kernelIlif21rocsparse_complex_numIfES2_S2_EEvbT_S3_PKS3_NS_24const_host_device_scalarIT4_EES5_PKT0_PKT1_PKT2_S8_PT3_21rocsparse_index_base_b: ; @_ZN9rocsparseL27csrmvn_symm_adaptive_kernelIlif21rocsparse_complex_numIfES2_S2_EEvbT_S3_PKS3_NS_24const_host_device_scalarIT4_EES5_PKT0_PKT1_PKT2_S8_PT3_21rocsparse_index_base_b
; %bb.0:
	s_load_dwordx2 s[30:31], s[4:5], 0x58
	s_load_dwordx2 s[8:9], s[4:5], 0x20
	;; [unrolled: 1-line block ×3, first 2 shown]
	s_waitcnt lgkmcnt(0)
	s_bitcmp1_b32 s31, 0
	s_cselect_b64 s[0:1], -1, 0
	s_xor_b64 s[10:11], s[0:1], -1
	s_and_b64 vcc, exec, s[0:1]
	v_mov_b32_e32 v2, s8
	s_cbranch_vccnz .LBB86_2
; %bb.1:
	v_pk_mov_b32 v[2:3], s[8:9], s[8:9] op_sel:[0,1]
	flat_load_dword v2, v[2:3]
.LBB86_2:
	v_cndmask_b32_e64 v1, 0, 1, s[10:11]
	v_cmp_ne_u32_e64 s[0:1], 1, v1
	s_andn2_b64 vcc, exec, s[10:11]
	v_mov_b32_e32 v3, s9
	s_cbranch_vccz .LBB86_12
; %bb.3:
	s_and_b64 vcc, exec, s[0:1]
	v_mov_b32_e32 v1, s2
	s_cbranch_vccz .LBB86_13
.LBB86_4:
	s_and_b64 vcc, exec, s[0:1]
	v_mov_b32_e32 v4, s3
	s_cbranch_vccnz .LBB86_6
.LBB86_5:
	v_pk_mov_b32 v[4:5], s[2:3], s[2:3] op_sel:[0,1]
	flat_load_dword v4, v[4:5] offset:4
.LBB86_6:
	s_waitcnt vmcnt(0) lgkmcnt(0)
	v_cmp_eq_f32_e32 vcc, 0, v2
	v_cmp_eq_f32_e64 s[0:1], 0, v3
	s_and_b64 s[8:9], vcc, s[0:1]
	s_mov_b64 s[0:1], -1
	s_and_saveexec_b64 s[2:3], s[8:9]
; %bb.7:
	v_cmp_neq_f32_e32 vcc, 1.0, v1
	v_and_b32_e32 v1, 0x7fffffff, v4
	v_cmp_ne_u32_e64 s[0:1], 0, v1
	s_or_b64 s[0:1], vcc, s[0:1]
	s_orn2_b64 s[0:1], s[0:1], exec
; %bb.8:
	s_or_b64 exec, exec, s[2:3]
	s_and_saveexec_b64 s[2:3], s[0:1]
	s_cbranch_execz .LBB86_216
; %bb.9:
	s_load_dwordx2 s[0:1], s[4:5], 0x18
	s_mov_b32 s31, 0
	s_mov_b32 s2, s31
	;; [unrolled: 1-line block ×3, first 2 shown]
	s_ashr_i32 s7, s6, 31
	v_pk_mov_b32 v[4:5], s[2:3], s[2:3] op_sel:[0,1]
	s_lshl_b64 s[2:3], s[6:7], 3
	s_waitcnt lgkmcnt(0)
	s_add_u32 s0, s0, s2
	v_lshlrev_b32_e32 v28, 3, v0
	s_addc_u32 s1, s1, s3
	ds_write2st64_b64 v28, v[4:5], v[4:5] offset1:4
	ds_write2st64_b64 v28, v[4:5], v[4:5] offset0:8 offset1:12
	s_waitcnt lgkmcnt(0)
	s_barrier
	s_load_dwordx4 s[24:27], s[0:1], 0x0
	s_load_dwordx8 s[16:23], s[4:5], 0x28
	s_load_dwordx2 s[14:15], s[4:5], 0x50
	s_mov_b64 s[0:1], -1
	s_waitcnt lgkmcnt(0)
	s_sub_u32 s28, s26, s24
	s_subb_u32 s29, s27, s25
	v_cmp_gt_i64_e64 s[2:3], s[28:29], 2
	s_and_b64 vcc, exec, s[2:3]
	s_cbranch_vccnz .LBB86_57
; %bb.10:
	v_pk_mov_b32 v[4:5], s[24:25], s[24:25] op_sel:[0,1]
	v_cmp_gt_i64_e32 vcc, s[26:27], v[4:5]
	v_subrev_co_u32_e64 v1, s[0:1], s30, v0
	v_subb_co_u32_e64 v18, s[0:1], 0, 0, s[0:1]
	s_cbranch_vccnz .LBB86_14
; %bb.11:
	s_lshl_b64 s[0:1], s[24:25], 3
	s_add_u32 s0, s16, s0
	s_addc_u32 s1, s17, s1
	s_load_dwordx2 s[34:35], s[0:1], 0x0
	s_cbranch_execz .LBB86_15
	s_branch .LBB86_44
.LBB86_12:
	v_pk_mov_b32 v[4:5], s[8:9], s[8:9] op_sel:[0,1]
	flat_load_dword v3, v[4:5] offset:4
	s_and_b64 vcc, exec, s[0:1]
	v_mov_b32_e32 v1, s2
	s_cbranch_vccnz .LBB86_4
.LBB86_13:
	v_pk_mov_b32 v[4:5], s[2:3], s[2:3] op_sel:[0,1]
	flat_load_dword v1, v[4:5]
	s_and_b64 vcc, exec, s[0:1]
	v_mov_b32_e32 v4, s3
	s_cbranch_vccz .LBB86_5
	s_branch .LBB86_6
.LBB86_14:
                                        ; implicit-def: $sgpr34_sgpr35
.LBB86_15:
	s_lshl_b64 s[12:13], s[24:25], 3
	s_add_u32 s12, s16, s12
	s_addc_u32 s13, s17, s13
	s_waitcnt lgkmcnt(0)
	s_load_dwordx2 s[34:35], s[12:13], 0x0
	s_movk_i32 s33, 0x100
	s_add_u32 s48, s16, 8
	v_cmp_gt_u32_e64 s[0:1], s33, v0
	v_cmp_gt_u32_e64 s[2:3], 64, v0
	;; [unrolled: 1-line block ×4, first 2 shown]
	v_cmp_eq_u32_e64 s[10:11], 0, v0
	s_addc_u32 s49, s17, 0
	v_mov_b32_e32 v19, s23
	v_mov_b32_e32 v5, 0
	v_bfrev_b32_e32 v6, 1
	v_pk_mov_b32 v[8:9], s[26:27], s[26:27] op_sel:[0,1]
	s_waitcnt lgkmcnt(0)
	s_mov_b64 s[38:39], s[34:35]
	s_mov_b64 s[36:37], s[24:25]
	s_branch .LBB86_17
.LBB86_16:                              ;   in Loop: Header=BB86_17 Depth=1
	s_or_b64 exec, exec, s[12:13]
	s_add_u32 s36, s36, 1
	s_addc_u32 s37, s37, 0
	v_cmp_ge_i64_e32 vcc, s[36:37], v[8:9]
	s_cbranch_vccnz .LBB86_44
.LBB86_17:                              ; =>This Loop Header: Depth=1
                                        ;     Child Loop BB86_19 Depth 2
                                        ;     Child Loop BB86_33 Depth 2
	;; [unrolled: 1-line block ×5, first 2 shown]
	s_lshl_b64 s[40:41], s[36:37], 3
	s_mov_b64 s[12:13], s[38:39]
	s_add_u32 s38, s48, s40
	s_addc_u32 s39, s49, s41
	s_load_dwordx2 s[38:39], s[38:39], 0x0
	v_mov_b32_e32 v4, s13
	v_add_co_u32_e32 v10, vcc, s12, v1
	v_addc_co_u32_e32 v11, vcc, v4, v18, vcc
	s_waitcnt lgkmcnt(0)
	s_sub_u32 s42, s38, s30
	s_subb_u32 s43, s39, 0
	v_cmp_gt_i64_e32 vcc, s[42:43], v[10:11]
	v_mov_b32_e32 v13, v5
	v_mov_b32_e32 v12, v5
	s_and_saveexec_b64 s[44:45], vcc
	s_cbranch_execz .LBB86_21
; %bb.18:                               ;   in Loop: Header=BB86_17 Depth=1
	v_lshlrev_b64 v[12:13], 2, v[10:11]
	v_mov_b32_e32 v4, s19
	v_add_co_u32_e32 v14, vcc, s18, v12
	v_addc_co_u32_e32 v15, vcc, v4, v13, vcc
	v_mov_b32_e32 v4, s21
	v_add_co_u32_e32 v16, vcc, s20, v12
	v_mov_b32_e32 v12, 0
	v_addc_co_u32_e32 v17, vcc, v4, v13, vcc
	s_mov_b64 s[46:47], 0
	v_mov_b32_e32 v13, v12
.LBB86_19:                              ;   Parent Loop BB86_17 Depth=1
                                        ; =>  This Inner Loop Header: Depth=2
	global_load_dword v7, v[14:15], off
	global_load_dword v4, v[16:17], off
	s_waitcnt vmcnt(1)
	v_subrev_u32_e32 v20, s30, v7
	v_ashrrev_i32_e32 v21, 31, v20
	v_lshlrev_b64 v[20:21], 3, v[20:21]
	v_add_co_u32_e32 v20, vcc, s22, v20
	v_addc_co_u32_e32 v21, vcc, v19, v21, vcc
	global_load_dwordx2 v[20:21], v[20:21], off
	v_add_co_u32_e32 v10, vcc, s33, v10
	v_addc_co_u32_e32 v11, vcc, 0, v11, vcc
	v_add_co_u32_e32 v14, vcc, 0x400, v14
	v_addc_co_u32_e32 v15, vcc, 0, v15, vcc
	v_add_co_u32_e32 v16, vcc, 0x400, v16
	v_cmp_le_i64_e64 s[12:13], s[42:43], v[10:11]
	s_waitcnt vmcnt(1)
	v_mov_b32_e32 v7, v4
	v_addc_co_u32_e32 v17, vcc, 0, v17, vcc
	s_or_b64 s[46:47], s[12:13], s[46:47]
	s_waitcnt vmcnt(0)
	v_pk_fma_f32 v[12:13], v[20:21], v[4:5], v[12:13] op_sel_hi:[0,1,1]
	v_pk_fma_f32 v[12:13], v[20:21], v[6:7], v[12:13] op_sel:[1,0,0]
	s_andn2_b64 exec, exec, s[46:47]
	s_cbranch_execnz .LBB86_19
; %bb.20:                               ;   in Loop: Header=BB86_17 Depth=1
	s_or_b64 exec, exec, s[46:47]
.LBB86_21:                              ;   in Loop: Header=BB86_17 Depth=1
	s_or_b64 exec, exec, s[44:45]
	ds_write_b64 v28, v[12:13]
	s_waitcnt lgkmcnt(0)
	s_barrier
	s_and_saveexec_b64 s[12:13], s[0:1]
	s_cbranch_execz .LBB86_23
; %bb.22:                               ;   in Loop: Header=BB86_17 Depth=1
	ds_read2st64_b64 v[10:13], v28 offset1:4
	ds_read2st64_b64 v[14:17], v28 offset0:8 offset1:12
	s_waitcnt lgkmcnt(0)
	v_pk_add_f32 v[12:13], v[14:15], v[12:13]
	v_pk_add_f32 v[12:13], v[12:13], v[16:17]
	;; [unrolled: 1-line block ×3, first 2 shown]
	ds_write_b64 v28, v[10:11]
.LBB86_23:                              ;   in Loop: Header=BB86_17 Depth=1
	s_or_b64 exec, exec, s[12:13]
	s_waitcnt lgkmcnt(0)
	s_barrier
	s_and_saveexec_b64 s[12:13], s[2:3]
	s_cbranch_execz .LBB86_25
; %bb.24:                               ;   in Loop: Header=BB86_17 Depth=1
	ds_read2st64_b64 v[10:13], v28 offset1:1
	ds_read2st64_b64 v[14:17], v28 offset0:2 offset1:3
	s_waitcnt lgkmcnt(0)
	v_pk_add_f32 v[12:13], v[14:15], v[12:13]
	v_pk_add_f32 v[12:13], v[12:13], v[16:17]
	v_pk_add_f32 v[10:11], v[12:13], v[10:11]
	ds_write_b64 v28, v[10:11]
.LBB86_25:                              ;   in Loop: Header=BB86_17 Depth=1
	s_or_b64 exec, exec, s[12:13]
	s_waitcnt lgkmcnt(0)
	s_barrier
	s_and_saveexec_b64 s[12:13], s[6:7]
	s_cbranch_execz .LBB86_27
; %bb.26:                               ;   in Loop: Header=BB86_17 Depth=1
	ds_read2_b64 v[10:13], v28 offset1:16
	ds_read2_b64 v[14:17], v28 offset0:32 offset1:48
	s_waitcnt lgkmcnt(0)
	v_pk_add_f32 v[12:13], v[14:15], v[12:13]
	v_pk_add_f32 v[12:13], v[12:13], v[16:17]
	;; [unrolled: 1-line block ×3, first 2 shown]
	ds_write_b64 v28, v[10:11]
.LBB86_27:                              ;   in Loop: Header=BB86_17 Depth=1
	s_or_b64 exec, exec, s[12:13]
	s_waitcnt lgkmcnt(0)
	s_barrier
	s_and_saveexec_b64 s[12:13], s[8:9]
	s_cbranch_execz .LBB86_29
; %bb.28:                               ;   in Loop: Header=BB86_17 Depth=1
	ds_read2_b64 v[10:13], v28 offset1:4
	ds_read2_b64 v[14:17], v28 offset0:8 offset1:12
	s_waitcnt lgkmcnt(0)
	v_pk_add_f32 v[12:13], v[14:15], v[12:13]
	v_pk_add_f32 v[12:13], v[12:13], v[16:17]
	;; [unrolled: 1-line block ×3, first 2 shown]
	ds_write_b64 v28, v[10:11]
.LBB86_29:                              ;   in Loop: Header=BB86_17 Depth=1
	s_or_b64 exec, exec, s[12:13]
	s_waitcnt lgkmcnt(0)
	s_barrier
	s_and_saveexec_b64 s[12:13], s[10:11]
	s_cbranch_execz .LBB86_31
; %bb.30:                               ;   in Loop: Header=BB86_17 Depth=1
	ds_read_b128 v[10:13], v5 offset:16
	ds_read_b64 v[14:15], v5 offset:8
	ds_read_b64 v[16:17], v28
	s_waitcnt lgkmcnt(1)
	v_pk_add_f32 v[10:11], v[10:11], v[14:15]
	v_pk_add_f32 v[10:11], v[10:11], v[12:13]
	s_waitcnt lgkmcnt(0)
	v_pk_add_f32 v[10:11], v[10:11], v[16:17]
	ds_write_b64 v28, v[10:11]
.LBB86_31:                              ;   in Loop: Header=BB86_17 Depth=1
	s_or_b64 exec, exec, s[12:13]
	s_waitcnt lgkmcnt(0)
	s_barrier
	s_and_saveexec_b64 s[12:13], s[10:11]
	s_cbranch_execz .LBB86_16
; %bb.32:                               ;   in Loop: Header=BB86_17 Depth=1
	ds_read_b64 v[10:11], v5
	s_mov_b64 s[42:43], exec
	v_bfrev_b32_e32 v4, 1
	s_waitcnt lgkmcnt(0)
	v_mul_f32_e64 v7, v11, -v3
	v_fmac_f32_e32 v7, v2, v10
.LBB86_33:                              ;   Parent Loop BB86_17 Depth=1
                                        ; =>  This Inner Loop Header: Depth=2
	s_ff1_i32_b64 s44, s[42:43]
	v_readlane_b32 s46, v7, s44
	s_lshl_b64 s[44:45], 1, s44
	s_andn2_b64 s[42:43], s[42:43], s[44:45]
	s_cmp_lg_u64 s[42:43], 0
	v_add_f32_e32 v4, s46, v4
	s_cbranch_scc1 .LBB86_33
; %bb.34:                               ;   in Loop: Header=BB86_17 Depth=1
	v_mbcnt_lo_u32_b32 v7, exec_lo, 0
	s_add_u32 s40, s14, s40
	v_mbcnt_hi_u32_b32 v7, exec_hi, v7
	s_addc_u32 s41, s15, s41
	v_cmp_eq_u32_e32 vcc, 0, v7
	s_and_saveexec_b64 s[42:43], vcc
	s_xor_b64 s[42:43], exec, s[42:43]
	s_cbranch_execz .LBB86_38
; %bb.35:                               ;   in Loop: Header=BB86_17 Depth=1
	global_load_dword v13, v5, s[40:41]
	s_mov_b64 s[44:45], 0
.LBB86_36:                              ;   Parent Loop BB86_17 Depth=1
                                        ; =>  This Inner Loop Header: Depth=2
	s_waitcnt vmcnt(0)
	v_add_f32_e32 v12, v13, v4
	global_atomic_cmpswap v7, v5, v[12:13], s[40:41] glc
	s_waitcnt vmcnt(0)
	v_cmp_eq_u32_e32 vcc, v7, v13
	s_or_b64 s[44:45], vcc, s[44:45]
	v_mov_b32_e32 v13, v7
	s_andn2_b64 exec, exec, s[44:45]
	s_cbranch_execnz .LBB86_36
; %bb.37:                               ;   in Loop: Header=BB86_17 Depth=1
	s_or_b64 exec, exec, s[44:45]
.LBB86_38:                              ;   in Loop: Header=BB86_17 Depth=1
	s_or_b64 exec, exec, s[42:43]
	v_mul_f32_e32 v7, v11, v2
	s_mov_b64 s[42:43], exec
	v_fmac_f32_e32 v7, v3, v10
	v_bfrev_b32_e32 v4, 1
.LBB86_39:                              ;   Parent Loop BB86_17 Depth=1
                                        ; =>  This Inner Loop Header: Depth=2
	s_ff1_i32_b64 s44, s[42:43]
	v_readlane_b32 s46, v7, s44
	s_lshl_b64 s[44:45], 1, s44
	s_andn2_b64 s[42:43], s[42:43], s[44:45]
	s_cmp_lg_u64 s[42:43], 0
	v_add_f32_e32 v4, s46, v4
	s_cbranch_scc1 .LBB86_39
; %bb.40:                               ;   in Loop: Header=BB86_17 Depth=1
	v_mbcnt_lo_u32_b32 v7, exec_lo, 0
	v_mbcnt_hi_u32_b32 v7, exec_hi, v7
	v_cmp_eq_u32_e32 vcc, 0, v7
	s_and_saveexec_b64 s[42:43], vcc
	s_xor_b64 s[42:43], exec, s[42:43]
	s_cbranch_execz .LBB86_16
; %bb.41:                               ;   in Loop: Header=BB86_17 Depth=1
	global_load_dword v11, v5, s[40:41] offset:4
	s_mov_b64 s[42:43], 0
.LBB86_42:                              ;   Parent Loop BB86_17 Depth=1
                                        ; =>  This Inner Loop Header: Depth=2
	s_waitcnt vmcnt(0)
	v_add_f32_e32 v10, v11, v4
	global_atomic_cmpswap v7, v5, v[10:11], s[40:41] offset:4 glc
	s_waitcnt vmcnt(0)
	v_cmp_eq_u32_e32 vcc, v7, v11
	s_or_b64 s[42:43], vcc, s[42:43]
	v_mov_b32_e32 v11, v7
	s_andn2_b64 exec, exec, s[42:43]
	s_cbranch_execnz .LBB86_42
; %bb.43:                               ;   in Loop: Header=BB86_17 Depth=1
	s_or_b64 exec, exec, s[42:43]
	s_branch .LBB86_16
.LBB86_44:
	s_lshl_b64 s[0:1], s[26:27], 3
	s_add_u32 s0, s16, s0
	s_addc_u32 s1, s17, s1
	s_load_dwordx2 s[0:1], s[0:1], 0x0
	s_waitcnt lgkmcnt(0)
	v_mov_b32_e32 v5, s35
	v_add_co_u32_e32 v4, vcc, s34, v1
	v_addc_co_u32_e32 v5, vcc, v5, v18, vcc
	s_sub_u32 s6, s0, s30
	s_subb_u32 s7, s1, 0
	v_cmp_gt_i64_e32 vcc, s[6:7], v[4:5]
	s_and_saveexec_b64 s[8:9], vcc
	s_cbranch_execz .LBB86_56
; %bb.45:
	s_add_u32 s10, s26, -1
	s_addc_u32 s11, s27, -1
	s_add_u32 s0, s26, -2
	s_addc_u32 s1, s27, -1
	v_pk_mov_b32 v[6:7], s[24:25], s[24:25] op_sel:[0,1]
	s_cmp_lg_u64 s[0:1], s[24:25]
	v_cmp_gt_i64_e32 vcc, s[10:11], v[6:7]
	s_cselect_b64 s[0:1], -1, 0
	s_and_b64 s[0:1], vcc, s[0:1]
	v_cndmask_b32_e64 v6, 0, 1, s[0:1]
	v_mul_f32_e32 v1, 0x80000000, v3
	v_mul_f32_e32 v14, 0, v2
	s_mov_b64 s[12:13], 0
	v_cmp_ne_u32_e64 s[0:1], 1, v6
	v_mov_b32_e32 v15, s17
	v_mov_b32_e32 v16, s31
	;; [unrolled: 1-line block ×3, first 2 shown]
	s_branch .LBB86_47
.LBB86_46:                              ;   in Loop: Header=BB86_47 Depth=1
	s_or_b64 exec, exec, s[2:3]
	v_add_co_u32_e32 v4, vcc, 0x100, v4
	v_addc_co_u32_e32 v5, vcc, 0, v5, vcc
	v_cmp_le_i64_e32 vcc, s[6:7], v[4:5]
	s_or_b64 s[12:13], vcc, s[12:13]
	s_andn2_b64 exec, exec, s[12:13]
	s_cbranch_execz .LBB86_56
.LBB86_47:                              ; =>This Loop Header: Depth=1
                                        ;     Child Loop BB86_49 Depth 2
                                        ;     Child Loop BB86_53 Depth 2
                                        ;     Child Loop BB86_55 Depth 2
	s_and_b64 vcc, exec, s[0:1]
	v_pk_mov_b32 v[6:7], s[24:25], s[24:25] op_sel:[0,1]
	v_pk_mov_b32 v[8:9], s[10:11], s[10:11] op_sel:[0,1]
	s_cbranch_vccnz .LBB86_51
; %bb.48:                               ;   in Loop: Header=BB86_47 Depth=1
	s_mov_b64 s[34:35], 0
	v_pk_mov_b32 v[6:7], s[24:25], s[24:25] op_sel:[0,1]
	v_pk_mov_b32 v[8:9], s[10:11], s[10:11] op_sel:[0,1]
.LBB86_49:                              ;   Parent Loop BB86_47 Depth=1
                                        ; =>  This Inner Loop Header: Depth=2
	v_add_co_u32_e32 v10, vcc, v8, v6
	v_addc_co_u32_e32 v11, vcc, v9, v7, vcc
	v_lshrrev_b32_e32 v12, 31, v11
	v_add_co_u32_e32 v10, vcc, v10, v12
	v_addc_co_u32_e32 v11, vcc, 0, v11, vcc
	v_ashrrev_i64 v[10:11], 1, v[10:11]
	v_lshlrev_b64 v[12:13], 3, v[10:11]
	v_mov_b32_e32 v18, s17
	v_add_co_u32_e32 v12, vcc, s16, v12
	v_addc_co_u32_e32 v13, vcc, v18, v13, vcc
	global_load_dwordx2 v[12:13], v[12:13], off
	v_mov_b32_e32 v18, s31
	s_waitcnt vmcnt(0)
	v_subrev_co_u32_e32 v12, vcc, s30, v12
	v_subb_co_u32_e32 v13, vcc, v13, v18, vcc
	v_cmp_gt_i64_e32 vcc, v[12:13], v[4:5]
	v_cndmask_b32_e32 v8, v8, v10, vcc
	v_cndmask_b32_e32 v9, v9, v11, vcc
	;; [unrolled: 1-line block ×3, first 2 shown]
	v_add_co_u32_e64 v10, s[2:3], -1, v8
	v_cndmask_b32_e32 v7, v11, v7, vcc
	v_addc_co_u32_e64 v11, s[2:3], -1, v9, s[2:3]
	v_cmp_ge_i64_e32 vcc, v[6:7], v[8:9]
	v_cmp_eq_u64_e64 s[2:3], v[6:7], v[10:11]
	s_or_b64 s[2:3], vcc, s[2:3]
	s_and_b64 s[2:3], exec, s[2:3]
	s_or_b64 s[34:35], s[2:3], s[34:35]
	s_andn2_b64 exec, exec, s[34:35]
	s_cbranch_execnz .LBB86_49
; %bb.50:                               ;   in Loop: Header=BB86_47 Depth=1
	s_or_b64 exec, exec, s[34:35]
.LBB86_51:                              ;   in Loop: Header=BB86_47 Depth=1
	v_lshlrev_b64 v[10:11], 3, v[8:9]
	v_add_co_u32_e32 v10, vcc, s16, v10
	v_addc_co_u32_e32 v11, vcc, v15, v11, vcc
	global_load_dwordx2 v[12:13], v[10:11], off
	v_lshlrev_b64 v[10:11], 2, v[4:5]
	v_add_co_u32_e32 v18, vcc, s18, v10
	v_addc_co_u32_e32 v19, vcc, v17, v11, vcc
	global_load_dword v20, v[18:19], off
	s_waitcnt vmcnt(1)
	v_subrev_co_u32_e32 v18, vcc, s30, v12
	v_subb_co_u32_e32 v19, vcc, v13, v16, vcc
	v_cmp_gt_i64_e32 vcc, v[18:19], v[4:5]
	v_cndmask_b32_e32 v7, v9, v7, vcc
	s_waitcnt vmcnt(0)
	v_subrev_u32_e32 v12, s30, v20
	v_cndmask_b32_e32 v6, v8, v6, vcc
	v_ashrrev_i32_e32 v13, 31, v12
	v_cmp_ne_u64_e32 vcc, v[6:7], v[12:13]
	s_and_saveexec_b64 s[2:3], vcc
	s_cbranch_execz .LBB86_46
; %bb.52:                               ;   in Loop: Header=BB86_47 Depth=1
	v_mov_b32_e32 v9, s21
	v_add_co_u32_e32 v8, vcc, s20, v10
	v_addc_co_u32_e32 v9, vcc, v9, v11, vcc
	v_lshlrev_b64 v[6:7], 3, v[6:7]
	global_load_dword v10, v[8:9], off
	v_mov_b32_e32 v8, s23
	v_add_co_u32_e32 v6, vcc, s22, v6
	v_lshlrev_b64 v[12:13], 3, v[12:13]
	v_addc_co_u32_e32 v7, vcc, v8, v7, vcc
	v_mov_b32_e32 v18, s15
	global_load_dwordx2 v[8:9], v[6:7], off
	v_add_co_u32_e32 v6, vcc, s14, v12
	v_addc_co_u32_e32 v7, vcc, v18, v13, vcc
	global_load_dword v11, v[6:7], off
	s_mov_b64 s[34:35], 0
	s_waitcnt vmcnt(2)
	v_fma_f32 v13, v3, v10, v14
	v_fma_f32 v12, v2, v10, v1
	s_waitcnt vmcnt(1)
	v_mul_f32_e64 v18, v9, -v13
	v_fmac_f32_e32 v18, v12, v8
.LBB86_53:                              ;   Parent Loop BB86_47 Depth=1
                                        ; =>  This Inner Loop Header: Depth=2
	s_waitcnt vmcnt(0)
	v_add_f32_e32 v10, v11, v18
	global_atomic_cmpswap v10, v[6:7], v[10:11], off glc
	s_waitcnt vmcnt(0)
	v_cmp_eq_u32_e32 vcc, v10, v11
	s_or_b64 s[34:35], vcc, s[34:35]
	v_mov_b32_e32 v11, v10
	s_andn2_b64 exec, exec, s[34:35]
	s_cbranch_execnz .LBB86_53
; %bb.54:                               ;   in Loop: Header=BB86_47 Depth=1
	s_or_b64 exec, exec, s[34:35]
	global_load_dword v11, v[6:7], off offset:4
	v_mul_f32_e32 v9, v12, v9
	v_fmac_f32_e32 v9, v13, v8
	s_mov_b64 s[34:35], 0
.LBB86_55:                              ;   Parent Loop BB86_47 Depth=1
                                        ; =>  This Inner Loop Header: Depth=2
	s_waitcnt vmcnt(0)
	v_add_f32_e32 v10, v11, v9
	global_atomic_cmpswap v8, v[6:7], v[10:11], off offset:4 glc
	s_waitcnt vmcnt(0)
	v_cmp_eq_u32_e32 vcc, v8, v11
	s_or_b64 s[34:35], vcc, s[34:35]
	v_mov_b32_e32 v11, v8
	s_andn2_b64 exec, exec, s[34:35]
	s_cbranch_execnz .LBB86_55
	s_branch .LBB86_46
.LBB86_56:
	s_or_b64 exec, exec, s[8:9]
	s_mov_b64 s[0:1], 0
.LBB86_57:
	s_and_b64 vcc, exec, s[0:1]
	s_cbranch_vccz .LBB86_216
; %bb.58:
	s_load_dword s0, s[4:5], 0x6c
	s_mov_b32 s31, 0
	v_pk_mov_b32 v[4:5], s[28:29], s[28:29] op_sel:[0,1]
	s_mov_b32 s37, s31
	s_mov_b64 s[38:39], 0
	s_waitcnt lgkmcnt(0)
	s_and_b32 s36, s0, 0xffff
	v_cmp_lt_u64_e32 vcc, s[36:37], v[4:5]
	s_cbranch_vccnz .LBB86_60
; %bb.59:
	v_cvt_f32_u32_e32 v1, s28
	s_sub_i32 s0, 0, s28
	v_rcp_iflag_f32_e32 v1, v1
	v_mul_f32_e32 v1, 0x4f7ffffe, v1
	v_cvt_u32_f32_e32 v1, v1
	v_readfirstlane_b32 s1, v1
	s_mul_i32 s0, s0, s1
	s_mul_hi_u32 s0, s1, s0
	s_add_i32 s1, s1, s0
	s_mul_hi_u32 s0, s36, s1
	s_mul_i32 s2, s0, s28
	s_sub_i32 s2, s36, s2
	s_add_i32 s1, s0, 1
	s_sub_i32 s3, s2, s28
	s_cmp_ge_u32 s2, s28
	s_cselect_b32 s0, s1, s0
	s_cselect_b32 s2, s3, s2
	s_add_i32 s1, s0, 1
	s_cmp_ge_u32 s2, s28
	s_cselect_b32 s38, s1, s0
.LBB86_60:
	s_lshl_b64 s[0:1], s[24:25], 3
	s_add_u32 s34, s16, s0
	s_addc_u32 s35, s17, s1
	s_load_dwordx2 s[12:13], s[34:35], 0x0
	s_load_dwordx4 s[8:11], s[4:5], 0x8
	v_subrev_co_u32_e32 v4, vcc, s30, v0
	v_subb_co_u32_e64 v5, s[0:1], 0, 0, vcc
	s_waitcnt lgkmcnt(0)
	v_mov_b32_e32 v7, s13
	v_add_co_u32_e32 v6, vcc, s12, v4
	v_addc_co_u32_e32 v7, vcc, v7, v5, vcc
	v_add_co_u32_e32 v8, vcc, 0x300, v6
	v_addc_co_u32_e32 v9, vcc, 0, v7, vcc
	v_mov_b32_e32 v1, 0
	v_cmp_le_i64_e64 s[0:1], s[8:9], v[8:9]
	s_and_saveexec_b64 s[2:3], s[0:1]
	s_xor_b64 s[6:7], exec, s[2:3]
	s_cbranch_execnz .LBB86_63
; %bb.61:
	s_or_saveexec_b64 s[2:3], s[6:7]
	v_lshlrev_b64 v[10:11], 2, v[6:7]
	s_xor_b64 exec, exec, s[2:3]
	s_cbranch_execnz .LBB86_76
.LBB86_62:
	s_or_b64 exec, exec, s[2:3]
	v_cmp_gt_i64_e32 vcc, s[10:11], v[0:1]
	s_and_saveexec_b64 s[8:9], vcc
	s_cbranch_execnz .LBB86_77
	s_branch .LBB86_86
.LBB86_63:
	s_lshl_b64 s[2:3], s[26:27], 3
	s_add_u32 s2, s16, s2
	s_addc_u32 s3, s17, s3
	s_load_dwordx2 s[2:3], s[2:3], 0x0
	s_waitcnt lgkmcnt(0)
	s_sub_u32 s8, s2, s12
	s_subb_u32 s9, s3, s13
	v_cmp_gt_i64_e32 vcc, s[8:9], v[0:1]
	s_and_saveexec_b64 s[40:41], vcc
	s_cbranch_execz .LBB86_75
; %bb.64:
	s_mov_b32 s4, 0
	s_brev_b32 s5, 1
	v_pk_mul_f32 v[4:5], v[2:3], s[4:5]
	s_not_b64 s[4:5], s[12:13]
	s_add_u32 s2, s2, s4
	s_addc_u32 s3, s3, s5
	v_mov_b32_e32 v11, s3
	v_sub_co_u32_e32 v10, vcc, s2, v0
	v_subbrev_co_u32_e32 v11, vcc, 0, v11, vcc
	s_mov_b64 s[2:3], 0x1eff
	v_cmp_lt_u64_e32 vcc, s[2:3], v[10:11]
	s_mov_b64 s[2:3], 0
                                        ; implicit-def: $vgpr14_vgpr15
                                        ; implicit-def: $vgpr29
	s_and_saveexec_b64 s[4:5], vcc
	s_xor_b64 s[42:43], exec, s[4:5]
	s_cbranch_execnz .LBB86_67
; %bb.65:
	s_andn2_saveexec_b64 s[4:5], s[42:43]
	s_cbranch_execnz .LBB86_72
.LBB86_66:
	s_or_b64 exec, exec, s[4:5]
	s_and_b64 exec, exec, s[2:3]
	s_cbranch_execnz .LBB86_73
	s_branch .LBB86_75
.LBB86_67:
	v_lshlrev_b32_e32 v29, 3, v0
	v_alignbit_b32 v12, v11, v10, 8
	s_mov_b32 s2, 0x1fffff
	s_mov_b32 s4, -1
	v_cmp_lt_u32_e32 vcc, s2, v12
	v_lshl_or_b32 v12, v12, 11, v29
	s_movk_i32 s5, 0xff
	v_cmp_lt_u32_e64 s[2:3], v12, v29
	v_or_b32_e32 v13, 4, v29
	v_or_b32_e32 v12, 4, v12
	v_cmp_lt_u64_e64 s[4:5], s[4:5], v[10:11]
	s_or_b64 s[44:45], s[2:3], vcc
	v_cmp_lt_u32_e64 s[2:3], v12, v13
	s_or_b64 s[4:5], vcc, s[4:5]
	s_or_b64 s[2:3], s[4:5], s[2:3]
	s_or_b64 s[4:5], s[44:45], s[2:3]
	s_mov_b64 s[2:3], -1
	s_xor_b64 s[44:45], s[4:5], -1
	v_pk_mov_b32 v[14:15], 0, 0
	s_and_saveexec_b64 s[4:5], s[44:45]
	s_cbranch_execz .LBB86_71
; %bb.68:
	v_lshrrev_b64 v[10:11], 8, v[10:11]
	v_add_co_u32_e32 v10, vcc, 1, v10
	v_addc_co_u32_e32 v11, vcc, 0, v11, vcc
	v_lshlrev_b64 v[24:25], 2, v[6:7]
	v_mov_b32_e32 v26, s21
	v_add_co_u32_e32 v24, vcc, s20, v24
	v_addc_co_u32_e32 v25, vcc, v25, v26, vcc
	s_movk_i32 s2, 0x400
	v_and_b32_e32 v12, -2, v10
	v_mov_b32_e32 v13, v11
	v_add_co_u32_e32 v24, vcc, s2, v24
	v_mov_b32_e32 v14, v2
	v_mov_b32_e32 v15, v2
	;; [unrolled: 1-line block ×10, first 2 shown]
	v_addc_co_u32_e32 v25, vcc, 0, v25, vcc
	s_mov_b64 s[46:47], 0x100
	s_mov_b64 s[44:45], 0
	v_pk_mov_b32 v[26:27], v[12:13], v[12:13] op_sel:[0,1]
	s_mov_b64 s[48:49], 0
.LBB86_69:                              ; =>This Inner Loop Header: Depth=1
	global_load_dword v30, v[24:25], off offset:-1024
	global_load_dword v31, v[24:25], off
	v_add_lshl_u32 v36, v22, s48, 3
	s_add_u32 s48, s48, 0x200
	v_add_co_u32_e32 v24, vcc, 0x800, v24
	v_add_co_u32_e64 v26, s[2:3], -2, v26
	s_addc_u32 s49, s49, 0
	v_add_lshl_u32 v37, v23, s46, 3
	v_addc_co_u32_e64 v27, s[2:3], -1, v27, s[2:3]
	v_addc_co_u32_e32 v25, vcc, 0, v25, vcc
	s_add_u32 s46, s46, 0x200
	v_cmp_eq_u64_e32 vcc, 0, v[26:27]
	s_addc_u32 s47, s47, 0
	s_or_b64 s[44:45], vcc, s[44:45]
	s_waitcnt vmcnt(0)
	v_pk_fma_f32 v[32:33], v[14:15], v[30:31], v[16:17]
	v_pk_fma_f32 v[30:31], v[18:19], v[30:31], v[20:21]
	v_mov_b32_e32 v34, v32
	v_mov_b32_e32 v35, v30
	v_mov_b32_e32 v30, v33
	ds_write_b64 v36, v[34:35]
	ds_write_b64 v37, v[30:31]
	s_andn2_b64 exec, exec, s[44:45]
	s_cbranch_execnz .LBB86_69
; %bb.70:
	s_or_b64 exec, exec, s[44:45]
	v_cmp_ne_u64_e32 vcc, v[10:11], v[12:13]
	v_lshlrev_b64 v[14:15], 8, v[12:13]
	s_orn2_b64 s[2:3], vcc, exec
.LBB86_71:
	s_or_b64 exec, exec, s[4:5]
	s_and_b64 s[2:3], s[2:3], exec
	s_andn2_saveexec_b64 s[4:5], s[42:43]
	s_cbranch_execz .LBB86_66
.LBB86_72:
	v_pk_mov_b32 v[14:15], 0, 0
	s_or_b64 s[2:3], s[2:3], exec
	v_mov_b32_e32 v29, v28
	s_or_b64 exec, exec, s[4:5]
	s_and_b64 exec, exec, s[2:3]
	s_cbranch_execz .LBB86_75
.LBB86_73:
	v_mov_b32_e32 v10, v5
	v_mov_b32_e32 v11, v4
	v_lshlrev_b64 v[4:5], 2, v[14:15]
	v_lshlrev_b64 v[12:13], 2, v[6:7]
	v_add_co_u32_e32 v4, vcc, v4, v12
	v_addc_co_u32_e32 v5, vcc, v5, v13, vcc
	v_mov_b32_e32 v12, s21
	v_add_co_u32_e32 v4, vcc, s20, v4
	v_addc_co_u32_e32 v5, vcc, v12, v5, vcc
	v_add_co_u32_e32 v12, vcc, v14, v0
	v_addc_co_u32_e32 v13, vcc, 0, v15, vcc
	v_lshl_add_u32 v14, v14, 3, v29
	s_mov_b64 s[2:3], 0
.LBB86_74:                              ; =>This Inner Loop Header: Depth=1
	global_load_dword v16, v[4:5], off
	v_add_co_u32_e32 v4, vcc, 0x400, v4
	v_addc_co_u32_e32 v5, vcc, 0, v5, vcc
	v_add_co_u32_e32 v12, vcc, 0x100, v12
	v_addc_co_u32_e32 v13, vcc, 0, v13, vcc
	v_cmp_le_i64_e32 vcc, s[8:9], v[12:13]
	s_or_b64 s[2:3], vcc, s[2:3]
	s_waitcnt vmcnt(0)
	v_pk_fma_f32 v[16:17], v[2:3], v[16:17], v[10:11] op_sel_hi:[1,0,1]
	ds_write_b64 v14, v[16:17]
	v_add_u32_e32 v14, 0x800, v14
	s_andn2_b64 exec, exec, s[2:3]
	s_cbranch_execnz .LBB86_74
.LBB86_75:
	s_or_b64 exec, exec, s[40:41]
                                        ; implicit-def: $vgpr2_vgpr3
	s_or_saveexec_b64 s[2:3], s[6:7]
	v_lshlrev_b64 v[10:11], 2, v[6:7]
	s_xor_b64 exec, exec, s[2:3]
	s_cbranch_execz .LBB86_62
.LBB86_76:
	v_mov_b32_e32 v5, s21
	v_add_co_u32_e32 v4, vcc, s20, v10
	v_addc_co_u32_e32 v5, vcc, v5, v11, vcc
	global_load_dword v12, v[4:5], off
	global_load_dword v14, v[4:5], off offset:1024
	global_load_dword v16, v[4:5], off offset:2048
	;; [unrolled: 1-line block ×3, first 2 shown]
	s_mov_b32 s4, 0
	s_brev_b32 s5, 1
	v_pk_mul_f32 v[4:5], v[2:3], s[4:5]
	s_waitcnt vmcnt(3)
	v_pk_fma_f32 v[12:13], v[2:3], v[12:13], v[4:5] op_sel:[0,0,1] op_sel_hi:[1,0,0]
	s_waitcnt vmcnt(2)
	v_pk_fma_f32 v[14:15], v[2:3], v[14:15], v[4:5] op_sel:[0,0,1] op_sel_hi:[1,0,0]
	;; [unrolled: 2-line block ×4, first 2 shown]
	ds_write2st64_b64 v28, v[12:13], v[14:15] offset1:4
	ds_write2st64_b64 v28, v[16:17], v[2:3] offset0:8 offset1:12
	s_or_b64 exec, exec, s[2:3]
	v_cmp_gt_i64_e32 vcc, s[10:11], v[0:1]
	s_and_saveexec_b64 s[8:9], vcc
	s_cbranch_execz .LBB86_86
.LBB86_77:
	v_not_b32_e32 v3, v0
	v_not_b32_e32 v2, 0
	v_mov_b32_e32 v5, s11
	v_add_co_u32_e32 v4, vcc, s10, v3
	v_addc_co_u32_e32 v5, vcc, v2, v5, vcc
	s_mov_b64 s[2:3], 0x3100
	s_mov_b64 s[4:5], 0x30ff
	v_cmp_gt_u64_e64 s[2:3], s[2:3], v[4:5]
	v_cmp_lt_u64_e32 vcc, s[4:5], v[4:5]
	v_pk_mov_b32 v[2:3], v[0:1], v[0:1] op_sel:[0,1]
	s_and_saveexec_b64 s[20:21], vcc
	s_cbranch_execz .LBB86_83
; %bb.78:
	v_mov_b32_e32 v18, 0x2000
	v_lshl_add_u32 v2, v0, 3, v18
	v_alignbit_b32 v3, v5, v4, 8
	s_mov_b32 s4, 0x1fffff
	s_mov_b32 s6, -1
	v_cmp_lt_u32_e32 vcc, s4, v3
	v_lshl_add_u32 v3, v3, 11, v2
	s_movk_i32 s7, 0xff
	v_cmp_lt_u32_e64 s[4:5], v3, v2
	v_add_u32_e32 v2, 4, v2
	v_add_u32_e32 v3, 4, v3
	v_cmp_lt_u64_e64 s[6:7], s[6:7], v[4:5]
	s_or_b64 s[40:41], s[4:5], vcc
	v_cmp_lt_u32_e64 s[4:5], v3, v2
	s_or_b64 s[6:7], vcc, s[6:7]
	s_or_b64 s[4:5], s[6:7], s[4:5]
	s_or_b64 s[6:7], s[40:41], s[4:5]
	s_mov_b64 s[4:5], -1
	s_xor_b64 s[40:41], s[6:7], -1
	v_pk_mov_b32 v[2:3], v[0:1], v[0:1] op_sel:[0,1]
	s_and_saveexec_b64 s[6:7], s[40:41]
	s_cbranch_execz .LBB86_82
; %bb.79:
	v_lshrrev_b64 v[2:3], 8, v[4:5]
	v_add_co_u32_e32 v12, vcc, 1, v2
	v_addc_co_u32_e32 v13, vcc, 0, v3, vcc
	v_or_b32_e32 v2, 0x100, v0
	v_mov_b32_e32 v3, v1
	v_and_b32_e32 v14, -4, v12
	v_mov_b32_e32 v15, v13
	v_pk_mov_b32 v[4:5], v[2:3], v[2:3] op_sel:[0,1]
	s_mov_b64 s[40:41], 0
	v_mov_b32_e32 v19, 0
	s_movk_i32 s33, 0x400
	v_pk_mov_b32 v[16:17], v[14:15], v[14:15] op_sel:[0,1]
	v_pk_mov_b32 v[2:3], v[0:1], v[0:1] op_sel:[0,1]
.LBB86_80:                              ; =>This Inner Loop Header: Depth=1
	v_lshl_add_u32 v21, v4, 3, v18
	v_add_co_u32_e32 v4, vcc, s33, v4
	v_add_co_u32_e64 v16, s[4:5], -4, v16
	v_addc_co_u32_e32 v5, vcc, 0, v5, vcc
	v_addc_co_u32_e64 v17, s[4:5], -1, v17, s[4:5]
	v_lshl_add_u32 v20, v2, 3, v18
	v_add_co_u32_e32 v2, vcc, 0x400, v2
	v_cmp_eq_u64_e64 s[4:5], 0, v[16:17]
	s_or_b64 s[40:41], s[4:5], s[40:41]
	v_addc_co_u32_e32 v3, vcc, 0, v3, vcc
	v_add_u32_e32 v22, 0x1000, v20
	v_add_u32_e32 v23, 0x1000, v21
	ds_write2_b32 v20, v19, v19 offset1:1
	ds_write2_b32 v21, v19, v19 offset1:1
	;; [unrolled: 1-line block ×4, first 2 shown]
	s_andn2_b64 exec, exec, s[40:41]
	s_cbranch_execnz .LBB86_80
; %bb.81:
	s_or_b64 exec, exec, s[40:41]
	v_lshlrev_b64 v[2:3], 8, v[14:15]
	v_cmp_ne_u64_e32 vcc, v[12:13], v[14:15]
	v_or_b32_e32 v3, 0, v3
	v_or_b32_e32 v2, v2, v0
	s_orn2_b64 s[4:5], vcc, exec
.LBB86_82:
	s_or_b64 exec, exec, s[6:7]
	s_andn2_b64 s[2:3], s[2:3], exec
	s_and_b64 s[4:5], s[4:5], exec
	s_or_b64 s[2:3], s[2:3], s[4:5]
.LBB86_83:
	s_or_b64 exec, exec, s[20:21]
	s_and_b64 exec, exec, s[2:3]
	s_cbranch_execz .LBB86_86
; %bb.84:
	v_mov_b32_e32 v4, 0x2000
	v_lshl_add_u32 v4, v2, 3, v4
	s_mov_b64 s[2:3], 0
	v_mov_b32_e32 v5, 0
.LBB86_85:                              ; =>This Inner Loop Header: Depth=1
	v_add_co_u32_e32 v2, vcc, 0x100, v2
	v_addc_co_u32_e32 v3, vcc, 0, v3, vcc
	v_cmp_le_i64_e32 vcc, s[10:11], v[2:3]
	ds_write2_b32 v4, v5, v5 offset1:1
	s_or_b64 s[2:3], vcc, s[2:3]
	v_add_u32_e32 v4, 0x800, v4
	s_andn2_b64 exec, exec, s[2:3]
	s_cbranch_execnz .LBB86_85
.LBB86_86:
	s_or_b64 exec, exec, s[8:9]
	s_sub_u32 s4, s26, s10
	v_pk_mov_b32 v[2:3], s[10:11], s[10:11] op_sel:[0,1]
	s_subb_u32 s5, s27, s11
	v_cmp_ge_i64_e32 vcc, s[26:27], v[2:3]
	s_and_b64 s[2:3], vcc, exec
	s_cselect_b32 s5, s5, 0
	s_cselect_b32 s4, s4, 0
	s_waitcnt lgkmcnt(0)
	s_barrier
	s_and_saveexec_b64 s[2:3], s[0:1]
	s_xor_b64 s[6:7], exec, s[2:3]
	s_cbranch_execz .LBB86_107
; %bb.87:
	s_lshl_b64 s[0:1], s[26:27], 3
	s_add_u32 s0, s16, s0
	s_addc_u32 s1, s17, s1
	s_load_dwordx2 s[0:1], s[0:1], 0x0
	s_waitcnt lgkmcnt(0)
	s_sub_u32 s8, s0, s12
	s_subb_u32 s9, s1, s13
	v_cmp_gt_i64_e32 vcc, s[8:9], v[0:1]
	s_and_saveexec_b64 s[20:21], vcc
	s_cbranch_execz .LBB86_106
; %bb.88:
	s_add_u32 s40, s26, -1
	s_addc_u32 s41, s27, -1
	s_add_u32 s2, s26, -2
	s_addc_u32 s3, s27, -1
	v_pk_mov_b32 v[2:3], s[24:25], s[24:25] op_sel:[0,1]
	s_cmp_lg_u64 s[2:3], s[24:25]
	v_cmp_gt_i64_e32 vcc, s[40:41], v[2:3]
	s_cselect_b64 s[2:3], -1, 0
	s_and_b64 s[2:3], vcc, s[2:3]
	s_sub_u32 s42, s0, s30
	v_cndmask_b32_e64 v2, 0, 1, s[2:3]
	s_subb_u32 s43, s1, 0
	s_mov_b64 s[44:45], 0
	v_cmp_ne_u32_e64 s[0:1], 1, v2
	v_mov_b32_e32 v14, s17
	v_mov_b32_e32 v15, s31
	;; [unrolled: 1-line block ×4, first 2 shown]
	s_mov_b64 s[46:47], 0
	s_branch .LBB86_91
.LBB86_89:                              ;   in Loop: Header=BB86_91 Depth=1
	s_or_b64 exec, exec, s[2:3]
.LBB86_90:                              ;   in Loop: Header=BB86_91 Depth=1
	s_or_b64 exec, exec, s[48:49]
	v_lshlrev_b64 v[2:3], 3, v[2:3]
	v_mov_b32_e32 v8, s23
	v_add_co_u32_e32 v2, vcc, s22, v2
	v_addc_co_u32_e32 v3, vcc, v8, v3, vcc
	global_load_dwordx2 v[2:3], v[2:3], off
	s_add_u32 s46, s46, 0x100
	s_addc_u32 s47, s47, 0
	v_mov_b32_e32 v9, s47
	v_add_co_u32_e32 v8, vcc, s46, v0
	v_addc_co_u32_e32 v9, vcc, 0, v9, vcc
	v_cmp_le_i64_e32 vcc, s[8:9], v[8:9]
	v_lshlrev_b32_e32 v10, 3, v18
	s_or_b64 s[44:45], vcc, s[44:45]
	s_waitcnt vmcnt(0) lgkmcnt(0)
	v_pk_mul_f32 v[8:9], v[2:3], v[4:5] op_sel:[1,1] op_sel_hi:[1,0] neg_lo:[0,1]
	v_pk_fma_f32 v[2:3], v[4:5], v[2:3], v[8:9] op_sel_hi:[1,0,1]
	ds_write_b64 v10, v[2:3]
	s_andn2_b64 exec, exec, s[44:45]
	s_cbranch_execz .LBB86_106
.LBB86_91:                              ; =>This Loop Header: Depth=1
                                        ;     Child Loop BB86_93 Depth 2
                                        ;     Child Loop BB86_100 Depth 2
	;; [unrolled: 1-line block ×3, first 2 shown]
	v_mov_b32_e32 v2, s47
	v_add_co_u32_e32 v4, vcc, s46, v6
	v_addc_co_u32_e32 v5, vcc, v2, v7, vcc
	s_and_b64 vcc, exec, s[0:1]
	v_pk_mov_b32 v[8:9], s[24:25], s[24:25] op_sel:[0,1]
	v_pk_mov_b32 v[10:11], s[40:41], s[40:41] op_sel:[0,1]
	s_cbranch_vccnz .LBB86_95
; %bb.92:                               ;   in Loop: Header=BB86_91 Depth=1
	s_mov_b64 s[48:49], 0
	v_pk_mov_b32 v[8:9], s[24:25], s[24:25] op_sel:[0,1]
	v_pk_mov_b32 v[10:11], s[40:41], s[40:41] op_sel:[0,1]
.LBB86_93:                              ;   Parent Loop BB86_91 Depth=1
                                        ; =>  This Inner Loop Header: Depth=2
	v_add_co_u32_e32 v2, vcc, v10, v8
	v_addc_co_u32_e32 v3, vcc, v11, v9, vcc
	v_lshrrev_b32_e32 v12, 31, v3
	v_add_co_u32_e32 v2, vcc, v2, v12
	v_addc_co_u32_e32 v3, vcc, 0, v3, vcc
	v_ashrrev_i64 v[2:3], 1, v[2:3]
	v_lshlrev_b64 v[12:13], 3, v[2:3]
	v_mov_b32_e32 v18, s17
	v_add_co_u32_e32 v12, vcc, s16, v12
	v_addc_co_u32_e32 v13, vcc, v18, v13, vcc
	global_load_dwordx2 v[12:13], v[12:13], off
	v_mov_b32_e32 v18, s31
	s_waitcnt vmcnt(0)
	v_subrev_co_u32_e32 v12, vcc, s30, v12
	v_subb_co_u32_e32 v13, vcc, v13, v18, vcc
	v_cmp_gt_i64_e32 vcc, v[12:13], v[4:5]
	v_cndmask_b32_e32 v10, v10, v2, vcc
	v_cndmask_b32_e32 v11, v11, v3, vcc
	;; [unrolled: 1-line block ×3, first 2 shown]
	v_add_co_u32_e64 v2, s[2:3], -1, v10
	v_cndmask_b32_e32 v9, v3, v9, vcc
	v_addc_co_u32_e64 v3, s[2:3], -1, v11, s[2:3]
	v_cmp_ge_i64_e32 vcc, v[8:9], v[10:11]
	v_cmp_eq_u64_e64 s[2:3], v[8:9], v[2:3]
	s_or_b64 s[2:3], vcc, s[2:3]
	s_and_b64 s[2:3], exec, s[2:3]
	s_or_b64 s[48:49], s[2:3], s[48:49]
	s_andn2_b64 exec, exec, s[48:49]
	s_cbranch_execnz .LBB86_93
; %bb.94:                               ;   in Loop: Header=BB86_91 Depth=1
	s_or_b64 exec, exec, s[48:49]
.LBB86_95:                              ;   in Loop: Header=BB86_91 Depth=1
	v_lshlrev_b64 v[2:3], 3, v[10:11]
	v_add_co_u32_e32 v2, vcc, s16, v2
	v_addc_co_u32_e32 v3, vcc, v14, v3, vcc
	v_lshlrev_b64 v[12:13], 2, v[4:5]
	global_load_dwordx2 v[2:3], v[2:3], off
	v_add_co_u32_e32 v12, vcc, s18, v12
	v_addc_co_u32_e32 v13, vcc, v16, v13, vcc
	global_load_dword v19, v[12:13], off
	v_add_co_u32_e32 v18, vcc, s46, v0
	v_cmp_le_i64_e32 vcc, s[42:43], v[4:5]
	s_waitcnt vmcnt(1)
	v_subrev_co_u32_e64 v12, s[2:3], s30, v2
	v_subb_co_u32_e64 v13, s[2:3], v3, v15, s[2:3]
	v_cmp_gt_i64_e64 s[2:3], v[12:13], v[4:5]
	s_waitcnt vmcnt(0)
	v_subrev_u32_e32 v2, s30, v19
	v_cndmask_b32_e64 v9, v11, v9, s[2:3]
	v_ashrrev_i32_e32 v3, 31, v2
	v_cndmask_b32_e64 v8, v10, v8, s[2:3]
	v_cmp_eq_u64_e64 s[2:3], v[8:9], v[2:3]
	s_or_b64 s[2:3], s[2:3], vcc
	v_lshlrev_b32_e32 v12, 3, v18
                                        ; implicit-def: $vgpr4_vgpr5
	s_and_saveexec_b64 s[48:49], s[2:3]
	s_xor_b64 s[2:3], exec, s[48:49]
	s_cbranch_execz .LBB86_97
; %bb.96:                               ;   in Loop: Header=BB86_91 Depth=1
	ds_read_b64 v[4:5], v12
                                        ; implicit-def: $vgpr12
                                        ; implicit-def: $vgpr8_vgpr9
.LBB86_97:                              ;   in Loop: Header=BB86_91 Depth=1
	s_andn2_saveexec_b64 s[48:49], s[2:3]
	s_cbranch_execz .LBB86_90
; %bb.98:                               ;   in Loop: Header=BB86_91 Depth=1
	v_cmp_gt_i64_e32 vcc, s[4:5], v[2:3]
	v_cmp_le_i64_e64 s[2:3], s[26:27], v[2:3]
	s_or_b64 s[2:3], vcc, s[2:3]
	v_lshlrev_b64 v[8:9], 3, v[8:9]
                                        ; implicit-def: $vgpr4_vgpr5
	s_and_saveexec_b64 s[50:51], s[2:3]
	s_xor_b64 s[2:3], exec, s[50:51]
	s_cbranch_execz .LBB86_104
; %bb.99:                               ;   in Loop: Header=BB86_91 Depth=1
	v_mov_b32_e32 v10, s23
	v_add_co_u32_e32 v8, vcc, s22, v8
	s_waitcnt lgkmcnt(0)
	v_lshlrev_b64 v[4:5], 3, v[2:3]
	v_addc_co_u32_e32 v9, vcc, v10, v9, vcc
	v_mov_b32_e32 v13, s15
	global_load_dwordx2 v[10:11], v[8:9], off
	v_add_co_u32_e32 v8, vcc, s14, v4
	v_addc_co_u32_e32 v9, vcc, v13, v5, vcc
	global_load_dword v13, v[8:9], off
	ds_read_b64 v[4:5], v12
	s_mov_b64 s[50:51], 0
	s_waitcnt vmcnt(1) lgkmcnt(0)
	v_mul_f32_e64 v19, v11, -v5
	v_fmac_f32_e32 v19, v4, v10
.LBB86_100:                             ;   Parent Loop BB86_91 Depth=1
                                        ; =>  This Inner Loop Header: Depth=2
	s_waitcnt vmcnt(0)
	v_add_f32_e32 v12, v13, v19
	global_atomic_cmpswap v12, v[8:9], v[12:13], off glc
	s_waitcnt vmcnt(0)
	v_cmp_eq_u32_e32 vcc, v12, v13
	s_or_b64 s[50:51], vcc, s[50:51]
	v_mov_b32_e32 v13, v12
	s_andn2_b64 exec, exec, s[50:51]
	s_cbranch_execnz .LBB86_100
; %bb.101:                              ;   in Loop: Header=BB86_91 Depth=1
	s_or_b64 exec, exec, s[50:51]
	global_load_dword v13, v[8:9], off offset:4
	v_mul_f32_e32 v11, v11, v4
	v_fmac_f32_e32 v11, v5, v10
	s_mov_b64 s[50:51], 0
.LBB86_102:                             ;   Parent Loop BB86_91 Depth=1
                                        ; =>  This Inner Loop Header: Depth=2
	s_waitcnt vmcnt(0)
	v_add_f32_e32 v12, v13, v11
	global_atomic_cmpswap v10, v[8:9], v[12:13], off offset:4 glc
	s_waitcnt vmcnt(0)
	v_cmp_eq_u32_e32 vcc, v10, v13
	s_or_b64 s[50:51], vcc, s[50:51]
	v_mov_b32_e32 v13, v10
	s_andn2_b64 exec, exec, s[50:51]
	s_cbranch_execnz .LBB86_102
; %bb.103:                              ;   in Loop: Header=BB86_91 Depth=1
	s_or_b64 exec, exec, s[50:51]
                                        ; implicit-def: $vgpr8_vgpr9
                                        ; implicit-def: $vgpr12
.LBB86_104:                             ;   in Loop: Header=BB86_91 Depth=1
	s_andn2_saveexec_b64 s[2:3], s[2:3]
	s_cbranch_execz .LBB86_89
; %bb.105:                              ;   in Loop: Header=BB86_91 Depth=1
	s_waitcnt lgkmcnt(0)
	v_mov_b32_e32 v5, s23
	v_add_co_u32_e32 v4, vcc, s22, v8
	v_addc_co_u32_e32 v5, vcc, v5, v9, vcc
	global_load_dwordx2 v[8:9], v[4:5], off
	ds_read_b64 v[4:5], v12
	v_subrev_u32_e32 v10, s4, v2
	v_lshl_add_u32 v10, v10, 3, v17
	s_waitcnt vmcnt(0) lgkmcnt(0)
	v_mul_f32_e64 v11, v9, -v5
	v_mul_f32_e32 v9, v9, v4
	v_fmac_f32_e32 v11, v4, v8
	v_fmac_f32_e32 v9, v5, v8
	ds_add_f32 v10, v11
	ds_add_f32 v10, v9 offset:4
	s_branch .LBB86_89
.LBB86_106:
	s_or_b64 exec, exec, s[20:21]
                                        ; implicit-def: $vgpr8_vgpr9
                                        ; implicit-def: $vgpr6
                                        ; implicit-def: $vgpr10_vgpr11
.LBB86_107:
	s_andn2_saveexec_b64 s[6:7], s[6:7]
	s_cbranch_execz .LBB86_165
; %bb.108:
	s_add_u32 s8, s26, -1
	s_addc_u32 s9, s27, -1
	s_add_u32 s0, s26, -2
	s_addc_u32 s1, s27, -1
	v_pk_mov_b32 v[12:13], s[24:25], s[24:25] op_sel:[0,1]
	s_cmp_eq_u64 s[0:1], s[24:25]
	v_cmp_le_i64_e32 vcc, s[8:9], v[12:13]
	s_cselect_b64 s[0:1], -1, 0
	s_or_b64 s[2:3], vcc, s[0:1]
	s_and_b64 vcc, exec, s[2:3]
	v_pk_mov_b32 v[14:15], s[8:9], s[8:9] op_sel:[0,1]
	s_cbranch_vccnz .LBB86_112
; %bb.109:
	s_mov_b64 s[20:21], 0
	v_pk_mov_b32 v[12:13], s[24:25], s[24:25] op_sel:[0,1]
	v_pk_mov_b32 v[14:15], s[8:9], s[8:9] op_sel:[0,1]
	v_mov_b32_e32 v2, s17
	v_mov_b32_e32 v3, s31
.LBB86_110:                             ; =>This Inner Loop Header: Depth=1
	v_add_co_u32_e32 v4, vcc, v14, v12
	v_addc_co_u32_e32 v5, vcc, v15, v13, vcc
	v_lshrrev_b32_e32 v16, 31, v5
	v_add_co_u32_e32 v4, vcc, v4, v16
	v_addc_co_u32_e32 v5, vcc, 0, v5, vcc
	v_ashrrev_i64 v[4:5], 1, v[4:5]
	v_lshlrev_b64 v[16:17], 3, v[4:5]
	v_add_co_u32_e32 v16, vcc, s16, v16
	v_addc_co_u32_e32 v17, vcc, v2, v17, vcc
	global_load_dwordx2 v[16:17], v[16:17], off
	s_waitcnt vmcnt(0)
	v_subrev_co_u32_e32 v16, vcc, s30, v16
	v_subb_co_u32_e32 v17, vcc, v17, v3, vcc
	v_cmp_gt_i64_e32 vcc, v[16:17], v[6:7]
	v_cndmask_b32_e32 v14, v14, v4, vcc
	v_cndmask_b32_e32 v15, v15, v5, vcc
	;; [unrolled: 1-line block ×3, first 2 shown]
	v_add_co_u32_e64 v4, s[0:1], -1, v14
	v_cndmask_b32_e32 v13, v5, v13, vcc
	v_addc_co_u32_e64 v5, s[0:1], -1, v15, s[0:1]
	v_cmp_ge_i64_e32 vcc, v[12:13], v[14:15]
	v_cmp_eq_u64_e64 s[0:1], v[12:13], v[4:5]
	s_or_b64 s[0:1], vcc, s[0:1]
	s_and_b64 s[0:1], exec, s[0:1]
	s_or_b64 s[20:21], s[0:1], s[20:21]
	s_andn2_b64 exec, exec, s[20:21]
	s_cbranch_execnz .LBB86_110
; %bb.111:
	s_or_b64 exec, exec, s[20:21]
.LBB86_112:
	v_lshlrev_b64 v[2:3], 3, v[14:15]
	v_mov_b32_e32 v4, s17
	v_add_co_u32_e32 v2, vcc, s16, v2
	v_addc_co_u32_e32 v3, vcc, v4, v3, vcc
	global_load_dwordx2 v[4:5], v[2:3], off
	v_mov_b32_e32 v3, s19
	v_add_co_u32_e32 v2, vcc, s18, v10
	v_addc_co_u32_e32 v3, vcc, v3, v11, vcc
	global_load_dword v16, v[2:3], off
	v_mov_b32_e32 v11, s31
	s_xor_b64 s[2:3], s[2:3], -1
	s_lshl_b64 s[0:1], s[26:27], 3
	s_add_u32 s18, s16, s0
	s_addc_u32 s19, s17, s1
	s_waitcnt vmcnt(1)
	v_subrev_co_u32_e32 v10, vcc, s30, v4
	v_subb_co_u32_e32 v11, vcc, v5, v11, vcc
	v_cmp_gt_i64_e32 vcc, v[10:11], v[6:7]
	v_cndmask_b32_e32 v11, v15, v13, vcc
	s_waitcnt vmcnt(0)
	v_subrev_u32_e32 v4, s30, v16
	v_cndmask_b32_e32 v10, v14, v12, vcc
	v_ashrrev_i32_e32 v5, 31, v4
	v_cmp_ne_u64_e32 vcc, v[10:11], v[4:5]
	s_and_saveexec_b64 s[20:21], vcc
	s_cbranch_execz .LBB86_122
; %bb.113:
	s_load_dwordx2 s[0:1], s[18:19], 0x0
	s_waitcnt lgkmcnt(0)
	s_sub_u32 s0, s0, s30
	s_subb_u32 s1, s1, 0
	v_cmp_gt_i64_e32 vcc, s[0:1], v[6:7]
	s_and_b64 exec, exec, vcc
	s_cbranch_execz .LBB86_122
; %bb.114:
	v_cmp_gt_i64_e32 vcc, s[4:5], v[4:5]
	v_cmp_le_i64_e64 s[0:1], s[26:27], v[4:5]
	s_or_b64 s[0:1], vcc, s[0:1]
	v_lshlrev_b64 v[10:11], 3, v[10:11]
	s_and_saveexec_b64 s[40:41], s[0:1]
	s_xor_b64 s[0:1], exec, s[40:41]
	s_cbranch_execz .LBB86_120
; %bb.115:
	v_mov_b32_e32 v12, s23
	v_add_co_u32_e32 v10, vcc, s22, v10
	v_lshlrev_b64 v[14:15], 3, v[4:5]
	v_addc_co_u32_e32 v11, vcc, v12, v11, vcc
	v_mov_b32_e32 v16, s15
	global_load_dwordx2 v[12:13], v[10:11], off
	v_add_co_u32_e32 v10, vcc, s14, v14
	v_addc_co_u32_e32 v11, vcc, v16, v15, vcc
	global_load_dword v17, v[10:11], off
	ds_read_b64 v[14:15], v28
	s_mov_b64 s[40:41], 0
	s_waitcnt vmcnt(1) lgkmcnt(0)
	v_mul_f32_e64 v18, v13, -v15
	v_fmac_f32_e32 v18, v14, v12
.LBB86_116:                             ; =>This Inner Loop Header: Depth=1
	s_waitcnt vmcnt(0)
	v_add_f32_e32 v16, v17, v18
	global_atomic_cmpswap v16, v[10:11], v[16:17], off glc
	s_waitcnt vmcnt(0)
	v_cmp_eq_u32_e32 vcc, v16, v17
	s_or_b64 s[40:41], vcc, s[40:41]
	v_mov_b32_e32 v17, v16
	s_andn2_b64 exec, exec, s[40:41]
	s_cbranch_execnz .LBB86_116
; %bb.117:
	s_or_b64 exec, exec, s[40:41]
	global_load_dword v17, v[10:11], off offset:4
	v_mul_f32_e32 v13, v13, v14
	v_fmac_f32_e32 v13, v15, v12
	s_mov_b64 s[40:41], 0
.LBB86_118:                             ; =>This Inner Loop Header: Depth=1
	s_waitcnt vmcnt(0)
	v_add_f32_e32 v16, v17, v13
	global_atomic_cmpswap v12, v[10:11], v[16:17], off offset:4 glc
	s_waitcnt vmcnt(0)
	v_cmp_eq_u32_e32 vcc, v12, v17
	s_or_b64 s[40:41], vcc, s[40:41]
	v_mov_b32_e32 v17, v12
	s_andn2_b64 exec, exec, s[40:41]
	s_cbranch_execnz .LBB86_118
; %bb.119:
	s_or_b64 exec, exec, s[40:41]
                                        ; implicit-def: $vgpr10_vgpr11
.LBB86_120:
	s_andn2_saveexec_b64 s[0:1], s[0:1]
	s_cbranch_execz .LBB86_122
; %bb.121:
	v_mov_b32_e32 v12, s23
	v_add_co_u32_e32 v10, vcc, s22, v10
	v_addc_co_u32_e32 v11, vcc, v12, v11, vcc
	global_load_dwordx2 v[10:11], v[10:11], off
	ds_read_b64 v[12:13], v28
	v_subrev_u32_e32 v14, s4, v4
	v_mov_b32_e32 v15, 0x2000
	v_lshl_add_u32 v14, v14, 3, v15
	s_waitcnt vmcnt(0) lgkmcnt(0)
	v_mul_f32_e64 v15, v11, -v13
	v_mul_f32_e32 v11, v11, v12
	v_fmac_f32_e32 v15, v12, v10
	v_fmac_f32_e32 v11, v13, v10
	ds_add_f32 v14, v15
	ds_add_f32 v14, v11 offset:4
.LBB86_122:
	s_or_b64 exec, exec, s[20:21]
	v_lshlrev_b64 v[4:5], 3, v[4:5]
	v_mov_b32_e32 v10, s23
	v_add_co_u32_e32 v4, vcc, s22, v4
	v_addc_co_u32_e32 v5, vcc, v10, v5, vcc
	global_load_dwordx2 v[4:5], v[4:5], off
	ds_read_b64 v[14:15], v28
	v_add_co_u32_e32 v10, vcc, 0x100, v6
	v_cndmask_b32_e64 v16, 0, 1, s[2:3]
	v_addc_co_u32_e32 v11, vcc, 0, v7, vcc
	v_cmp_ne_u32_e64 s[0:1], 1, v16
	v_pk_mov_b32 v[12:13], s[24:25], s[24:25] op_sel:[0,1]
	s_andn2_b64 vcc, exec, s[2:3]
	s_waitcnt vmcnt(0) lgkmcnt(0)
	v_pk_mul_f32 v[16:17], v[4:5], v[14:15] op_sel:[1,1] op_sel_hi:[1,0] neg_lo:[0,1]
	v_pk_fma_f32 v[4:5], v[14:15], v[4:5], v[16:17] op_sel_hi:[1,0,1]
	v_pk_mov_b32 v[14:15], s[8:9], s[8:9] op_sel:[0,1]
	ds_write_b64 v28, v[4:5]
	s_cbranch_vccnz .LBB86_126
; %bb.123:
	s_mov_b64 s[20:21], 0
	v_pk_mov_b32 v[12:13], s[24:25], s[24:25] op_sel:[0,1]
	v_pk_mov_b32 v[14:15], s[8:9], s[8:9] op_sel:[0,1]
	v_mov_b32_e32 v4, s17
	v_mov_b32_e32 v5, s31
.LBB86_124:                             ; =>This Inner Loop Header: Depth=1
	v_add_co_u32_e32 v16, vcc, v14, v12
	v_addc_co_u32_e32 v17, vcc, v15, v13, vcc
	v_lshrrev_b32_e32 v18, 31, v17
	v_add_co_u32_e32 v16, vcc, v16, v18
	v_addc_co_u32_e32 v17, vcc, 0, v17, vcc
	v_ashrrev_i64 v[16:17], 1, v[16:17]
	v_lshlrev_b64 v[18:19], 3, v[16:17]
	v_add_co_u32_e32 v18, vcc, s16, v18
	v_addc_co_u32_e32 v19, vcc, v4, v19, vcc
	global_load_dwordx2 v[18:19], v[18:19], off
	s_waitcnt vmcnt(0)
	v_subrev_co_u32_e32 v18, vcc, s30, v18
	v_subb_co_u32_e32 v19, vcc, v19, v5, vcc
	v_cmp_gt_i64_e32 vcc, v[18:19], v[10:11]
	v_cndmask_b32_e32 v14, v14, v16, vcc
	v_cndmask_b32_e32 v15, v15, v17, vcc
	;; [unrolled: 1-line block ×3, first 2 shown]
	v_add_co_u32_e64 v16, s[2:3], -1, v14
	v_cndmask_b32_e32 v13, v17, v13, vcc
	v_addc_co_u32_e64 v17, s[2:3], -1, v15, s[2:3]
	v_cmp_ge_i64_e32 vcc, v[12:13], v[14:15]
	v_cmp_eq_u64_e64 s[2:3], v[12:13], v[16:17]
	s_or_b64 s[2:3], vcc, s[2:3]
	s_and_b64 s[2:3], exec, s[2:3]
	s_or_b64 s[20:21], s[2:3], s[20:21]
	s_andn2_b64 exec, exec, s[20:21]
	s_cbranch_execnz .LBB86_124
; %bb.125:
	s_or_b64 exec, exec, s[20:21]
.LBB86_126:
	v_lshlrev_b64 v[4:5], 3, v[14:15]
	v_mov_b32_e32 v16, s17
	v_add_co_u32_e32 v4, vcc, s16, v4
	v_addc_co_u32_e32 v5, vcc, v16, v5, vcc
	global_load_dwordx2 v[16:17], v[4:5], off
	global_load_dword v18, v[2:3], off offset:1024
	v_mov_b32_e32 v5, s31
	s_waitcnt vmcnt(1)
	v_subrev_co_u32_e32 v16, vcc, s30, v16
	v_subb_co_u32_e32 v17, vcc, v17, v5, vcc
	s_waitcnt vmcnt(0)
	v_subrev_u32_e32 v4, s30, v18
	v_cmp_gt_i64_e32 vcc, v[16:17], v[10:11]
	v_cndmask_b32_e32 v13, v15, v13, vcc
	v_cndmask_b32_e32 v12, v14, v12, vcc
	v_ashrrev_i32_e32 v5, 31, v4
	v_cmp_ne_u64_e32 vcc, v[12:13], v[4:5]
	s_and_saveexec_b64 s[20:21], vcc
	s_cbranch_execz .LBB86_136
; %bb.127:
	s_load_dwordx2 s[2:3], s[18:19], 0x0
	s_waitcnt lgkmcnt(0)
	s_sub_u32 s2, s2, s30
	s_subb_u32 s3, s3, 0
	v_cmp_gt_i64_e32 vcc, s[2:3], v[10:11]
	s_and_b64 exec, exec, vcc
	s_cbranch_execz .LBB86_136
; %bb.128:
	v_cmp_gt_i64_e32 vcc, s[4:5], v[4:5]
	v_cmp_le_i64_e64 s[2:3], s[26:27], v[4:5]
	s_or_b64 s[2:3], vcc, s[2:3]
	v_lshlrev_b64 v[10:11], 3, v[12:13]
	s_and_saveexec_b64 s[40:41], s[2:3]
	s_xor_b64 s[2:3], exec, s[40:41]
	s_cbranch_execz .LBB86_134
; %bb.129:
	v_mov_b32_e32 v12, s23
	v_add_co_u32_e32 v10, vcc, s22, v10
	v_lshlrev_b64 v[14:15], 3, v[4:5]
	v_addc_co_u32_e32 v11, vcc, v12, v11, vcc
	v_mov_b32_e32 v16, s15
	global_load_dwordx2 v[12:13], v[10:11], off
	v_add_co_u32_e32 v10, vcc, s14, v14
	v_addc_co_u32_e32 v11, vcc, v16, v15, vcc
	global_load_dword v17, v[10:11], off
	ds_read_b64 v[14:15], v28 offset:2048
	s_mov_b64 s[40:41], 0
	s_waitcnt vmcnt(1) lgkmcnt(0)
	v_mul_f32_e64 v18, v13, -v15
	v_fmac_f32_e32 v18, v14, v12
.LBB86_130:                             ; =>This Inner Loop Header: Depth=1
	s_waitcnt vmcnt(0)
	v_add_f32_e32 v16, v17, v18
	global_atomic_cmpswap v16, v[10:11], v[16:17], off glc
	s_waitcnt vmcnt(0)
	v_cmp_eq_u32_e32 vcc, v16, v17
	s_or_b64 s[40:41], vcc, s[40:41]
	v_mov_b32_e32 v17, v16
	s_andn2_b64 exec, exec, s[40:41]
	s_cbranch_execnz .LBB86_130
; %bb.131:
	s_or_b64 exec, exec, s[40:41]
	global_load_dword v17, v[10:11], off offset:4
	v_mul_f32_e32 v13, v13, v14
	v_fmac_f32_e32 v13, v15, v12
	s_mov_b64 s[40:41], 0
.LBB86_132:                             ; =>This Inner Loop Header: Depth=1
	s_waitcnt vmcnt(0)
	v_add_f32_e32 v16, v17, v13
	global_atomic_cmpswap v12, v[10:11], v[16:17], off offset:4 glc
	s_waitcnt vmcnt(0)
	v_cmp_eq_u32_e32 vcc, v12, v17
	s_or_b64 s[40:41], vcc, s[40:41]
	v_mov_b32_e32 v17, v12
	s_andn2_b64 exec, exec, s[40:41]
	s_cbranch_execnz .LBB86_132
; %bb.133:
	s_or_b64 exec, exec, s[40:41]
                                        ; implicit-def: $vgpr10_vgpr11
.LBB86_134:
	s_andn2_saveexec_b64 s[2:3], s[2:3]
	s_cbranch_execz .LBB86_136
; %bb.135:
	v_mov_b32_e32 v12, s23
	v_add_co_u32_e32 v10, vcc, s22, v10
	v_addc_co_u32_e32 v11, vcc, v12, v11, vcc
	global_load_dwordx2 v[10:11], v[10:11], off
	ds_read_b64 v[12:13], v28 offset:2048
	v_subrev_u32_e32 v14, s4, v4
	v_mov_b32_e32 v15, 0x2000
	v_lshl_add_u32 v14, v14, 3, v15
	s_waitcnt vmcnt(0) lgkmcnt(0)
	v_mul_f32_e64 v15, v11, -v13
	v_mul_f32_e32 v11, v11, v12
	v_fmac_f32_e32 v15, v12, v10
	v_fmac_f32_e32 v11, v13, v10
	ds_add_f32 v14, v15
	ds_add_f32 v14, v11 offset:4
.LBB86_136:
	s_or_b64 exec, exec, s[20:21]
	v_lshlrev_b64 v[4:5], 3, v[4:5]
	v_mov_b32_e32 v10, s23
	v_add_co_u32_e32 v4, vcc, s22, v4
	v_addc_co_u32_e32 v5, vcc, v10, v5, vcc
	global_load_dwordx2 v[4:5], v[4:5], off
	ds_read_b64 v[12:13], v28 offset:2048
	v_add_co_u32_e32 v6, vcc, 0x200, v6
	v_addc_co_u32_e32 v7, vcc, 0, v7, vcc
	v_pk_mov_b32 v[10:11], s[24:25], s[24:25] op_sel:[0,1]
	s_and_b64 vcc, exec, s[0:1]
	s_waitcnt vmcnt(0) lgkmcnt(0)
	v_pk_mul_f32 v[14:15], v[4:5], v[12:13] op_sel:[1,1] op_sel_hi:[1,0] neg_lo:[0,1]
	v_pk_fma_f32 v[4:5], v[12:13], v[4:5], v[14:15] op_sel_hi:[1,0,1]
	v_pk_mov_b32 v[12:13], s[8:9], s[8:9] op_sel:[0,1]
	ds_write_b64 v28, v[4:5] offset:2048
	s_cbranch_vccnz .LBB86_140
; %bb.137:
	s_mov_b64 s[20:21], 0
	v_pk_mov_b32 v[10:11], s[24:25], s[24:25] op_sel:[0,1]
	v_pk_mov_b32 v[12:13], s[8:9], s[8:9] op_sel:[0,1]
	v_mov_b32_e32 v4, s17
	v_mov_b32_e32 v5, s31
.LBB86_138:                             ; =>This Inner Loop Header: Depth=1
	v_add_co_u32_e32 v14, vcc, v12, v10
	v_addc_co_u32_e32 v15, vcc, v13, v11, vcc
	v_lshrrev_b32_e32 v16, 31, v15
	v_add_co_u32_e32 v14, vcc, v14, v16
	v_addc_co_u32_e32 v15, vcc, 0, v15, vcc
	v_ashrrev_i64 v[14:15], 1, v[14:15]
	v_lshlrev_b64 v[16:17], 3, v[14:15]
	v_add_co_u32_e32 v16, vcc, s16, v16
	v_addc_co_u32_e32 v17, vcc, v4, v17, vcc
	global_load_dwordx2 v[16:17], v[16:17], off
	s_waitcnt vmcnt(0)
	v_subrev_co_u32_e32 v16, vcc, s30, v16
	v_subb_co_u32_e32 v17, vcc, v17, v5, vcc
	v_cmp_gt_i64_e32 vcc, v[16:17], v[6:7]
	v_cndmask_b32_e32 v12, v12, v14, vcc
	v_cndmask_b32_e32 v13, v13, v15, vcc
	v_cndmask_b32_e32 v10, v14, v10, vcc
	v_add_co_u32_e64 v14, s[2:3], -1, v12
	v_cndmask_b32_e32 v11, v15, v11, vcc
	v_addc_co_u32_e64 v15, s[2:3], -1, v13, s[2:3]
	v_cmp_ge_i64_e32 vcc, v[10:11], v[12:13]
	v_cmp_eq_u64_e64 s[2:3], v[10:11], v[14:15]
	s_or_b64 s[2:3], vcc, s[2:3]
	s_and_b64 s[2:3], exec, s[2:3]
	s_or_b64 s[20:21], s[2:3], s[20:21]
	s_andn2_b64 exec, exec, s[20:21]
	s_cbranch_execnz .LBB86_138
; %bb.139:
	s_or_b64 exec, exec, s[20:21]
.LBB86_140:
	v_lshlrev_b64 v[4:5], 3, v[12:13]
	v_mov_b32_e32 v14, s17
	v_add_co_u32_e32 v4, vcc, s16, v4
	v_addc_co_u32_e32 v5, vcc, v14, v5, vcc
	global_load_dwordx2 v[14:15], v[4:5], off
	global_load_dword v16, v[2:3], off offset:2048
	v_mov_b32_e32 v5, s31
	s_waitcnt vmcnt(1)
	v_subrev_co_u32_e32 v14, vcc, s30, v14
	v_subb_co_u32_e32 v15, vcc, v15, v5, vcc
	s_waitcnt vmcnt(0)
	v_subrev_u32_e32 v4, s30, v16
	v_cmp_gt_i64_e32 vcc, v[14:15], v[6:7]
	v_cndmask_b32_e32 v11, v13, v11, vcc
	v_cndmask_b32_e32 v10, v12, v10, vcc
	v_ashrrev_i32_e32 v5, 31, v4
	v_cmp_ne_u64_e32 vcc, v[10:11], v[4:5]
	s_and_saveexec_b64 s[20:21], vcc
	s_cbranch_execz .LBB86_150
; %bb.141:
	s_load_dwordx2 s[2:3], s[18:19], 0x0
	s_waitcnt lgkmcnt(0)
	s_sub_u32 s2, s2, s30
	s_subb_u32 s3, s3, 0
	v_cmp_gt_i64_e32 vcc, s[2:3], v[6:7]
	s_and_b64 exec, exec, vcc
	s_cbranch_execz .LBB86_150
; %bb.142:
	v_cmp_gt_i64_e32 vcc, s[4:5], v[4:5]
	v_cmp_le_i64_e64 s[2:3], s[26:27], v[4:5]
	s_or_b64 s[2:3], vcc, s[2:3]
	v_lshlrev_b64 v[6:7], 3, v[10:11]
	s_and_saveexec_b64 s[40:41], s[2:3]
	s_xor_b64 s[2:3], exec, s[40:41]
	s_cbranch_execz .LBB86_148
; %bb.143:
	v_mov_b32_e32 v10, s23
	v_add_co_u32_e32 v6, vcc, s22, v6
	v_lshlrev_b64 v[12:13], 3, v[4:5]
	v_addc_co_u32_e32 v7, vcc, v10, v7, vcc
	v_mov_b32_e32 v14, s15
	global_load_dwordx2 v[10:11], v[6:7], off
	v_add_co_u32_e32 v6, vcc, s14, v12
	v_addc_co_u32_e32 v7, vcc, v14, v13, vcc
	global_load_dword v15, v[6:7], off
	ds_read_b64 v[12:13], v28 offset:4096
	s_mov_b64 s[40:41], 0
	s_waitcnt vmcnt(1) lgkmcnt(0)
	v_mul_f32_e64 v16, v11, -v13
	v_fmac_f32_e32 v16, v12, v10
.LBB86_144:                             ; =>This Inner Loop Header: Depth=1
	s_waitcnt vmcnt(0)
	v_add_f32_e32 v14, v15, v16
	global_atomic_cmpswap v14, v[6:7], v[14:15], off glc
	s_waitcnt vmcnt(0)
	v_cmp_eq_u32_e32 vcc, v14, v15
	s_or_b64 s[40:41], vcc, s[40:41]
	v_mov_b32_e32 v15, v14
	s_andn2_b64 exec, exec, s[40:41]
	s_cbranch_execnz .LBB86_144
; %bb.145:
	s_or_b64 exec, exec, s[40:41]
	global_load_dword v15, v[6:7], off offset:4
	v_mul_f32_e32 v11, v11, v12
	v_fmac_f32_e32 v11, v13, v10
	s_mov_b64 s[40:41], 0
.LBB86_146:                             ; =>This Inner Loop Header: Depth=1
	s_waitcnt vmcnt(0)
	v_add_f32_e32 v14, v15, v11
	global_atomic_cmpswap v10, v[6:7], v[14:15], off offset:4 glc
	s_waitcnt vmcnt(0)
	v_cmp_eq_u32_e32 vcc, v10, v15
	s_or_b64 s[40:41], vcc, s[40:41]
	v_mov_b32_e32 v15, v10
	s_andn2_b64 exec, exec, s[40:41]
	s_cbranch_execnz .LBB86_146
; %bb.147:
	s_or_b64 exec, exec, s[40:41]
                                        ; implicit-def: $vgpr6_vgpr7
.LBB86_148:
	s_andn2_saveexec_b64 s[2:3], s[2:3]
	s_cbranch_execz .LBB86_150
; %bb.149:
	v_mov_b32_e32 v10, s23
	v_add_co_u32_e32 v6, vcc, s22, v6
	v_addc_co_u32_e32 v7, vcc, v10, v7, vcc
	global_load_dwordx2 v[6:7], v[6:7], off
	ds_read_b64 v[10:11], v28 offset:4096
	v_subrev_u32_e32 v12, s4, v4
	v_mov_b32_e32 v13, 0x2000
	v_lshl_add_u32 v12, v12, 3, v13
	s_waitcnt vmcnt(0) lgkmcnt(0)
	v_mul_f32_e64 v13, v7, -v11
	v_mul_f32_e32 v7, v7, v10
	v_fmac_f32_e32 v13, v10, v6
	v_fmac_f32_e32 v7, v11, v6
	ds_add_f32 v12, v13
	ds_add_f32 v12, v7 offset:4
.LBB86_150:
	s_or_b64 exec, exec, s[20:21]
	v_lshlrev_b64 v[4:5], 3, v[4:5]
	v_mov_b32_e32 v6, s23
	v_add_co_u32_e32 v4, vcc, s22, v4
	v_addc_co_u32_e32 v5, vcc, v6, v5, vcc
	global_load_dwordx2 v[6:7], v[4:5], off
	ds_read_b64 v[10:11], v28 offset:4096
	s_and_b64 vcc, exec, s[0:1]
	v_pk_mov_b32 v[4:5], s[24:25], s[24:25] op_sel:[0,1]
	s_waitcnt vmcnt(0) lgkmcnt(0)
	v_pk_mul_f32 v[12:13], v[6:7], v[10:11] op_sel:[1,1] op_sel_hi:[1,0] neg_lo:[0,1]
	v_pk_fma_f32 v[6:7], v[10:11], v[6:7], v[12:13] op_sel_hi:[1,0,1]
	ds_write_b64 v28, v[6:7] offset:4096
	v_pk_mov_b32 v[6:7], s[8:9], s[8:9] op_sel:[0,1]
	s_cbranch_vccnz .LBB86_154
; %bb.151:
	s_mov_b64 s[2:3], 0
	v_pk_mov_b32 v[4:5], s[24:25], s[24:25] op_sel:[0,1]
	v_pk_mov_b32 v[6:7], s[8:9], s[8:9] op_sel:[0,1]
	v_mov_b32_e32 v10, s17
	v_mov_b32_e32 v11, s31
.LBB86_152:                             ; =>This Inner Loop Header: Depth=1
	v_add_co_u32_e32 v12, vcc, v6, v4
	v_addc_co_u32_e32 v13, vcc, v7, v5, vcc
	v_lshrrev_b32_e32 v14, 31, v13
	v_add_co_u32_e32 v12, vcc, v12, v14
	v_addc_co_u32_e32 v13, vcc, 0, v13, vcc
	v_ashrrev_i64 v[12:13], 1, v[12:13]
	v_lshlrev_b64 v[14:15], 3, v[12:13]
	v_add_co_u32_e32 v14, vcc, s16, v14
	v_addc_co_u32_e32 v15, vcc, v10, v15, vcc
	global_load_dwordx2 v[14:15], v[14:15], off
	s_waitcnt vmcnt(0)
	v_subrev_co_u32_e32 v14, vcc, s30, v14
	v_subb_co_u32_e32 v15, vcc, v15, v11, vcc
	v_cmp_gt_i64_e32 vcc, v[14:15], v[8:9]
	v_cndmask_b32_e32 v6, v6, v12, vcc
	v_cndmask_b32_e32 v7, v7, v13, vcc
	;; [unrolled: 1-line block ×3, first 2 shown]
	v_add_co_u32_e64 v12, s[0:1], -1, v6
	v_cndmask_b32_e32 v5, v13, v5, vcc
	v_addc_co_u32_e64 v13, s[0:1], -1, v7, s[0:1]
	v_cmp_ge_i64_e32 vcc, v[4:5], v[6:7]
	v_cmp_eq_u64_e64 s[0:1], v[4:5], v[12:13]
	s_or_b64 s[0:1], vcc, s[0:1]
	s_and_b64 s[0:1], exec, s[0:1]
	s_or_b64 s[2:3], s[0:1], s[2:3]
	s_andn2_b64 exec, exec, s[2:3]
	s_cbranch_execnz .LBB86_152
; %bb.153:
	s_or_b64 exec, exec, s[2:3]
.LBB86_154:
	v_lshlrev_b64 v[10:11], 3, v[6:7]
	v_mov_b32_e32 v12, s17
	global_load_dword v13, v[2:3], off offset:3072
	v_add_co_u32_e32 v2, vcc, s16, v10
	v_addc_co_u32_e32 v3, vcc, v12, v11, vcc
	global_load_dwordx2 v[10:11], v[2:3], off
	v_mov_b32_e32 v3, s31
	s_waitcnt vmcnt(1)
	v_subrev_u32_e32 v2, s30, v13
	s_waitcnt vmcnt(0)
	v_subrev_co_u32_e32 v10, vcc, s30, v10
	v_subb_co_u32_e32 v11, vcc, v11, v3, vcc
	v_cmp_gt_i64_e32 vcc, v[10:11], v[8:9]
	v_cndmask_b32_e32 v5, v7, v5, vcc
	v_cndmask_b32_e32 v4, v6, v4, vcc
	v_ashrrev_i32_e32 v3, 31, v2
	v_cmp_ne_u64_e32 vcc, v[4:5], v[2:3]
	s_and_saveexec_b64 s[2:3], vcc
	s_cbranch_execz .LBB86_164
; %bb.155:
	s_load_dwordx2 s[0:1], s[18:19], 0x0
	s_waitcnt lgkmcnt(0)
	s_sub_u32 s0, s0, s30
	s_subb_u32 s1, s1, 0
	v_cmp_gt_i64_e32 vcc, s[0:1], v[8:9]
	s_and_b64 exec, exec, vcc
	s_cbranch_execz .LBB86_164
; %bb.156:
	v_cmp_gt_i64_e32 vcc, s[4:5], v[2:3]
	v_cmp_le_i64_e64 s[0:1], s[26:27], v[2:3]
	s_or_b64 s[0:1], vcc, s[0:1]
	v_lshlrev_b64 v[4:5], 3, v[4:5]
	s_and_saveexec_b64 s[8:9], s[0:1]
	s_xor_b64 s[0:1], exec, s[8:9]
	s_cbranch_execz .LBB86_162
; %bb.157:
	v_mov_b32_e32 v6, s23
	v_add_co_u32_e32 v4, vcc, s22, v4
	v_lshlrev_b64 v[8:9], 3, v[2:3]
	v_addc_co_u32_e32 v5, vcc, v6, v5, vcc
	v_mov_b32_e32 v10, s15
	global_load_dwordx2 v[6:7], v[4:5], off
	v_add_co_u32_e32 v4, vcc, s14, v8
	v_addc_co_u32_e32 v5, vcc, v10, v9, vcc
	global_load_dword v11, v[4:5], off
	ds_read_b64 v[8:9], v28 offset:6144
	s_mov_b64 s[8:9], 0
	s_waitcnt vmcnt(1) lgkmcnt(0)
	v_mul_f32_e64 v12, v7, -v9
	v_fmac_f32_e32 v12, v8, v6
.LBB86_158:                             ; =>This Inner Loop Header: Depth=1
	s_waitcnt vmcnt(0)
	v_add_f32_e32 v10, v11, v12
	global_atomic_cmpswap v10, v[4:5], v[10:11], off glc
	s_waitcnt vmcnt(0)
	v_cmp_eq_u32_e32 vcc, v10, v11
	s_or_b64 s[8:9], vcc, s[8:9]
	v_mov_b32_e32 v11, v10
	s_andn2_b64 exec, exec, s[8:9]
	s_cbranch_execnz .LBB86_158
; %bb.159:
	s_or_b64 exec, exec, s[8:9]
	global_load_dword v11, v[4:5], off offset:4
	v_mul_f32_e32 v7, v7, v8
	v_fmac_f32_e32 v7, v9, v6
	s_mov_b64 s[8:9], 0
.LBB86_160:                             ; =>This Inner Loop Header: Depth=1
	s_waitcnt vmcnt(0)
	v_add_f32_e32 v10, v11, v7
	global_atomic_cmpswap v6, v[4:5], v[10:11], off offset:4 glc
	s_waitcnt vmcnt(0)
	v_cmp_eq_u32_e32 vcc, v6, v11
	s_or_b64 s[8:9], vcc, s[8:9]
	v_mov_b32_e32 v11, v6
	s_andn2_b64 exec, exec, s[8:9]
	s_cbranch_execnz .LBB86_160
; %bb.161:
	s_or_b64 exec, exec, s[8:9]
                                        ; implicit-def: $vgpr4_vgpr5
.LBB86_162:
	s_andn2_saveexec_b64 s[0:1], s[0:1]
	s_cbranch_execz .LBB86_164
; %bb.163:
	v_mov_b32_e32 v6, s23
	v_add_co_u32_e32 v4, vcc, s22, v4
	v_addc_co_u32_e32 v5, vcc, v6, v5, vcc
	global_load_dwordx2 v[4:5], v[4:5], off
	ds_read_b64 v[6:7], v28 offset:6144
	v_subrev_u32_e32 v8, s4, v2
	v_mov_b32_e32 v9, 0x2000
	v_lshl_add_u32 v8, v8, 3, v9
	s_waitcnt vmcnt(0) lgkmcnt(0)
	v_mul_f32_e64 v9, v5, -v7
	v_mul_f32_e32 v5, v5, v6
	v_fmac_f32_e32 v9, v6, v4
	v_fmac_f32_e32 v5, v7, v4
	ds_add_f32 v8, v9
	ds_add_f32 v8, v5 offset:4
.LBB86_164:
	s_or_b64 exec, exec, s[2:3]
	v_lshlrev_b64 v[2:3], 3, v[2:3]
	v_mov_b32_e32 v4, s23
	v_add_co_u32_e32 v2, vcc, s22, v2
	v_addc_co_u32_e32 v3, vcc, v4, v3, vcc
	global_load_dwordx2 v[2:3], v[2:3], off
	ds_read_b64 v[4:5], v28 offset:6144
	s_waitcnt vmcnt(0) lgkmcnt(0)
	v_pk_mul_f32 v[6:7], v[2:3], v[4:5] op_sel:[1,1] op_sel_hi:[1,0] neg_lo:[0,1]
	v_pk_fma_f32 v[2:3], v[4:5], v[2:3], v[6:7] op_sel_hi:[1,0,1]
	ds_write_b64 v28, v[2:3] offset:6144
.LBB86_165:
	s_or_b64 exec, exec, s[6:7]
	v_pk_mov_b32 v[2:3], s[10:11], s[10:11] op_sel:[0,1]
	v_cmp_lt_i64_e32 vcc, s[26:27], v[2:3]
	s_and_b64 s[0:1], vcc, exec
	s_cselect_b32 s8, s26, s10
	s_cselect_b32 s0, s27, s11
	s_sub_u32 s2, s8, s28
	s_subb_u32 s3, s0, s29
	v_cmp_gt_i64_e32 vcc, s[2:3], v[0:1]
	s_waitcnt lgkmcnt(0)
	s_barrier
	s_and_saveexec_b64 s[0:1], vcc
	s_cbranch_execz .LBB86_172
; %bb.166:
	s_lshl_b64 s[4:5], s[4:5], 3
	s_add_u32 s9, s14, s4
	s_addc_u32 s6, s15, s5
	s_mov_b64 s[4:5], 0
	v_mov_b32_e32 v10, s6
	v_mov_b32_e32 v11, 0x2000
	v_pk_mov_b32 v[2:3], v[0:1], v[0:1] op_sel:[0,1]
.LBB86_167:                             ; =>This Loop Header: Depth=1
                                        ;     Child Loop BB86_168 Depth 2
                                        ;     Child Loop BB86_170 Depth 2
	v_lshlrev_b64 v[4:5], 3, v[2:3]
	v_add_co_u32_e32 v4, vcc, s9, v4
	v_addc_co_u32_e32 v5, vcc, v10, v5, vcc
	global_load_dword v9, v[4:5], off
	v_lshl_add_u32 v6, v2, 3, v11
	ds_read2_b32 v[6:7], v6 offset1:1
	s_mov_b64 s[6:7], 0
.LBB86_168:                             ;   Parent Loop BB86_167 Depth=1
                                        ; =>  This Inner Loop Header: Depth=2
	s_waitcnt vmcnt(0) lgkmcnt(0)
	v_add_f32_e32 v8, v9, v6
	global_atomic_cmpswap v8, v[4:5], v[8:9], off glc
	s_waitcnt vmcnt(0)
	v_cmp_eq_u32_e32 vcc, v8, v9
	s_or_b64 s[6:7], vcc, s[6:7]
	v_mov_b32_e32 v9, v8
	s_andn2_b64 exec, exec, s[6:7]
	s_cbranch_execnz .LBB86_168
; %bb.169:                              ;   in Loop: Header=BB86_167 Depth=1
	s_or_b64 exec, exec, s[6:7]
	global_load_dword v9, v[4:5], off offset:4
	s_mov_b64 s[6:7], 0
.LBB86_170:                             ;   Parent Loop BB86_167 Depth=1
                                        ; =>  This Inner Loop Header: Depth=2
	s_waitcnt vmcnt(0)
	v_add_f32_e32 v8, v9, v7
	global_atomic_cmpswap v6, v[4:5], v[8:9], off offset:4 glc
	s_waitcnt vmcnt(0)
	v_cmp_eq_u32_e32 vcc, v6, v9
	s_or_b64 s[6:7], vcc, s[6:7]
	v_mov_b32_e32 v9, v6
	s_andn2_b64 exec, exec, s[6:7]
	s_cbranch_execnz .LBB86_170
; %bb.171:                              ;   in Loop: Header=BB86_167 Depth=1
	s_or_b64 exec, exec, s[6:7]
	v_add_co_u32_e32 v2, vcc, 0x100, v2
	v_addc_co_u32_e32 v3, vcc, 0, v3, vcc
	v_cmp_le_i64_e32 vcc, s[2:3], v[2:3]
	s_or_b64 s[4:5], vcc, s[4:5]
	s_andn2_b64 exec, exec, s[4:5]
	s_cbranch_execnz .LBB86_167
.LBB86_172:
	s_or_b64 exec, exec, s[0:1]
	s_add_i32 s0, s38, -1
	s_ashr_i32 s1, s0, 1
	s_or_b32 s0, s1, s0
	s_ashr_i32 s1, s0, 2
	s_or_b32 s0, s1, s0
	;; [unrolled: 2-line block ×5, first 2 shown]
	s_add_i32 s3, s3, 1
	s_ashr_i32 s18, s3, 1
	v_mov_b32_e32 v2, s25
	v_add_co_u32_e32 v6, vcc, s24, v0
	v_addc_co_u32_e32 v7, vcc, 0, v2, vcc
	s_cmp_gt_i32 s18, 1
	s_mov_b64 s[0:1], -1
	s_barrier
	s_cbranch_scc1 .LBB86_185
; %bb.173:
	v_cmp_gt_i64_e32 vcc, s[26:27], v[6:7]
	s_and_saveexec_b64 s[0:1], vcc
	s_cbranch_execz .LBB86_184
; %bb.174:
	s_sub_i32 s4, s8, s26
	s_lshl_b32 s4, s4, 3
	s_add_i32 s10, s4, 0x2000
	s_lshl_b32 s4, s12, 3
	s_sub_i32 s11, 0, s4
	s_mov_b64 s[4:5], 0
	v_mov_b32_e32 v16, s17
	v_mov_b32_e32 v17, s15
	;; [unrolled: 1-line block ×3, first 2 shown]
	v_pk_mov_b32 v[8:9], v[6:7], v[6:7] op_sel:[0,1]
.LBB86_175:                             ; =>This Loop Header: Depth=1
                                        ;     Child Loop BB86_177 Depth 2
                                        ;     Child Loop BB86_180 Depth 2
	;; [unrolled: 1-line block ×3, first 2 shown]
	v_lshlrev_b64 v[10:11], 3, v[8:9]
	v_add_co_u32_e32 v2, vcc, s16, v10
	v_addc_co_u32_e32 v3, vcc, v16, v11, vcc
	global_load_dwordx4 v[2:5], v[2:3], off
	v_mov_b32_e32 v13, 0
	v_mov_b32_e32 v12, v13
	s_waitcnt vmcnt(0)
	v_cmp_lt_i64_e32 vcc, v[2:3], v[4:5]
	s_and_saveexec_b64 s[6:7], vcc
	s_cbranch_execz .LBB86_179
; %bb.176:                              ;   in Loop: Header=BB86_175 Depth=1
	v_mov_b32_e32 v12, s13
	v_subrev_co_u32_e32 v4, vcc, s12, v4
	v_subb_co_u32_e32 v5, vcc, v5, v12, vcc
	v_subrev_co_u32_e32 v14, vcc, s12, v2
	v_subb_co_u32_e32 v15, vcc, v3, v12, vcc
	v_mov_b32_e32 v12, 0
	v_lshl_add_u32 v2, v2, 3, s11
	s_mov_b64 s[8:9], 0
	v_mov_b32_e32 v13, v12
.LBB86_177:                             ;   Parent Loop BB86_175 Depth=1
                                        ; =>  This Inner Loop Header: Depth=2
	ds_read_b64 v[20:21], v2
	v_add_co_u32_e32 v14, vcc, 1, v14
	v_addc_co_u32_e32 v15, vcc, 0, v15, vcc
	v_cmp_ge_i64_e32 vcc, v[14:15], v[4:5]
	v_add_u32_e32 v2, 8, v2
	s_or_b64 s[8:9], vcc, s[8:9]
	s_waitcnt lgkmcnt(0)
	v_pk_add_f32 v[12:13], v[12:13], v[20:21]
	s_andn2_b64 exec, exec, s[8:9]
	s_cbranch_execnz .LBB86_177
; %bb.178:                              ;   in Loop: Header=BB86_175 Depth=1
	s_or_b64 exec, exec, s[8:9]
.LBB86_179:                             ;   in Loop: Header=BB86_175 Depth=1
	s_or_b64 exec, exec, s[6:7]
	v_add_co_u32_e32 v2, vcc, s14, v10
	v_addc_co_u32_e32 v3, vcc, v17, v11, vcc
	global_load_dword v11, v[2:3], off
	v_lshl_add_u32 v4, v8, 3, s10
	ds_read2_b32 v[4:5], v4 offset1:1
	s_mov_b64 s[6:7], 0
	s_waitcnt lgkmcnt(0)
	v_add_f32_e32 v4, v12, v4
.LBB86_180:                             ;   Parent Loop BB86_175 Depth=1
                                        ; =>  This Inner Loop Header: Depth=2
	s_waitcnt vmcnt(0)
	v_add_f32_e32 v10, v11, v4
	global_atomic_cmpswap v10, v[2:3], v[10:11], off glc
	s_waitcnt vmcnt(0)
	v_cmp_eq_u32_e32 vcc, v10, v11
	s_or_b64 s[6:7], vcc, s[6:7]
	v_mov_b32_e32 v11, v10
	s_andn2_b64 exec, exec, s[6:7]
	s_cbranch_execnz .LBB86_180
; %bb.181:                              ;   in Loop: Header=BB86_175 Depth=1
	s_or_b64 exec, exec, s[6:7]
	global_load_dword v11, v[2:3], off offset:4
	v_add_f32_e32 v4, v13, v5
	s_mov_b64 s[6:7], 0
.LBB86_182:                             ;   Parent Loop BB86_175 Depth=1
                                        ; =>  This Inner Loop Header: Depth=2
	s_waitcnt vmcnt(0)
	v_add_f32_e32 v10, v11, v4
	global_atomic_cmpswap v5, v[2:3], v[10:11], off offset:4 glc
	s_waitcnt vmcnt(0)
	v_cmp_eq_u32_e32 vcc, v5, v11
	s_or_b64 s[6:7], vcc, s[6:7]
	v_mov_b32_e32 v11, v5
	s_andn2_b64 exec, exec, s[6:7]
	s_cbranch_execnz .LBB86_182
; %bb.183:                              ;   in Loop: Header=BB86_175 Depth=1
	s_or_b64 exec, exec, s[6:7]
	v_add_co_u32_e32 v8, vcc, s36, v8
	v_addc_co_u32_e32 v9, vcc, v9, v18, vcc
	v_cmp_le_i64_e32 vcc, s[26:27], v[8:9]
	s_or_b64 s[4:5], vcc, s[4:5]
	s_andn2_b64 exec, exec, s[4:5]
	s_cbranch_execnz .LBB86_175
.LBB86_184:
	s_or_b64 exec, exec, s[0:1]
	s_mov_b64 s[0:1], 0
.LBB86_185:
	s_andn2_b64 vcc, exec, s[0:1]
	s_cbranch_vccnz .LBB86_216
; %bb.186:
	v_cvt_f32_u32_e32 v14, s18
	s_sub_i32 s6, 0, s18
	v_mov_b32_e32 v11, 0
	v_mov_b32_e32 v4, s35
	v_rcp_iflag_f32_e32 v2, v14
	v_mov_b32_e32 v12, s13
	v_mul_f32_e32 v2, 0x4f7ffffe, v2
	v_cvt_u32_f32_e32 v2, v2
	v_mul_lo_u32 v3, s6, v2
	v_mul_hi_u32 v3, v2, v3
	v_add_u32_e32 v2, v2, v3
	v_mul_hi_u32 v2, v0, v2
	v_mul_lo_u32 v3, v2, s18
	v_sub_u32_e32 v3, v0, v3
	v_add_u32_e32 v5, 1, v2
	v_cmp_le_u32_e32 vcc, s18, v3
	v_cndmask_b32_e32 v2, v2, v5, vcc
	v_subrev_u32_e32 v5, s18, v3
	v_cndmask_b32_e32 v3, v3, v5, vcc
	v_add_u32_e32 v5, 1, v2
	v_cmp_le_u32_e32 vcc, s18, v3
	v_cndmask_b32_e32 v10, v2, v5, vcc
	v_lshlrev_b64 v[2:3], 3, v[10:11]
	v_add_co_u32_e32 v2, vcc, s34, v2
	v_addc_co_u32_e32 v3, vcc, v4, v3, vcc
	global_load_dwordx4 v[2:5], v[2:3], off
	s_waitcnt vmcnt(0)
	v_subrev_co_u32_e32 v8, vcc, s12, v2
	v_subb_co_u32_e32 v9, vcc, v3, v12, vcc
	v_subrev_co_u32_e32 v18, vcc, s12, v4
	v_subb_co_u32_e32 v19, vcc, v5, v12, vcc
	v_sub_co_u32_e32 v3, vcc, v18, v8
	v_subb_co_u32_e32 v13, vcc, v19, v9, vcc
	v_mov_b32_e32 v12, v11
	v_cmp_ne_u64_e32 vcc, 0, v[12:13]
                                        ; implicit-def: $vgpr4_vgpr5
	s_and_saveexec_b64 s[0:1], vcc
	s_xor_b64 s[4:5], exec, s[0:1]
	s_cbranch_execz .LBB86_188
; %bb.187:
	v_cvt_f32_ubyte0_e32 v4, 0
	v_madmk_f32 v4, v4, 0x4f800000, v14
	v_rcp_f32_e32 v4, v4
	s_sub_u32 s0, 0, s18
	s_subb_u32 s1, 0, 0
	v_mul_f32_e32 v4, 0x5f7ffffc, v4
	v_mul_f32_e32 v5, 0x2f800000, v4
	v_trunc_f32_e32 v5, v5
	v_madmk_f32 v4, v5, 0xcf800000, v4
	v_cvt_u32_f32_e32 v5, v5
	v_cvt_u32_f32_e32 v4, v4
	v_mul_lo_u32 v12, s0, v5
	v_mul_hi_u32 v15, s0, v4
	v_mul_lo_u32 v14, s1, v4
	v_add_u32_e32 v12, v15, v12
	v_add_u32_e32 v12, v12, v14
	v_mul_lo_u32 v16, s0, v4
	v_mul_lo_u32 v15, v4, v12
	v_mul_hi_u32 v17, v4, v16
	v_mul_hi_u32 v14, v4, v12
	v_add_co_u32_e32 v15, vcc, v17, v15
	v_addc_co_u32_e32 v14, vcc, 0, v14, vcc
	v_mul_hi_u32 v20, v5, v16
	v_mul_lo_u32 v16, v5, v16
	v_add_co_u32_e32 v15, vcc, v15, v16
	v_mul_hi_u32 v17, v5, v12
	v_addc_co_u32_e32 v14, vcc, v14, v20, vcc
	v_addc_co_u32_e32 v15, vcc, 0, v17, vcc
	v_mul_lo_u32 v12, v5, v12
	v_add_co_u32_e32 v12, vcc, v14, v12
	v_addc_co_u32_e32 v14, vcc, 0, v15, vcc
	v_add_co_u32_e32 v4, vcc, v4, v12
	v_addc_co_u32_e32 v5, vcc, v5, v14, vcc
	v_mul_lo_u32 v12, s0, v5
	v_mul_hi_u32 v14, s0, v4
	v_add_u32_e32 v12, v14, v12
	v_mul_lo_u32 v14, s1, v4
	v_add_u32_e32 v12, v12, v14
	v_mul_lo_u32 v15, s0, v4
	v_mul_hi_u32 v16, v5, v15
	v_mul_lo_u32 v17, v5, v15
	v_mul_lo_u32 v21, v4, v12
	v_mul_hi_u32 v15, v4, v15
	v_mul_hi_u32 v20, v4, v12
	v_add_co_u32_e32 v15, vcc, v15, v21
	v_addc_co_u32_e32 v20, vcc, 0, v20, vcc
	v_add_co_u32_e32 v15, vcc, v15, v17
	v_mul_hi_u32 v14, v5, v12
	v_addc_co_u32_e32 v15, vcc, v20, v16, vcc
	v_addc_co_u32_e32 v14, vcc, 0, v14, vcc
	v_mul_lo_u32 v12, v5, v12
	v_add_co_u32_e32 v12, vcc, v15, v12
	v_addc_co_u32_e32 v14, vcc, 0, v14, vcc
	v_add_co_u32_e32 v12, vcc, v4, v12
	v_addc_co_u32_e32 v14, vcc, v5, v14, vcc
	v_ashrrev_i32_e32 v15, 31, v13
	v_add_co_u32_e32 v3, vcc, v3, v15
	v_addc_co_u32_e32 v4, vcc, v13, v15, vcc
	v_xor_b32_e32 v3, v3, v15
	v_xor_b32_e32 v16, v4, v15
	v_mad_u64_u32 v[4:5], s[0:1], v3, v14, 0
	v_mul_hi_u32 v13, v3, v12
	v_add_co_u32_e32 v17, vcc, v13, v4
	v_addc_co_u32_e32 v20, vcc, 0, v5, vcc
	v_mad_u64_u32 v[12:13], s[0:1], v16, v12, 0
	v_add_co_u32_e32 v12, vcc, v17, v12
	v_mad_u64_u32 v[4:5], s[0:1], v16, v14, 0
	v_addc_co_u32_e32 v12, vcc, v20, v13, vcc
	v_addc_co_u32_e32 v5, vcc, 0, v5, vcc
	v_add_co_u32_e32 v14, vcc, v12, v4
	v_addc_co_u32_e32 v17, vcc, 0, v5, vcc
	v_mad_u64_u32 v[4:5], s[0:1], s18, v14, 0
	v_mov_b32_e32 v12, v5
	v_mad_u64_u32 v[12:13], s[0:1], s18, v17, v[12:13]
	v_sub_co_u32_e32 v3, vcc, v3, v4
	v_subb_co_u32_e32 v4, vcc, v16, v12, vcc
	v_subrev_co_u32_e32 v5, vcc, s18, v3
	v_subbrev_co_u32_e32 v12, vcc, 0, v4, vcc
	v_cmp_le_u32_e32 vcc, s18, v5
	v_cndmask_b32_e64 v5, 0, -1, vcc
	v_cmp_eq_u32_e32 vcc, 0, v12
	v_cndmask_b32_e32 v5, -1, v5, vcc
	v_add_co_u32_e32 v12, vcc, 2, v14
	v_addc_co_u32_e32 v13, vcc, 0, v17, vcc
	v_add_co_u32_e32 v16, vcc, 1, v14
	v_cmp_le_u32_e64 s[0:1], s18, v3
	v_addc_co_u32_e32 v20, vcc, 0, v17, vcc
	v_cndmask_b32_e64 v3, 0, -1, s[0:1]
	v_cmp_eq_u32_e64 s[0:1], 0, v4
	v_cmp_ne_u32_e32 vcc, 0, v5
	v_cndmask_b32_e64 v3, -1, v3, s[0:1]
	v_cmp_ne_u32_e64 s[0:1], 0, v3
	v_cndmask_b32_e32 v4, v16, v12, vcc
	v_cndmask_b32_e32 v5, v20, v13, vcc
	v_cndmask_b32_e64 v4, v14, v4, s[0:1]
	v_cndmask_b32_e64 v3, v17, v5, s[0:1]
	v_xor_b32_e32 v4, v4, v15
	v_xor_b32_e32 v3, v3, v15
	v_sub_co_u32_e32 v4, vcc, v4, v15
	v_subb_co_u32_e32 v5, vcc, v3, v15, vcc
                                        ; implicit-def: $vgpr3
.LBB86_188:
	s_andn2_saveexec_b64 s[0:1], s[4:5]
	s_cbranch_execz .LBB86_190
; %bb.189:
	v_cvt_f32_u32_e32 v4, s18
	v_rcp_iflag_f32_e32 v4, v4
	v_mul_f32_e32 v4, 0x4f7ffffe, v4
	v_cvt_u32_f32_e32 v4, v4
	v_mul_lo_u32 v5, s6, v4
	v_mul_hi_u32 v5, v4, v5
	v_add_u32_e32 v4, v4, v5
	v_mul_hi_u32 v4, v3, v4
	v_mul_lo_u32 v5, v4, s18
	v_sub_u32_e32 v3, v3, v5
	v_add_u32_e32 v12, 1, v4
	v_subrev_u32_e32 v5, s18, v3
	v_cmp_le_u32_e32 vcc, s18, v3
	v_cndmask_b32_e32 v3, v3, v5, vcc
	v_cndmask_b32_e32 v4, v4, v12, vcc
	v_add_u32_e32 v5, 1, v4
	v_cmp_le_u32_e32 vcc, s18, v3
	v_cndmask_b32_e32 v4, v4, v5, vcc
	v_mov_b32_e32 v5, 0
.LBB86_190:
	s_or_b64 exec, exec, s[0:1]
	v_cmp_gt_i64_e32 vcc, s[28:29], v[10:11]
	v_mov_b32_e32 v11, 0
	v_mov_b32_e32 v10, 0
	s_and_saveexec_b64 s[0:1], vcc
	s_cbranch_execz .LBB86_204
; %bb.191:
	s_add_i32 s4, s18, -1
	v_and_b32_e32 v12, s4, v0
	v_cmp_lt_i64_e32 vcc, 0, v[4:5]
	s_mov_b32 s6, 0
	v_mov_b32_e32 v11, 0
	v_mov_b32_e32 v10, 0
	s_and_saveexec_b64 s[4:5], vcc
	s_cbranch_execz .LBB86_201
; %bb.192:
	s_mov_b32 s7, s6
	v_cmp_lt_u64_e32 vcc, 3, v[4:5]
	v_pk_mov_b32 v[10:11], s[6:7], s[6:7] op_sel:[0,1]
	v_pk_mov_b32 v[14:15], 0, 0
	s_and_saveexec_b64 s[6:7], vcc
	s_cbranch_execz .LBB86_196
; %bb.193:
	s_lshl_b32 s8, s18, 3
	s_lshl_b32 s9, s12, 3
	s_sub_i32 s13, s8, s9
	s_lshl_b32 s8, s18, 4
	v_lshlrev_b32_e32 v3, 3, v2
	s_sub_i32 s17, s8, s9
	s_mul_i32 s8, s18, 24
	v_mov_b32_e32 v10, 0
	v_and_b32_e32 v15, 0x7fffffff, v5
	v_and_b32_e32 v14, -4, v4
	v_lshl_add_u32 v3, v12, 3, v3
	s_lshl_b32 s16, s18, 5
	s_sub_i32 s19, s8, s9
	s_sub_i32 s20, 0, s9
	s_mov_b64 s[8:9], 0
	s_mov_b64 s[10:11], 0
	v_mov_b32_e32 v11, v10
.LBB86_194:                             ; =>This Inner Loop Header: Depth=1
	v_add_u32_e32 v13, s20, v3
	v_add_u32_e32 v20, s13, v3
	;; [unrolled: 1-line block ×4, first 2 shown]
	ds_read_b64 v[16:17], v13
	ds_read_b64 v[20:21], v20
	;; [unrolled: 1-line block ×4, first 2 shown]
	s_add_u32 s10, s10, 4
	s_waitcnt lgkmcnt(3)
	v_pk_add_f32 v[10:11], v[10:11], v[16:17]
	s_addc_u32 s11, s11, 0
	s_waitcnt lgkmcnt(2)
	v_pk_add_f32 v[10:11], v[10:11], v[20:21]
	v_cmp_eq_u64_e32 vcc, s[10:11], v[14:15]
	s_waitcnt lgkmcnt(1)
	v_pk_add_f32 v[10:11], v[10:11], v[22:23]
	v_add_u32_e32 v3, s16, v3
	s_or_b64 s[8:9], vcc, s[8:9]
	s_waitcnt lgkmcnt(0)
	v_pk_add_f32 v[10:11], v[10:11], v[24:25]
	s_andn2_b64 exec, exec, s[8:9]
	s_cbranch_execnz .LBB86_194
; %bb.195:
	s_or_b64 exec, exec, s[8:9]
.LBB86_196:
	s_or_b64 exec, exec, s[6:7]
	v_and_b32_e32 v16, 3, v4
	v_mov_b32_e32 v17, 0
	s_mov_b64 s[8:9], 0
	v_cmp_ne_u64_e32 vcc, 0, v[16:17]
	s_and_saveexec_b64 s[6:7], vcc
	s_cbranch_execz .LBB86_200
; %bb.197:
	v_mul_lo_u32 v3, s18, v14
	v_add3_u32 v2, v12, v3, v2
	v_subrev_u32_e32 v2, s12, v2
	v_lshlrev_b32_e32 v2, 3, v2
	s_lshl_b32 s10, s18, 3
.LBB86_198:                             ; =>This Inner Loop Header: Depth=1
	ds_read_b64 v[14:15], v2
	v_add_co_u32_e32 v16, vcc, -1, v16
	v_addc_co_u32_e32 v17, vcc, -1, v17, vcc
	v_cmp_eq_u64_e32 vcc, 0, v[16:17]
	v_add_u32_e32 v2, s10, v2
	s_or_b64 s[8:9], vcc, s[8:9]
	s_waitcnt lgkmcnt(0)
	v_pk_add_f32 v[10:11], v[10:11], v[14:15]
	s_andn2_b64 exec, exec, s[8:9]
	s_cbranch_execnz .LBB86_198
; %bb.199:
	s_or_b64 exec, exec, s[8:9]
.LBB86_200:
	s_or_b64 exec, exec, s[6:7]
.LBB86_201:
	s_or_b64 exec, exec, s[4:5]
	v_mad_u64_u32 v[2:3], s[4:5], v4, s18, v[8:9]
	v_mov_b32_e32 v4, v3
	v_mad_u64_u32 v[4:5], s[4:5], v5, s18, v[4:5]
	v_mov_b32_e32 v3, v4
	v_sub_co_u32_e32 v4, vcc, v18, v2
	v_mov_b32_e32 v13, 0
	v_subb_co_u32_e32 v5, vcc, v19, v3, vcc
	v_cmp_gt_i64_e32 vcc, v[4:5], v[12:13]
	s_and_saveexec_b64 s[4:5], vcc
	s_cbranch_execz .LBB86_203
; %bb.202:
	v_add_lshl_u32 v2, v12, v2, 3
	ds_read_b64 v[2:3], v2
	s_waitcnt lgkmcnt(0)
	v_pk_add_f32 v[10:11], v[10:11], v[2:3]
.LBB86_203:
	s_or_b64 exec, exec, s[4:5]
.LBB86_204:
	s_or_b64 exec, exec, s[0:1]
	v_cmp_gt_i64_e32 vcc, s[28:29], v[0:1]
	s_barrier
	ds_write_b64 v28, v[10:11]
	s_waitcnt lgkmcnt(0)
	s_barrier
	s_and_b64 exec, exec, vcc
	s_cbranch_execz .LBB86_216
; %bb.205:
	v_mul_lo_u32 v1, s18, v0
	s_mov_b32 s0, 0
	s_cmp_lt_u32 s18, 8
	s_cbranch_scc1 .LBB86_208
; %bb.206:
	v_mov_b32_e32 v2, 0
	s_and_b32 s0, s18, 0x7ffffff8
	v_lshlrev_b32_e32 v4, 3, v1
	s_mov_b32 s1, 0
	v_mov_b32_e32 v3, v2
.LBB86_207:                             ; =>This Inner Loop Header: Depth=1
	ds_read2_b64 v[8:11], v4 offset1:1
	ds_read2_b64 v[12:15], v4 offset0:2 offset1:3
	ds_read2_b64 v[16:19], v4 offset0:4 offset1:5
	;; [unrolled: 1-line block ×3, first 2 shown]
	s_add_i32 s1, s1, 8
	s_waitcnt lgkmcnt(3)
	v_pk_add_f32 v[2:3], v[2:3], v[8:9]
	v_pk_add_f32 v[2:3], v[2:3], v[10:11]
	s_waitcnt lgkmcnt(2)
	v_pk_add_f32 v[2:3], v[2:3], v[12:13]
	v_pk_add_f32 v[2:3], v[2:3], v[14:15]
	;; [unrolled: 3-line block ×3, first 2 shown]
	s_waitcnt lgkmcnt(0)
	v_pk_add_f32 v[2:3], v[2:3], v[20:21]
	v_add_u32_e32 v4, 64, v4
	s_cmp_eq_u32 s0, s1
	v_pk_add_f32 v[2:3], v[2:3], v[22:23]
	s_cbranch_scc0 .LBB86_207
	s_branch .LBB86_209
.LBB86_208:
	s_mov_b32 s1, s0
	v_pk_mov_b32 v[2:3], s[0:1], s[0:1] op_sel:[0,1]
.LBB86_209:
	s_bfe_u32 s1, s3, 0x30001
	s_cmp_eq_u32 s1, 0
	s_cbranch_scc1 .LBB86_212
; %bb.210:
	v_add_lshl_u32 v1, s0, v1, 3
.LBB86_211:                             ; =>This Inner Loop Header: Depth=1
	ds_read_b64 v[4:5], v1
	s_add_i32 s1, s1, -1
	v_add_u32_e32 v1, 8, v1
	s_cmp_lg_u32 s1, 0
	s_waitcnt lgkmcnt(0)
	v_pk_add_f32 v[2:3], v[2:3], v[4:5]
	s_cbranch_scc1 .LBB86_211
.LBB86_212:
	v_lshlrev_b64 v[4:5], 3, v[6:7]
	v_mov_b32_e32 v1, s15
	v_add_co_u32_e32 v4, vcc, s14, v4
	v_addc_co_u32_e32 v5, vcc, v1, v5, vcc
	global_load_dword v7, v[4:5], off
	s_lshl_b32 s0, s2, 3
	s_addk_i32 s0, 0x2000
	v_lshl_add_u32 v0, v0, 3, s0
	ds_read2_b32 v[0:1], v0 offset1:1
	s_mov_b64 s[0:1], 0
	s_waitcnt lgkmcnt(0)
	v_add_f32_e32 v0, v2, v0
.LBB86_213:                             ; =>This Inner Loop Header: Depth=1
	s_waitcnt vmcnt(0)
	v_add_f32_e32 v6, v7, v0
	global_atomic_cmpswap v2, v[4:5], v[6:7], off glc
	s_waitcnt vmcnt(0)
	v_cmp_eq_u32_e32 vcc, v2, v7
	s_or_b64 s[0:1], vcc, s[0:1]
	v_mov_b32_e32 v7, v2
	s_andn2_b64 exec, exec, s[0:1]
	s_cbranch_execnz .LBB86_213
; %bb.214:
	s_or_b64 exec, exec, s[0:1]
	global_load_dword v7, v[4:5], off offset:4
	v_add_f32_e32 v0, v3, v1
	s_mov_b64 s[0:1], 0
.LBB86_215:                             ; =>This Inner Loop Header: Depth=1
	s_waitcnt vmcnt(0)
	v_add_f32_e32 v6, v7, v0
	global_atomic_cmpswap v1, v[4:5], v[6:7], off offset:4 glc
	s_waitcnt vmcnt(0)
	v_cmp_eq_u32_e32 vcc, v1, v7
	s_or_b64 s[0:1], vcc, s[0:1]
	v_mov_b32_e32 v7, v1
	s_andn2_b64 exec, exec, s[0:1]
	s_cbranch_execnz .LBB86_215
.LBB86_216:
	s_endpgm
	.section	.rodata,"a",@progbits
	.p2align	6, 0x0
	.amdhsa_kernel _ZN9rocsparseL27csrmvn_symm_adaptive_kernelIlif21rocsparse_complex_numIfES2_S2_EEvbT_S3_PKS3_NS_24const_host_device_scalarIT4_EES5_PKT0_PKT1_PKT2_S8_PT3_21rocsparse_index_base_b
		.amdhsa_group_segment_fixed_size 8192
		.amdhsa_private_segment_fixed_size 0
		.amdhsa_kernarg_size 352
		.amdhsa_user_sgpr_count 6
		.amdhsa_user_sgpr_private_segment_buffer 1
		.amdhsa_user_sgpr_dispatch_ptr 0
		.amdhsa_user_sgpr_queue_ptr 0
		.amdhsa_user_sgpr_kernarg_segment_ptr 1
		.amdhsa_user_sgpr_dispatch_id 0
		.amdhsa_user_sgpr_flat_scratch_init 0
		.amdhsa_user_sgpr_kernarg_preload_length 0
		.amdhsa_user_sgpr_kernarg_preload_offset 0
		.amdhsa_user_sgpr_private_segment_size 0
		.amdhsa_uses_dynamic_stack 0
		.amdhsa_system_sgpr_private_segment_wavefront_offset 0
		.amdhsa_system_sgpr_workgroup_id_x 1
		.amdhsa_system_sgpr_workgroup_id_y 0
		.amdhsa_system_sgpr_workgroup_id_z 0
		.amdhsa_system_sgpr_workgroup_info 0
		.amdhsa_system_vgpr_workitem_id 0
		.amdhsa_next_free_vgpr 38
		.amdhsa_next_free_sgpr 52
		.amdhsa_accum_offset 40
		.amdhsa_reserve_vcc 1
		.amdhsa_reserve_flat_scratch 0
		.amdhsa_float_round_mode_32 0
		.amdhsa_float_round_mode_16_64 0
		.amdhsa_float_denorm_mode_32 3
		.amdhsa_float_denorm_mode_16_64 3
		.amdhsa_dx10_clamp 1
		.amdhsa_ieee_mode 1
		.amdhsa_fp16_overflow 0
		.amdhsa_tg_split 0
		.amdhsa_exception_fp_ieee_invalid_op 0
		.amdhsa_exception_fp_denorm_src 0
		.amdhsa_exception_fp_ieee_div_zero 0
		.amdhsa_exception_fp_ieee_overflow 0
		.amdhsa_exception_fp_ieee_underflow 0
		.amdhsa_exception_fp_ieee_inexact 0
		.amdhsa_exception_int_div_zero 0
	.end_amdhsa_kernel
	.section	.text._ZN9rocsparseL27csrmvn_symm_adaptive_kernelIlif21rocsparse_complex_numIfES2_S2_EEvbT_S3_PKS3_NS_24const_host_device_scalarIT4_EES5_PKT0_PKT1_PKT2_S8_PT3_21rocsparse_index_base_b,"axG",@progbits,_ZN9rocsparseL27csrmvn_symm_adaptive_kernelIlif21rocsparse_complex_numIfES2_S2_EEvbT_S3_PKS3_NS_24const_host_device_scalarIT4_EES5_PKT0_PKT1_PKT2_S8_PT3_21rocsparse_index_base_b,comdat
.Lfunc_end86:
	.size	_ZN9rocsparseL27csrmvn_symm_adaptive_kernelIlif21rocsparse_complex_numIfES2_S2_EEvbT_S3_PKS3_NS_24const_host_device_scalarIT4_EES5_PKT0_PKT1_PKT2_S8_PT3_21rocsparse_index_base_b, .Lfunc_end86-_ZN9rocsparseL27csrmvn_symm_adaptive_kernelIlif21rocsparse_complex_numIfES2_S2_EEvbT_S3_PKS3_NS_24const_host_device_scalarIT4_EES5_PKT0_PKT1_PKT2_S8_PT3_21rocsparse_index_base_b
                                        ; -- End function
	.section	.AMDGPU.csdata,"",@progbits
; Kernel info:
; codeLenInByte = 10284
; NumSgprs: 56
; NumVgprs: 38
; NumAgprs: 0
; TotalNumVgprs: 38
; ScratchSize: 0
; MemoryBound: 0
; FloatMode: 240
; IeeeMode: 1
; LDSByteSize: 8192 bytes/workgroup (compile time only)
; SGPRBlocks: 6
; VGPRBlocks: 4
; NumSGPRsForWavesPerEU: 56
; NumVGPRsForWavesPerEU: 38
; AccumOffset: 40
; Occupancy: 8
; WaveLimiterHint : 1
; COMPUTE_PGM_RSRC2:SCRATCH_EN: 0
; COMPUTE_PGM_RSRC2:USER_SGPR: 6
; COMPUTE_PGM_RSRC2:TRAP_HANDLER: 0
; COMPUTE_PGM_RSRC2:TGID_X_EN: 1
; COMPUTE_PGM_RSRC2:TGID_Y_EN: 0
; COMPUTE_PGM_RSRC2:TGID_Z_EN: 0
; COMPUTE_PGM_RSRC2:TIDIG_COMP_CNT: 0
; COMPUTE_PGM_RSRC3_GFX90A:ACCUM_OFFSET: 9
; COMPUTE_PGM_RSRC3_GFX90A:TG_SPLIT: 0
	.section	.text._ZL33csrmvn_symm_large_adaptive_kernelIlif21rocsparse_complex_numIfES1_S1_EvbT_PKS2_N9rocsparse24const_host_device_scalarIT4_EES4_PKT0_PKT1_PKT2_S8_PT3_21rocsparse_index_base_b,"axG",@progbits,_ZL33csrmvn_symm_large_adaptive_kernelIlif21rocsparse_complex_numIfES1_S1_EvbT_PKS2_N9rocsparse24const_host_device_scalarIT4_EES4_PKT0_PKT1_PKT2_S8_PT3_21rocsparse_index_base_b,comdat
	.globl	_ZL33csrmvn_symm_large_adaptive_kernelIlif21rocsparse_complex_numIfES1_S1_EvbT_PKS2_N9rocsparse24const_host_device_scalarIT4_EES4_PKT0_PKT1_PKT2_S8_PT3_21rocsparse_index_base_b ; -- Begin function _ZL33csrmvn_symm_large_adaptive_kernelIlif21rocsparse_complex_numIfES1_S1_EvbT_PKS2_N9rocsparse24const_host_device_scalarIT4_EES4_PKT0_PKT1_PKT2_S8_PT3_21rocsparse_index_base_b
	.p2align	8
	.type	_ZL33csrmvn_symm_large_adaptive_kernelIlif21rocsparse_complex_numIfES1_S1_EvbT_PKS2_N9rocsparse24const_host_device_scalarIT4_EES4_PKT0_PKT1_PKT2_S8_PT3_21rocsparse_index_base_b,@function
_ZL33csrmvn_symm_large_adaptive_kernelIlif21rocsparse_complex_numIfES1_S1_EvbT_PKS2_N9rocsparse24const_host_device_scalarIT4_EES4_PKT0_PKT1_PKT2_S8_PT3_21rocsparse_index_base_b: ; @_ZL33csrmvn_symm_large_adaptive_kernelIlif21rocsparse_complex_numIfES1_S1_EvbT_PKS2_N9rocsparse24const_host_device_scalarIT4_EES4_PKT0_PKT1_PKT2_S8_PT3_21rocsparse_index_base_b
; %bb.0:
	s_load_dwordx2 s[24:25], s[4:5], 0x50
	s_load_dwordx2 s[8:9], s[4:5], 0x18
	s_load_dwordx2 s[2:3], s[4:5], 0x40
	s_waitcnt lgkmcnt(0)
	s_bitcmp1_b32 s25, 0
	s_cselect_b64 s[0:1], -1, 0
	s_xor_b64 s[10:11], s[0:1], -1
	s_and_b64 vcc, exec, s[0:1]
	v_mov_b32_e32 v14, s8
	s_cbranch_vccnz .LBB87_2
; %bb.1:
	v_pk_mov_b32 v[2:3], s[8:9], s[8:9] op_sel:[0,1]
	flat_load_dword v14, v[2:3]
.LBB87_2:
	v_cndmask_b32_e64 v1, 0, 1, s[10:11]
	v_cmp_ne_u32_e64 s[0:1], 1, v1
	s_andn2_b64 vcc, exec, s[10:11]
	v_mov_b32_e32 v15, s9
	s_cbranch_vccz .LBB87_11
; %bb.3:
	s_and_b64 vcc, exec, s[0:1]
	v_mov_b32_e32 v1, s2
	s_cbranch_vccz .LBB87_12
.LBB87_4:
	s_and_b64 vcc, exec, s[0:1]
	v_mov_b32_e32 v2, s3
	s_cbranch_vccnz .LBB87_6
.LBB87_5:
	v_pk_mov_b32 v[2:3], s[2:3], s[2:3] op_sel:[0,1]
	flat_load_dword v2, v[2:3] offset:4
.LBB87_6:
	s_waitcnt vmcnt(0) lgkmcnt(0)
	v_cmp_eq_f32_e32 vcc, 0, v14
	v_cmp_eq_f32_e64 s[0:1], 0, v15
	s_and_b64 s[8:9], vcc, s[0:1]
	s_mov_b64 s[0:1], -1
	s_and_saveexec_b64 s[2:3], s[8:9]
; %bb.7:
	v_cmp_neq_f32_e32 vcc, 1.0, v1
	v_and_b32_e32 v1, 0x7fffffff, v2
	v_cmp_ne_u32_e64 s[0:1], 0, v1
	s_or_b64 s[0:1], vcc, s[0:1]
	s_orn2_b64 s[0:1], s[0:1], exec
; %bb.8:
	s_or_b64 exec, exec, s[2:3]
	s_and_saveexec_b64 s[2:3], s[0:1]
	s_cbranch_execz .LBB87_55
; %bb.9:
	s_load_dwordx2 s[0:1], s[4:5], 0x10
	s_ashr_i32 s7, s6, 31
	s_mov_b32 s2, 0
	s_lshl_b64 s[6:7], s[6:7], 3
	s_mov_b32 s3, s2
	s_waitcnt lgkmcnt(0)
	s_add_u32 s0, s0, s6
	v_lshlrev_b32_e32 v16, 3, v0
	v_pk_mov_b32 v[2:3], s[2:3], s[2:3] op_sel:[0,1]
	s_addc_u32 s1, s1, s7
	ds_write2st64_b64 v16, v[2:3], v[2:3] offset1:4
	ds_write2st64_b64 v16, v[2:3], v[2:3] offset0:8 offset1:12
	s_waitcnt lgkmcnt(0)
	s_barrier
	s_load_dwordx4 s[20:23], s[0:1], 0x0
	s_load_dwordx8 s[12:19], s[4:5], 0x20
	s_load_dwordx2 s[26:27], s[4:5], 0x48
	v_subrev_co_u32_e64 v17, s[0:1], s24, v0
	s_waitcnt lgkmcnt(0)
	v_pk_mov_b32 v[2:3], s[22:23], s[22:23] op_sel:[0,1]
	v_cmp_lt_i64_e32 vcc, s[20:21], v[2:3]
	s_mov_b32 s25, s2
	v_subb_co_u32_e64 v18, s[0:1], 0, 0, s[0:1]
	s_cbranch_vccnz .LBB87_13
; %bb.10:
	s_lshl_b64 s[0:1], s[20:21], 3
	s_add_u32 s0, s12, s0
	s_addc_u32 s1, s13, s1
	s_load_dwordx2 s[28:29], s[0:1], 0x0
	s_cbranch_execz .LBB87_14
	s_branch .LBB87_43
.LBB87_11:
	v_pk_mov_b32 v[2:3], s[8:9], s[8:9] op_sel:[0,1]
	flat_load_dword v15, v[2:3] offset:4
	s_and_b64 vcc, exec, s[0:1]
	v_mov_b32_e32 v1, s2
	s_cbranch_vccnz .LBB87_4
.LBB87_12:
	v_pk_mov_b32 v[2:3], s[2:3], s[2:3] op_sel:[0,1]
	flat_load_dword v1, v[2:3]
	s_and_b64 vcc, exec, s[0:1]
	v_mov_b32_e32 v2, s3
	s_cbranch_vccz .LBB87_5
	s_branch .LBB87_6
.LBB87_13:
                                        ; implicit-def: $sgpr28_sgpr29
.LBB87_14:
	s_lshl_b64 s[10:11], s[20:21], 3
	s_add_u32 s10, s12, s10
	s_addc_u32 s11, s13, s11
	s_waitcnt lgkmcnt(0)
	s_load_dwordx2 s[28:29], s[10:11], 0x0
	s_movk_i32 s33, 0x100
	s_add_u32 s44, s12, 8
	v_cmp_gt_u32_e64 s[0:1], s33, v0
	v_cmp_gt_u32_e64 s[2:3], 64, v0
	;; [unrolled: 1-line block ×4, first 2 shown]
	v_cmp_eq_u32_e64 s[8:9], 0, v0
	s_addc_u32 s45, s13, 0
	v_mov_b32_e32 v19, s19
	v_mov_b32_e32 v1, 0
	v_bfrev_b32_e32 v2, 1
	v_pk_mov_b32 v[4:5], s[22:23], s[22:23] op_sel:[0,1]
	s_waitcnt lgkmcnt(0)
	s_mov_b64 s[34:35], s[28:29]
	s_mov_b64 s[30:31], s[20:21]
	s_branch .LBB87_16
.LBB87_15:                              ;   in Loop: Header=BB87_16 Depth=1
	s_or_b64 exec, exec, s[10:11]
	s_add_u32 s30, s30, 1
	s_addc_u32 s31, s31, 0
	v_cmp_ge_i64_e32 vcc, s[30:31], v[4:5]
	s_cbranch_vccnz .LBB87_43
.LBB87_16:                              ; =>This Loop Header: Depth=1
                                        ;     Child Loop BB87_18 Depth 2
                                        ;     Child Loop BB87_32 Depth 2
	;; [unrolled: 1-line block ×5, first 2 shown]
	s_lshl_b64 s[36:37], s[30:31], 3
	s_mov_b64 s[10:11], s[34:35]
	s_add_u32 s34, s44, s36
	s_addc_u32 s35, s45, s37
	s_load_dwordx2 s[34:35], s[34:35], 0x0
	v_mov_b32_e32 v0, s11
	v_add_co_u32_e32 v6, vcc, s10, v17
	v_addc_co_u32_e32 v7, vcc, v0, v18, vcc
	s_waitcnt lgkmcnt(0)
	s_sub_u32 s38, s34, s24
	s_subb_u32 s39, s35, 0
	v_cmp_gt_i64_e32 vcc, s[38:39], v[6:7]
	v_mov_b32_e32 v9, v1
	v_mov_b32_e32 v8, v1
	s_and_saveexec_b64 s[40:41], vcc
	s_cbranch_execz .LBB87_20
; %bb.17:                               ;   in Loop: Header=BB87_16 Depth=1
	v_lshlrev_b64 v[8:9], 2, v[6:7]
	v_mov_b32_e32 v0, s15
	v_add_co_u32_e32 v10, vcc, s14, v8
	v_addc_co_u32_e32 v11, vcc, v0, v9, vcc
	v_mov_b32_e32 v0, s17
	v_add_co_u32_e32 v12, vcc, s16, v8
	v_mov_b32_e32 v8, 0
	v_addc_co_u32_e32 v13, vcc, v0, v9, vcc
	s_mov_b64 s[42:43], 0
	v_mov_b32_e32 v9, v8
.LBB87_18:                              ;   Parent Loop BB87_16 Depth=1
                                        ; =>  This Inner Loop Header: Depth=2
	global_load_dword v3, v[10:11], off
	global_load_dword v0, v[12:13], off
	s_waitcnt vmcnt(1)
	v_subrev_u32_e32 v20, s24, v3
	v_ashrrev_i32_e32 v21, 31, v20
	v_lshlrev_b64 v[20:21], 3, v[20:21]
	v_add_co_u32_e32 v20, vcc, s18, v20
	v_addc_co_u32_e32 v21, vcc, v19, v21, vcc
	global_load_dwordx2 v[20:21], v[20:21], off
	v_add_co_u32_e32 v6, vcc, s33, v6
	v_addc_co_u32_e32 v7, vcc, 0, v7, vcc
	v_add_co_u32_e32 v10, vcc, 0x400, v10
	v_addc_co_u32_e32 v11, vcc, 0, v11, vcc
	v_add_co_u32_e32 v12, vcc, 0x400, v12
	v_cmp_le_i64_e64 s[10:11], s[38:39], v[6:7]
	s_waitcnt vmcnt(1)
	v_mov_b32_e32 v3, v0
	v_addc_co_u32_e32 v13, vcc, 0, v13, vcc
	s_or_b64 s[42:43], s[10:11], s[42:43]
	s_waitcnt vmcnt(0)
	v_pk_fma_f32 v[8:9], v[20:21], v[0:1], v[8:9] op_sel_hi:[0,1,1]
	v_pk_fma_f32 v[8:9], v[20:21], v[2:3], v[8:9] op_sel:[1,0,0]
	s_andn2_b64 exec, exec, s[42:43]
	s_cbranch_execnz .LBB87_18
; %bb.19:                               ;   in Loop: Header=BB87_16 Depth=1
	s_or_b64 exec, exec, s[42:43]
.LBB87_20:                              ;   in Loop: Header=BB87_16 Depth=1
	s_or_b64 exec, exec, s[40:41]
	ds_write_b64 v16, v[8:9]
	s_waitcnt lgkmcnt(0)
	s_barrier
	s_and_saveexec_b64 s[10:11], s[0:1]
	s_cbranch_execz .LBB87_22
; %bb.21:                               ;   in Loop: Header=BB87_16 Depth=1
	ds_read2st64_b64 v[6:9], v16 offset1:4
	ds_read2st64_b64 v[10:13], v16 offset0:8 offset1:12
	s_waitcnt lgkmcnt(0)
	v_pk_add_f32 v[8:9], v[10:11], v[8:9]
	v_pk_add_f32 v[8:9], v[8:9], v[12:13]
	v_pk_add_f32 v[6:7], v[8:9], v[6:7]
	ds_write_b64 v16, v[6:7]
.LBB87_22:                              ;   in Loop: Header=BB87_16 Depth=1
	s_or_b64 exec, exec, s[10:11]
	s_waitcnt lgkmcnt(0)
	s_barrier
	s_and_saveexec_b64 s[10:11], s[2:3]
	s_cbranch_execz .LBB87_24
; %bb.23:                               ;   in Loop: Header=BB87_16 Depth=1
	ds_read2st64_b64 v[6:9], v16 offset1:1
	ds_read2st64_b64 v[10:13], v16 offset0:2 offset1:3
	s_waitcnt lgkmcnt(0)
	v_pk_add_f32 v[8:9], v[10:11], v[8:9]
	v_pk_add_f32 v[8:9], v[8:9], v[12:13]
	;; [unrolled: 1-line block ×3, first 2 shown]
	ds_write_b64 v16, v[6:7]
.LBB87_24:                              ;   in Loop: Header=BB87_16 Depth=1
	s_or_b64 exec, exec, s[10:11]
	s_waitcnt lgkmcnt(0)
	s_barrier
	s_and_saveexec_b64 s[10:11], s[4:5]
	s_cbranch_execz .LBB87_26
; %bb.25:                               ;   in Loop: Header=BB87_16 Depth=1
	ds_read2_b64 v[6:9], v16 offset1:16
	ds_read2_b64 v[10:13], v16 offset0:32 offset1:48
	s_waitcnt lgkmcnt(0)
	v_pk_add_f32 v[8:9], v[10:11], v[8:9]
	v_pk_add_f32 v[8:9], v[8:9], v[12:13]
	;; [unrolled: 1-line block ×3, first 2 shown]
	ds_write_b64 v16, v[6:7]
.LBB87_26:                              ;   in Loop: Header=BB87_16 Depth=1
	s_or_b64 exec, exec, s[10:11]
	s_waitcnt lgkmcnt(0)
	s_barrier
	s_and_saveexec_b64 s[10:11], s[6:7]
	s_cbranch_execz .LBB87_28
; %bb.27:                               ;   in Loop: Header=BB87_16 Depth=1
	ds_read2_b64 v[6:9], v16 offset1:4
	ds_read2_b64 v[10:13], v16 offset0:8 offset1:12
	s_waitcnt lgkmcnt(0)
	v_pk_add_f32 v[8:9], v[10:11], v[8:9]
	v_pk_add_f32 v[8:9], v[8:9], v[12:13]
	;; [unrolled: 1-line block ×3, first 2 shown]
	ds_write_b64 v16, v[6:7]
.LBB87_28:                              ;   in Loop: Header=BB87_16 Depth=1
	s_or_b64 exec, exec, s[10:11]
	s_waitcnt lgkmcnt(0)
	s_barrier
	s_and_saveexec_b64 s[10:11], s[8:9]
	s_cbranch_execz .LBB87_30
; %bb.29:                               ;   in Loop: Header=BB87_16 Depth=1
	ds_read_b128 v[6:9], v1 offset:16
	ds_read_b64 v[10:11], v1 offset:8
	ds_read_b64 v[12:13], v16
	s_waitcnt lgkmcnt(1)
	v_pk_add_f32 v[6:7], v[6:7], v[10:11]
	v_pk_add_f32 v[6:7], v[6:7], v[8:9]
	s_waitcnt lgkmcnt(0)
	v_pk_add_f32 v[6:7], v[6:7], v[12:13]
	ds_write_b64 v16, v[6:7]
.LBB87_30:                              ;   in Loop: Header=BB87_16 Depth=1
	s_or_b64 exec, exec, s[10:11]
	s_waitcnt lgkmcnt(0)
	s_barrier
	s_and_saveexec_b64 s[10:11], s[8:9]
	s_cbranch_execz .LBB87_15
; %bb.31:                               ;   in Loop: Header=BB87_16 Depth=1
	ds_read_b64 v[6:7], v1
	s_mov_b64 s[38:39], exec
	v_bfrev_b32_e32 v0, 1
	s_waitcnt lgkmcnt(0)
	v_mul_f32_e64 v3, v7, -v15
	v_fmac_f32_e32 v3, v14, v6
.LBB87_32:                              ;   Parent Loop BB87_16 Depth=1
                                        ; =>  This Inner Loop Header: Depth=2
	s_ff1_i32_b64 s40, s[38:39]
	v_readlane_b32 s42, v3, s40
	s_lshl_b64 s[40:41], 1, s40
	s_andn2_b64 s[38:39], s[38:39], s[40:41]
	s_cmp_lg_u64 s[38:39], 0
	v_add_f32_e32 v0, s42, v0
	s_cbranch_scc1 .LBB87_32
; %bb.33:                               ;   in Loop: Header=BB87_16 Depth=1
	v_mbcnt_lo_u32_b32 v3, exec_lo, 0
	s_add_u32 s36, s26, s36
	v_mbcnt_hi_u32_b32 v3, exec_hi, v3
	s_addc_u32 s37, s27, s37
	v_cmp_eq_u32_e32 vcc, 0, v3
	s_and_saveexec_b64 s[38:39], vcc
	s_xor_b64 s[38:39], exec, s[38:39]
	s_cbranch_execz .LBB87_37
; %bb.34:                               ;   in Loop: Header=BB87_16 Depth=1
	global_load_dword v9, v1, s[36:37]
	s_mov_b64 s[40:41], 0
.LBB87_35:                              ;   Parent Loop BB87_16 Depth=1
                                        ; =>  This Inner Loop Header: Depth=2
	s_waitcnt vmcnt(0)
	v_add_f32_e32 v8, v9, v0
	global_atomic_cmpswap v3, v1, v[8:9], s[36:37] glc
	s_waitcnt vmcnt(0)
	v_cmp_eq_u32_e32 vcc, v3, v9
	s_or_b64 s[40:41], vcc, s[40:41]
	v_mov_b32_e32 v9, v3
	s_andn2_b64 exec, exec, s[40:41]
	s_cbranch_execnz .LBB87_35
; %bb.36:                               ;   in Loop: Header=BB87_16 Depth=1
	s_or_b64 exec, exec, s[40:41]
.LBB87_37:                              ;   in Loop: Header=BB87_16 Depth=1
	s_or_b64 exec, exec, s[38:39]
	v_mul_f32_e32 v3, v7, v14
	s_mov_b64 s[38:39], exec
	v_fmac_f32_e32 v3, v15, v6
	v_bfrev_b32_e32 v0, 1
.LBB87_38:                              ;   Parent Loop BB87_16 Depth=1
                                        ; =>  This Inner Loop Header: Depth=2
	s_ff1_i32_b64 s40, s[38:39]
	v_readlane_b32 s42, v3, s40
	s_lshl_b64 s[40:41], 1, s40
	s_andn2_b64 s[38:39], s[38:39], s[40:41]
	s_cmp_lg_u64 s[38:39], 0
	v_add_f32_e32 v0, s42, v0
	s_cbranch_scc1 .LBB87_38
; %bb.39:                               ;   in Loop: Header=BB87_16 Depth=1
	v_mbcnt_lo_u32_b32 v3, exec_lo, 0
	v_mbcnt_hi_u32_b32 v3, exec_hi, v3
	v_cmp_eq_u32_e32 vcc, 0, v3
	s_and_saveexec_b64 s[38:39], vcc
	s_xor_b64 s[38:39], exec, s[38:39]
	s_cbranch_execz .LBB87_15
; %bb.40:                               ;   in Loop: Header=BB87_16 Depth=1
	global_load_dword v7, v1, s[36:37] offset:4
	s_mov_b64 s[38:39], 0
.LBB87_41:                              ;   Parent Loop BB87_16 Depth=1
                                        ; =>  This Inner Loop Header: Depth=2
	s_waitcnt vmcnt(0)
	v_add_f32_e32 v6, v7, v0
	global_atomic_cmpswap v3, v1, v[6:7], s[36:37] offset:4 glc
	s_waitcnt vmcnt(0)
	v_cmp_eq_u32_e32 vcc, v3, v7
	s_or_b64 s[38:39], vcc, s[38:39]
	v_mov_b32_e32 v7, v3
	s_andn2_b64 exec, exec, s[38:39]
	s_cbranch_execnz .LBB87_41
; %bb.42:                               ;   in Loop: Header=BB87_16 Depth=1
	s_or_b64 exec, exec, s[38:39]
	s_branch .LBB87_15
.LBB87_43:
	s_lshl_b64 s[0:1], s[22:23], 3
	s_add_u32 s0, s12, s0
	s_addc_u32 s1, s13, s1
	s_load_dwordx2 s[0:1], s[0:1], 0x0
	s_waitcnt lgkmcnt(0)
	v_mov_b32_e32 v1, s29
	v_add_co_u32_e32 v0, vcc, s28, v17
	v_addc_co_u32_e32 v1, vcc, v1, v18, vcc
	s_sub_u32 s4, s0, s24
	s_subb_u32 s5, s1, 0
	v_cmp_gt_i64_e32 vcc, s[4:5], v[0:1]
	s_and_b64 exec, exec, vcc
	s_cbranch_execz .LBB87_55
; %bb.44:
	s_add_u32 s6, s22, -1
	s_addc_u32 s7, s23, -1
	s_add_u32 s0, s22, -2
	s_addc_u32 s1, s23, -1
	v_pk_mov_b32 v[2:3], s[20:21], s[20:21] op_sel:[0,1]
	s_cmp_lg_u64 s[0:1], s[20:21]
	v_cmp_gt_i64_e32 vcc, s[6:7], v[2:3]
	s_cselect_b64 s[0:1], -1, 0
	s_and_b64 s[0:1], vcc, s[0:1]
	v_cndmask_b32_e64 v2, 0, 1, s[0:1]
	v_mul_f32_e32 v10, 0x80000000, v15
	v_mul_f32_e32 v11, 0, v14
	s_mov_b64 s[8:9], 0
	v_cmp_ne_u32_e64 s[0:1], 1, v2
	v_mov_b32_e32 v12, s13
	v_mov_b32_e32 v13, s25
	;; [unrolled: 1-line block ×3, first 2 shown]
	s_branch .LBB87_46
.LBB87_45:                              ;   in Loop: Header=BB87_46 Depth=1
	s_or_b64 exec, exec, s[2:3]
	v_add_co_u32_e32 v0, vcc, 0x100, v0
	v_addc_co_u32_e32 v1, vcc, 0, v1, vcc
	v_cmp_le_i64_e32 vcc, s[4:5], v[0:1]
	s_or_b64 s[8:9], vcc, s[8:9]
	s_andn2_b64 exec, exec, s[8:9]
	s_cbranch_execz .LBB87_55
.LBB87_46:                              ; =>This Loop Header: Depth=1
                                        ;     Child Loop BB87_48 Depth 2
                                        ;     Child Loop BB87_52 Depth 2
	;; [unrolled: 1-line block ×3, first 2 shown]
	s_and_b64 vcc, exec, s[0:1]
	v_pk_mov_b32 v[2:3], s[20:21], s[20:21] op_sel:[0,1]
	v_pk_mov_b32 v[4:5], s[6:7], s[6:7] op_sel:[0,1]
	s_cbranch_vccnz .LBB87_50
; %bb.47:                               ;   in Loop: Header=BB87_46 Depth=1
	s_mov_b64 s[10:11], 0
	v_pk_mov_b32 v[2:3], s[20:21], s[20:21] op_sel:[0,1]
	v_pk_mov_b32 v[4:5], s[6:7], s[6:7] op_sel:[0,1]
.LBB87_48:                              ;   Parent Loop BB87_46 Depth=1
                                        ; =>  This Inner Loop Header: Depth=2
	v_add_co_u32_e32 v6, vcc, v4, v2
	v_addc_co_u32_e32 v7, vcc, v5, v3, vcc
	v_lshrrev_b32_e32 v8, 31, v7
	v_add_co_u32_e32 v6, vcc, v6, v8
	v_addc_co_u32_e32 v7, vcc, 0, v7, vcc
	v_ashrrev_i64 v[6:7], 1, v[6:7]
	v_lshlrev_b64 v[8:9], 3, v[6:7]
	v_mov_b32_e32 v17, s13
	v_add_co_u32_e32 v8, vcc, s12, v8
	v_addc_co_u32_e32 v9, vcc, v17, v9, vcc
	global_load_dwordx2 v[8:9], v[8:9], off
	v_mov_b32_e32 v17, s25
	s_waitcnt vmcnt(0)
	v_subrev_co_u32_e32 v8, vcc, s24, v8
	v_subb_co_u32_e32 v9, vcc, v9, v17, vcc
	v_cmp_gt_i64_e32 vcc, v[8:9], v[0:1]
	v_cndmask_b32_e32 v4, v4, v6, vcc
	v_cndmask_b32_e32 v5, v5, v7, vcc
	;; [unrolled: 1-line block ×3, first 2 shown]
	v_add_co_u32_e64 v6, s[2:3], -1, v4
	v_cndmask_b32_e32 v3, v7, v3, vcc
	v_addc_co_u32_e64 v7, s[2:3], -1, v5, s[2:3]
	v_cmp_ge_i64_e32 vcc, v[2:3], v[4:5]
	v_cmp_eq_u64_e64 s[2:3], v[2:3], v[6:7]
	s_or_b64 s[2:3], vcc, s[2:3]
	s_and_b64 s[2:3], exec, s[2:3]
	s_or_b64 s[10:11], s[2:3], s[10:11]
	s_andn2_b64 exec, exec, s[10:11]
	s_cbranch_execnz .LBB87_48
; %bb.49:                               ;   in Loop: Header=BB87_46 Depth=1
	s_or_b64 exec, exec, s[10:11]
.LBB87_50:                              ;   in Loop: Header=BB87_46 Depth=1
	v_lshlrev_b64 v[6:7], 3, v[4:5]
	v_add_co_u32_e32 v6, vcc, s12, v6
	v_addc_co_u32_e32 v7, vcc, v12, v7, vcc
	global_load_dwordx2 v[8:9], v[6:7], off
	v_lshlrev_b64 v[6:7], 2, v[0:1]
	v_add_co_u32_e32 v18, vcc, s14, v6
	v_addc_co_u32_e32 v19, vcc, v16, v7, vcc
	global_load_dword v17, v[18:19], off
	s_waitcnt vmcnt(1)
	v_subrev_co_u32_e32 v18, vcc, s24, v8
	v_subb_co_u32_e32 v19, vcc, v9, v13, vcc
	v_cmp_gt_i64_e32 vcc, v[18:19], v[0:1]
	v_cndmask_b32_e32 v3, v5, v3, vcc
	s_waitcnt vmcnt(0)
	v_subrev_u32_e32 v8, s24, v17
	v_cndmask_b32_e32 v2, v4, v2, vcc
	v_ashrrev_i32_e32 v9, 31, v8
	v_cmp_ne_u64_e32 vcc, v[2:3], v[8:9]
	s_and_saveexec_b64 s[2:3], vcc
	s_cbranch_execz .LBB87_45
; %bb.51:                               ;   in Loop: Header=BB87_46 Depth=1
	v_mov_b32_e32 v5, s17
	v_add_co_u32_e32 v4, vcc, s16, v6
	v_addc_co_u32_e32 v5, vcc, v5, v7, vcc
	v_lshlrev_b64 v[2:3], 3, v[2:3]
	global_load_dword v6, v[4:5], off
	v_mov_b32_e32 v4, s19
	v_add_co_u32_e32 v2, vcc, s18, v2
	v_lshlrev_b64 v[8:9], 3, v[8:9]
	v_addc_co_u32_e32 v3, vcc, v4, v3, vcc
	v_mov_b32_e32 v17, s27
	global_load_dwordx2 v[4:5], v[2:3], off
	v_add_co_u32_e32 v2, vcc, s26, v8
	v_addc_co_u32_e32 v3, vcc, v17, v9, vcc
	global_load_dword v7, v[2:3], off
	s_mov_b64 s[10:11], 0
	s_waitcnt vmcnt(2)
	v_fma_f32 v9, v15, v6, v11
	v_fma_f32 v8, v14, v6, v10
	s_waitcnt vmcnt(1)
	v_mul_f32_e64 v17, v5, -v9
	v_fmac_f32_e32 v17, v8, v4
.LBB87_52:                              ;   Parent Loop BB87_46 Depth=1
                                        ; =>  This Inner Loop Header: Depth=2
	s_waitcnt vmcnt(0)
	v_add_f32_e32 v6, v7, v17
	global_atomic_cmpswap v6, v[2:3], v[6:7], off glc
	s_waitcnt vmcnt(0)
	v_cmp_eq_u32_e32 vcc, v6, v7
	s_or_b64 s[10:11], vcc, s[10:11]
	v_mov_b32_e32 v7, v6
	s_andn2_b64 exec, exec, s[10:11]
	s_cbranch_execnz .LBB87_52
; %bb.53:                               ;   in Loop: Header=BB87_46 Depth=1
	s_or_b64 exec, exec, s[10:11]
	global_load_dword v7, v[2:3], off offset:4
	v_mul_f32_e32 v5, v8, v5
	v_fmac_f32_e32 v5, v9, v4
	s_mov_b64 s[10:11], 0
.LBB87_54:                              ;   Parent Loop BB87_46 Depth=1
                                        ; =>  This Inner Loop Header: Depth=2
	s_waitcnt vmcnt(0)
	v_add_f32_e32 v6, v7, v5
	global_atomic_cmpswap v4, v[2:3], v[6:7], off offset:4 glc
	s_waitcnt vmcnt(0)
	v_cmp_eq_u32_e32 vcc, v4, v7
	s_or_b64 s[10:11], vcc, s[10:11]
	v_mov_b32_e32 v7, v4
	s_andn2_b64 exec, exec, s[10:11]
	s_cbranch_execnz .LBB87_54
	s_branch .LBB87_45
.LBB87_55:
	s_endpgm
	.section	.rodata,"a",@progbits
	.p2align	6, 0x0
	.amdhsa_kernel _ZL33csrmvn_symm_large_adaptive_kernelIlif21rocsparse_complex_numIfES1_S1_EvbT_PKS2_N9rocsparse24const_host_device_scalarIT4_EES4_PKT0_PKT1_PKT2_S8_PT3_21rocsparse_index_base_b
		.amdhsa_group_segment_fixed_size 8192
		.amdhsa_private_segment_fixed_size 0
		.amdhsa_kernarg_size 88
		.amdhsa_user_sgpr_count 6
		.amdhsa_user_sgpr_private_segment_buffer 1
		.amdhsa_user_sgpr_dispatch_ptr 0
		.amdhsa_user_sgpr_queue_ptr 0
		.amdhsa_user_sgpr_kernarg_segment_ptr 1
		.amdhsa_user_sgpr_dispatch_id 0
		.amdhsa_user_sgpr_flat_scratch_init 0
		.amdhsa_user_sgpr_kernarg_preload_length 0
		.amdhsa_user_sgpr_kernarg_preload_offset 0
		.amdhsa_user_sgpr_private_segment_size 0
		.amdhsa_uses_dynamic_stack 0
		.amdhsa_system_sgpr_private_segment_wavefront_offset 0
		.amdhsa_system_sgpr_workgroup_id_x 1
		.amdhsa_system_sgpr_workgroup_id_y 0
		.amdhsa_system_sgpr_workgroup_id_z 0
		.amdhsa_system_sgpr_workgroup_info 0
		.amdhsa_system_vgpr_workitem_id 0
		.amdhsa_next_free_vgpr 22
		.amdhsa_next_free_sgpr 46
		.amdhsa_accum_offset 24
		.amdhsa_reserve_vcc 1
		.amdhsa_reserve_flat_scratch 0
		.amdhsa_float_round_mode_32 0
		.amdhsa_float_round_mode_16_64 0
		.amdhsa_float_denorm_mode_32 3
		.amdhsa_float_denorm_mode_16_64 3
		.amdhsa_dx10_clamp 1
		.amdhsa_ieee_mode 1
		.amdhsa_fp16_overflow 0
		.amdhsa_tg_split 0
		.amdhsa_exception_fp_ieee_invalid_op 0
		.amdhsa_exception_fp_denorm_src 0
		.amdhsa_exception_fp_ieee_div_zero 0
		.amdhsa_exception_fp_ieee_overflow 0
		.amdhsa_exception_fp_ieee_underflow 0
		.amdhsa_exception_fp_ieee_inexact 0
		.amdhsa_exception_int_div_zero 0
	.end_amdhsa_kernel
	.section	.text._ZL33csrmvn_symm_large_adaptive_kernelIlif21rocsparse_complex_numIfES1_S1_EvbT_PKS2_N9rocsparse24const_host_device_scalarIT4_EES4_PKT0_PKT1_PKT2_S8_PT3_21rocsparse_index_base_b,"axG",@progbits,_ZL33csrmvn_symm_large_adaptive_kernelIlif21rocsparse_complex_numIfES1_S1_EvbT_PKS2_N9rocsparse24const_host_device_scalarIT4_EES4_PKT0_PKT1_PKT2_S8_PT3_21rocsparse_index_base_b,comdat
.Lfunc_end87:
	.size	_ZL33csrmvn_symm_large_adaptive_kernelIlif21rocsparse_complex_numIfES1_S1_EvbT_PKS2_N9rocsparse24const_host_device_scalarIT4_EES4_PKT0_PKT1_PKT2_S8_PT3_21rocsparse_index_base_b, .Lfunc_end87-_ZL33csrmvn_symm_large_adaptive_kernelIlif21rocsparse_complex_numIfES1_S1_EvbT_PKS2_N9rocsparse24const_host_device_scalarIT4_EES4_PKT0_PKT1_PKT2_S8_PT3_21rocsparse_index_base_b
                                        ; -- End function
	.section	.AMDGPU.csdata,"",@progbits
; Kernel info:
; codeLenInByte = 2200
; NumSgprs: 50
; NumVgprs: 22
; NumAgprs: 0
; TotalNumVgprs: 22
; ScratchSize: 0
; MemoryBound: 0
; FloatMode: 240
; IeeeMode: 1
; LDSByteSize: 8192 bytes/workgroup (compile time only)
; SGPRBlocks: 6
; VGPRBlocks: 2
; NumSGPRsForWavesPerEU: 50
; NumVGPRsForWavesPerEU: 22
; AccumOffset: 24
; Occupancy: 8
; WaveLimiterHint : 1
; COMPUTE_PGM_RSRC2:SCRATCH_EN: 0
; COMPUTE_PGM_RSRC2:USER_SGPR: 6
; COMPUTE_PGM_RSRC2:TRAP_HANDLER: 0
; COMPUTE_PGM_RSRC2:TGID_X_EN: 1
; COMPUTE_PGM_RSRC2:TGID_Y_EN: 0
; COMPUTE_PGM_RSRC2:TGID_Z_EN: 0
; COMPUTE_PGM_RSRC2:TIDIG_COMP_CNT: 0
; COMPUTE_PGM_RSRC3_GFX90A:ACCUM_OFFSET: 5
; COMPUTE_PGM_RSRC3_GFX90A:TG_SPLIT: 0
	.section	.text._ZN9rocsparseL22csrmvn_adaptive_kernelIllf21rocsparse_complex_numIfES2_S2_EEvbT_PKS3_PjPKT0_NS_24const_host_device_scalarIT4_EES5_S9_PKT1_PKT2_SC_PT3_21rocsparse_index_base_b,"axG",@progbits,_ZN9rocsparseL22csrmvn_adaptive_kernelIllf21rocsparse_complex_numIfES2_S2_EEvbT_PKS3_PjPKT0_NS_24const_host_device_scalarIT4_EES5_S9_PKT1_PKT2_SC_PT3_21rocsparse_index_base_b,comdat
	.globl	_ZN9rocsparseL22csrmvn_adaptive_kernelIllf21rocsparse_complex_numIfES2_S2_EEvbT_PKS3_PjPKT0_NS_24const_host_device_scalarIT4_EES5_S9_PKT1_PKT2_SC_PT3_21rocsparse_index_base_b ; -- Begin function _ZN9rocsparseL22csrmvn_adaptive_kernelIllf21rocsparse_complex_numIfES2_S2_EEvbT_PKS3_PjPKT0_NS_24const_host_device_scalarIT4_EES5_S9_PKT1_PKT2_SC_PT3_21rocsparse_index_base_b
	.p2align	8
	.type	_ZN9rocsparseL22csrmvn_adaptive_kernelIllf21rocsparse_complex_numIfES2_S2_EEvbT_PKS3_PjPKT0_NS_24const_host_device_scalarIT4_EES5_S9_PKT1_PKT2_SC_PT3_21rocsparse_index_base_b,@function
_ZN9rocsparseL22csrmvn_adaptive_kernelIllf21rocsparse_complex_numIfES2_S2_EEvbT_PKS3_PjPKT0_NS_24const_host_device_scalarIT4_EES5_S9_PKT1_PKT2_SC_PT3_21rocsparse_index_base_b: ; @_ZN9rocsparseL22csrmvn_adaptive_kernelIllf21rocsparse_complex_numIfES2_S2_EEvbT_PKS3_PjPKT0_NS_24const_host_device_scalarIT4_EES5_S9_PKT1_PKT2_SC_PT3_21rocsparse_index_base_b
; %bb.0:
	s_load_dwordx2 s[44:45], s[4:5], 0x60
	s_load_dwordx2 s[8:9], s[4:5], 0x28
	;; [unrolled: 1-line block ×3, first 2 shown]
	s_waitcnt lgkmcnt(0)
	s_bitcmp1_b32 s45, 0
	s_cselect_b64 s[0:1], -1, 0
	s_xor_b64 s[10:11], s[0:1], -1
	s_and_b64 vcc, exec, s[0:1]
	v_mov_b32_e32 v2, s8
	s_cbranch_vccnz .LBB88_2
; %bb.1:
	v_pk_mov_b32 v[2:3], s[8:9], s[8:9] op_sel:[0,1]
	flat_load_dword v2, v[2:3]
.LBB88_2:
	v_cndmask_b32_e64 v1, 0, 1, s[10:11]
	v_cmp_ne_u32_e64 s[0:1], 1, v1
	s_andn2_b64 vcc, exec, s[10:11]
	v_mov_b32_e32 v3, s9
	s_cbranch_vccz .LBB88_38
; %bb.3:
	s_and_b64 vcc, exec, s[0:1]
	v_mov_b32_e32 v6, s2
	s_cbranch_vccz .LBB88_39
.LBB88_4:
	s_and_b64 vcc, exec, s[0:1]
	v_mov_b32_e32 v7, s3
	s_cbranch_vccnz .LBB88_6
.LBB88_5:
	v_pk_mov_b32 v[4:5], s[2:3], s[2:3] op_sel:[0,1]
	flat_load_dword v7, v[4:5] offset:4
.LBB88_6:
	s_waitcnt vmcnt(0) lgkmcnt(0)
	v_or_b32_e32 v1, v2, v3
	v_and_b32_e32 v1, 0x7fffffff, v1
	v_cmp_eq_u32_e32 vcc, 0, v1
	s_mov_b64 s[0:1], -1
	s_and_saveexec_b64 s[2:3], vcc
; %bb.7:
	v_and_b32_e32 v1, 0x7fffffff, v7
	v_cmp_neq_f32_e32 vcc, 1.0, v6
	v_cmp_ne_u32_e64 s[0:1], 0, v1
	s_or_b64 s[0:1], vcc, s[0:1]
	s_orn2_b64 s[0:1], s[0:1], exec
; %bb.8:
	s_or_b64 exec, exec, s[2:3]
	s_and_saveexec_b64 s[2:3], s[0:1]
	s_cbranch_execz .LBB88_125
; %bb.9:
	s_load_dwordx2 s[0:1], s[4:5], 0x10
	s_load_dwordx2 s[2:3], s[4:5], 0x20
	s_ashr_i32 s7, s6, 31
	s_lshl_b64 s[8:9], s[6:7], 3
	s_waitcnt lgkmcnt(0)
	s_add_u32 s0, s0, s8
	s_addc_u32 s1, s1, s9
	s_load_dwordx4 s[36:39], s[0:1], 0x0
	s_load_dwordx2 s[22:23], s[4:5], 0x58
	s_load_dwordx8 s[24:31], s[4:5], 0x30
	s_waitcnt lgkmcnt(0)
	s_sub_u32 s0, s38, s36
	s_subb_u32 s1, s39, s37
	s_add_u32 s2, s2, s8
	s_addc_u32 s3, s3, s9
	s_lshl_b64 s[46:47], s[36:37], 3
	s_add_u32 s42, s24, s46
	s_addc_u32 s43, s25, s47
	s_load_dwordx2 s[34:35], s[2:3], 0x0
	s_load_dwordx2 s[40:41], s[42:43], 0x0
	v_cmp_lt_i64_e64 s[8:9], s[0:1], 2
	s_mov_b64 s[2:3], -1
	s_and_b64 vcc, exec, s[8:9]
	s_cbranch_vccz .LBB88_81
; %bb.10:
	s_cmp_lg_u64 s[0:1], 1
	s_cselect_b64 s[0:1], -1, 0
	s_waitcnt lgkmcnt(0)
	s_cmp_lg_u64 s[34:35], 0
	s_cselect_b64 s[2:3], -1, 0
	s_or_b64 s[2:3], s[0:1], s[2:3]
	s_mov_b64 s[0:1], -1
	s_and_b64 vcc, exec, s[2:3]
	s_cbranch_vccnz .LBB88_41
; %bb.11:
	v_pk_mov_b32 v[4:5], s[36:37], s[36:37] op_sel:[0,1]
	v_cmp_le_i64_e32 vcc, s[38:39], v[4:5]
	s_cbranch_vccnz .LBB88_40
; %bb.12:
	v_subrev_co_u32_e32 v1, vcc, s44, v0
	s_mov_b32 s50, 0
	v_subb_co_u32_e64 v20, s[0:1], 0, 0, vcc
	s_brev_b32 s1, 1
	s_mov_b32 s0, s50
	v_pk_mul_f32 v[8:9], v[2:3], s[0:1]
	v_mov_b32_e32 v5, v8
	v_and_b32_e32 v8, 0x7fffffff, v6
	v_cmp_ne_u32_e32 vcc, 0, v8
	v_cmp_neq_f32_e64 s[20:21], 0, v7
	s_or_b64 s[48:49], vcc, s[20:21]
	s_movk_i32 s0, 0x80
	s_add_u32 s33, s24, 8
	v_mov_b32_e32 v4, v9
	v_lshlrev_b32_e32 v21, 3, v0
	v_cmp_gt_u32_e64 s[0:1], s0, v0
	v_cmp_gt_u32_e64 s[2:3], 64, v0
	;; [unrolled: 1-line block ×7, first 2 shown]
	v_cmp_eq_u32_e64 s[18:19], 0, v0
	v_xor_b32_e32 v8, 0x80000000, v7
	v_mov_b32_e32 v9, v6
	s_addc_u32 s45, s25, 0
	v_mov_b32_e32 v22, s50
	v_mov_b32_e32 v23, s31
	s_movk_i32 s62, 0x100
	v_mov_b32_e32 v24, 0
	v_pk_mov_b32 v[10:11], s[38:39], s[38:39] op_sel:[0,1]
	s_mov_b64 s[52:53], s[40:41]
	s_mov_b64 s[50:51], s[36:37]
	s_branch .LBB88_15
.LBB88_13:                              ;   in Loop: Header=BB88_15 Depth=1
	s_or_b64 exec, exec, s[56:57]
	s_add_u32 s54, s22, s54
	s_addc_u32 s55, s23, s55
	s_waitcnt lgkmcnt(0)
	global_store_dwordx2 v24, v[12:13], s[54:55]
.LBB88_14:                              ;   in Loop: Header=BB88_15 Depth=1
	s_or_b64 exec, exec, s[20:21]
	s_add_u32 s50, s50, 1
	s_addc_u32 s51, s51, 0
	v_cmp_ge_i64_e32 vcc, s[50:51], v[10:11]
	s_cbranch_vccnz .LBB88_40
.LBB88_15:                              ; =>This Loop Header: Depth=1
                                        ;     Child Loop BB88_17 Depth 2
	s_lshl_b64 s[54:55], s[50:51], 3
	s_mov_b64 s[20:21], s[52:53]
	s_add_u32 s52, s33, s54
	s_addc_u32 s53, s45, s55
	s_load_dwordx2 s[52:53], s[52:53], 0x0
	v_mov_b32_e32 v13, s21
	v_add_co_u32_e32 v12, vcc, s20, v1
	v_addc_co_u32_e32 v13, vcc, v13, v20, vcc
	s_waitcnt lgkmcnt(0)
	s_sub_u32 s56, s52, s44
	s_subb_u32 s57, s53, 0
	v_cmp_gt_i64_e32 vcc, s[56:57], v[12:13]
	v_mov_b32_e32 v15, 0
	v_mov_b32_e32 v14, 0
	s_and_saveexec_b64 s[58:59], vcc
	s_cbranch_execz .LBB88_19
; %bb.16:                               ;   in Loop: Header=BB88_15 Depth=1
	v_lshlrev_b64 v[14:15], 2, v[12:13]
	v_mov_b32_e32 v17, s29
	v_add_co_u32_e32 v16, vcc, s28, v14
	v_addc_co_u32_e32 v17, vcc, v17, v15, vcc
	v_lshlrev_b64 v[14:15], 3, v[12:13]
	v_mov_b32_e32 v19, s27
	v_add_co_u32_e32 v18, vcc, s26, v14
	v_mov_b32_e32 v14, 0
	v_addc_co_u32_e32 v19, vcc, v19, v15, vcc
	s_mov_b64 s[60:61], 0
	v_mov_b32_e32 v15, v14
.LBB88_17:                              ;   Parent Loop BB88_15 Depth=1
                                        ; =>  This Inner Loop Header: Depth=2
	global_load_dwordx2 v[26:27], v[18:19], off
	global_load_dword v28, v[16:17], off
	s_waitcnt vmcnt(1)
	v_subrev_co_u32_e32 v26, vcc, s44, v26
	v_subb_co_u32_e32 v27, vcc, v27, v22, vcc
	v_lshlrev_b64 v[26:27], 3, v[26:27]
	v_add_co_u32_e32 v26, vcc, s30, v26
	v_addc_co_u32_e32 v27, vcc, v23, v27, vcc
	global_load_dwordx2 v[26:27], v[26:27], off
	v_add_co_u32_e32 v12, vcc, s62, v12
	v_addc_co_u32_e32 v13, vcc, 0, v13, vcc
	v_add_co_u32_e32 v16, vcc, 0x400, v16
	v_addc_co_u32_e32 v17, vcc, 0, v17, vcc
	s_waitcnt vmcnt(1)
	v_pk_fma_f32 v[28:29], v[2:3], v[28:29], v[4:5] op_sel_hi:[1,0,1]
	v_add_co_u32_e32 v18, vcc, 0x800, v18
	v_cmp_le_i64_e64 s[20:21], s[56:57], v[12:13]
	v_addc_co_u32_e32 v19, vcc, 0, v19, vcc
	s_or_b64 s[60:61], s[20:21], s[60:61]
	s_waitcnt vmcnt(0)
	v_pk_fma_f32 v[14:15], v[28:29], v[26:27], v[14:15] op_sel_hi:[1,0,1]
	v_pk_fma_f32 v[14:15], v[28:29], v[26:27], v[14:15] op_sel:[1,1,0] op_sel_hi:[0,1,1] neg_lo:[1,0,0]
	s_andn2_b64 exec, exec, s[60:61]
	s_cbranch_execnz .LBB88_17
; %bb.18:                               ;   in Loop: Header=BB88_15 Depth=1
	s_or_b64 exec, exec, s[60:61]
.LBB88_19:                              ;   in Loop: Header=BB88_15 Depth=1
	s_or_b64 exec, exec, s[58:59]
	ds_write_b64 v21, v[14:15]
	s_waitcnt lgkmcnt(0)
	s_barrier
	s_and_saveexec_b64 s[20:21], s[0:1]
	s_cbranch_execz .LBB88_21
; %bb.20:                               ;   in Loop: Header=BB88_15 Depth=1
	ds_read2st64_b64 v[12:15], v21 offset1:2
	s_waitcnt lgkmcnt(0)
	v_pk_add_f32 v[12:13], v[14:15], v[12:13]
	ds_write_b64 v21, v[12:13]
.LBB88_21:                              ;   in Loop: Header=BB88_15 Depth=1
	s_or_b64 exec, exec, s[20:21]
	s_waitcnt lgkmcnt(0)
	s_barrier
	s_and_saveexec_b64 s[20:21], s[2:3]
	s_cbranch_execz .LBB88_23
; %bb.22:                               ;   in Loop: Header=BB88_15 Depth=1
	ds_read2st64_b64 v[12:15], v21 offset1:1
	s_waitcnt lgkmcnt(0)
	v_pk_add_f32 v[12:13], v[14:15], v[12:13]
	ds_write_b64 v21, v[12:13]
.LBB88_23:                              ;   in Loop: Header=BB88_15 Depth=1
	s_or_b64 exec, exec, s[20:21]
	s_waitcnt lgkmcnt(0)
	s_barrier
	s_and_saveexec_b64 s[20:21], s[8:9]
	s_cbranch_execz .LBB88_25
; %bb.24:                               ;   in Loop: Header=BB88_15 Depth=1
	ds_read2_b64 v[12:15], v21 offset1:32
	s_waitcnt lgkmcnt(0)
	v_pk_add_f32 v[12:13], v[14:15], v[12:13]
	ds_write_b64 v21, v[12:13]
.LBB88_25:                              ;   in Loop: Header=BB88_15 Depth=1
	s_or_b64 exec, exec, s[20:21]
	s_waitcnt lgkmcnt(0)
	s_barrier
	s_and_saveexec_b64 s[20:21], s[10:11]
	s_cbranch_execz .LBB88_27
; %bb.26:                               ;   in Loop: Header=BB88_15 Depth=1
	ds_read2_b64 v[12:15], v21 offset1:16
	s_waitcnt lgkmcnt(0)
	v_pk_add_f32 v[12:13], v[14:15], v[12:13]
	ds_write_b64 v21, v[12:13]
.LBB88_27:                              ;   in Loop: Header=BB88_15 Depth=1
	;; [unrolled: 11-line block ×6, first 2 shown]
	s_or_b64 exec, exec, s[20:21]
	s_waitcnt lgkmcnt(0)
	s_barrier
	s_and_saveexec_b64 s[20:21], s[18:19]
	s_cbranch_execz .LBB88_14
; %bb.36:                               ;   in Loop: Header=BB88_15 Depth=1
	ds_read_b64 v[12:13], v24
	s_and_saveexec_b64 s[56:57], s[48:49]
	s_cbranch_execz .LBB88_13
; %bb.37:                               ;   in Loop: Header=BB88_15 Depth=1
	s_add_u32 s58, s22, s54
	s_addc_u32 s59, s23, s55
	global_load_dwordx2 v[14:15], v24, s[58:59]
	s_waitcnt vmcnt(0) lgkmcnt(0)
	v_pk_fma_f32 v[12:13], v[6:7], v[14:15], v[12:13] op_sel_hi:[1,0,1]
	v_pk_fma_f32 v[12:13], v[8:9], v[14:15], v[12:13] op_sel:[0,1,0]
	s_branch .LBB88_13
.LBB88_38:
	v_pk_mov_b32 v[4:5], s[8:9], s[8:9] op_sel:[0,1]
	flat_load_dword v3, v[4:5] offset:4
	s_and_b64 vcc, exec, s[0:1]
	v_mov_b32_e32 v6, s2
	s_cbranch_vccnz .LBB88_4
.LBB88_39:
	v_pk_mov_b32 v[4:5], s[2:3], s[2:3] op_sel:[0,1]
	flat_load_dword v6, v[4:5]
	s_and_b64 vcc, exec, s[0:1]
	v_mov_b32_e32 v7, s3
	s_cbranch_vccz .LBB88_5
	s_branch .LBB88_6
.LBB88_40:
	s_mov_b64 s[0:1], 0
.LBB88_41:
	s_andn2_b64 vcc, exec, s[0:1]
	s_cbranch_vccnz .LBB88_80
; %bb.42:
	s_load_dwordx2 s[8:9], s[4:5], 0x18
	s_sub_u32 s10, s6, s34
	s_subb_u32 s11, s7, s35
	s_lshl_b64 s[0:1], s[6:7], 2
	s_mov_b32 s21, 0
	s_waitcnt lgkmcnt(0)
	s_add_u32 s6, s8, s0
	s_addc_u32 s7, s9, s1
	s_load_dword s20, s[6:7], 0x0
	s_cmp_eq_u64 s[34:35], 0
	s_cselect_b64 s[2:3], -1, 0
	s_cmp_lg_u64 s[34:35], 0
	v_cmp_eq_u32_e64 s[0:1], 0, v0
	s_cselect_b64 s[12:13], -1, 0
	s_and_b64 s[14:15], s[0:1], s[2:3]
	s_mov_b32 s2, s21
	s_mov_b32 s3, s21
	v_pk_mov_b32 v[4:5], s[2:3], s[2:3] op_sel:[0,1]
	s_and_saveexec_b64 s[2:3], s[14:15]
	s_cbranch_execz .LBB88_46
; %bb.43:
	s_add_u32 s16, s22, s46
	s_addc_u32 s17, s23, s47
	v_mov_b32_e32 v1, 0
	global_load_dwordx2 v[4:5], v1, s[16:17]
	s_mov_b64 s[14:15], exec
	v_mbcnt_lo_u32_b32 v12, s14, 0
	v_add_f32_e32 v11, -1.0, v6
	v_xor_b32_e32 v10, 0x80000000, v7
	v_mbcnt_hi_u32_b32 v12, s15, v12
	v_mov_b32_e32 v9, v7
	v_mov_b32_e32 v8, v11
	v_cmp_eq_u32_e32 vcc, 0, v12
	s_waitcnt vmcnt(0) expcnt(0) lgkmcnt(0)
	v_pk_mul_f32 v[10:11], v[4:5], v[10:11] op_sel:[1,0]
	s_and_saveexec_b64 s[16:17], vcc
	s_cbranch_execz .LBB88_45
; %bb.44:
	s_lshl_b64 s[18:19], s[10:11], 2
	s_add_u32 s18, s8, s18
	s_addc_u32 s19, s9, s19
	s_bcnt1_i32_b64 s14, s[14:15]
	s_and_b32 s14, s14, 1
	v_mov_b32_e32 v12, s14
	global_atomic_xor v1, v12, s[18:19]
.LBB88_45:
	s_or_b64 exec, exec, s[16:17]
	v_pk_fma_f32 v[4:5], v[8:9], v[4:5], v[10:11] op_sel_hi:[1,0,1]
.LBB88_46:
	s_or_b64 exec, exec, s[2:3]
	s_mul_i32 s2, s35, 0xc00
	s_mul_hi_u32 s3, s34, 0xc00
	s_add_i32 s14, s3, s2
	s_load_dwordx2 s[2:3], s[42:43], 0x8
	s_sub_u32 s16, s40, s44
	s_mul_i32 s15, s34, 0xc00
	s_subb_u32 s17, s41, 0
	s_add_u32 s16, s16, s15
	s_addc_u32 s17, s17, s14
	s_waitcnt lgkmcnt(0)
	s_sub_u32 s2, s2, s44
	v_mov_b32_e32 v1, s17
	v_add_co_u32_e32 v8, vcc, s16, v0
	s_subb_u32 s3, s3, 0
	v_addc_co_u32_e32 v9, vcc, 0, v1, vcc
	v_cmp_gt_i64_e32 vcc, s[2:3], v[8:9]
	s_and_saveexec_b64 s[14:15], vcc
	s_cbranch_execz .LBB88_50
; %bb.47:
	s_add_u32 s16, s16, 0xc00
	s_addc_u32 s17, s17, 0
	v_pk_mov_b32 v[10:11], s[2:3], s[2:3] op_sel:[0,1]
	v_cmp_lt_i64_e32 vcc, s[16:17], v[10:11]
	s_and_b64 s[18:19], vcc, exec
	s_cselect_b32 s17, s17, s3
	s_cselect_b32 s16, s16, s2
	s_mov_b32 s2, 0
	s_brev_b32 s3, 1
	v_pk_mul_f32 v[12:13], v[2:3], s[2:3]
	v_mov_b32_e32 v10, v13
	v_mov_b32_e32 v11, v12
	v_lshlrev_b64 v[12:13], 2, v[8:9]
	v_mov_b32_e32 v1, s29
	v_add_co_u32_e32 v12, vcc, s28, v12
	v_addc_co_u32_e32 v13, vcc, v1, v13, vcc
	v_lshlrev_b64 v[14:15], 3, v[8:9]
	v_mov_b32_e32 v1, s27
	v_add_co_u32_e32 v14, vcc, s26, v14
	v_addc_co_u32_e32 v15, vcc, v1, v15, vcc
	s_mov_b64 s[18:19], 0
	v_mov_b32_e32 v1, s21
	v_mov_b32_e32 v16, s31
	s_movk_i32 s21, 0x100
.LBB88_48:                              ; =>This Inner Loop Header: Depth=1
	global_load_dwordx2 v[18:19], v[14:15], off
	global_load_dword v20, v[12:13], off
	s_waitcnt vmcnt(1)
	v_subrev_co_u32_e32 v18, vcc, s44, v18
	v_subb_co_u32_e32 v19, vcc, v19, v1, vcc
	v_lshlrev_b64 v[18:19], 3, v[18:19]
	v_add_co_u32_e32 v18, vcc, s30, v18
	v_addc_co_u32_e32 v19, vcc, v16, v19, vcc
	global_load_dwordx2 v[18:19], v[18:19], off
	v_add_co_u32_e32 v8, vcc, s21, v8
	v_addc_co_u32_e32 v9, vcc, 0, v9, vcc
	v_add_co_u32_e32 v12, vcc, 0x400, v12
	v_addc_co_u32_e32 v13, vcc, 0, v13, vcc
	s_waitcnt vmcnt(1)
	v_pk_fma_f32 v[20:21], v[2:3], v[20:21], v[10:11] op_sel_hi:[1,0,1]
	v_add_co_u32_e32 v14, vcc, 0x800, v14
	v_cmp_le_i64_e64 s[2:3], s[16:17], v[8:9]
	v_addc_co_u32_e32 v15, vcc, 0, v15, vcc
	s_or_b64 s[18:19], s[2:3], s[18:19]
	s_waitcnt vmcnt(0)
	v_pk_fma_f32 v[4:5], v[20:21], v[18:19], v[4:5] op_sel_hi:[1,0,1]
	v_pk_fma_f32 v[4:5], v[20:21], v[18:19], v[4:5] op_sel:[1,1,0] op_sel_hi:[0,1,1] neg_lo:[1,0,0]
	s_andn2_b64 exec, exec, s[18:19]
	s_cbranch_execnz .LBB88_48
; %bb.49:
	s_or_b64 exec, exec, s[18:19]
.LBB88_50:
	s_or_b64 exec, exec, s[14:15]
	s_movk_i32 s2, 0x80
	v_lshlrev_b32_e32 v1, 3, v0
	v_cmp_gt_u32_e32 vcc, s2, v0
	ds_write_b64 v1, v[4:5]
	s_waitcnt lgkmcnt(0)
	s_barrier
	s_and_saveexec_b64 s[2:3], vcc
	s_cbranch_execz .LBB88_52
; %bb.51:
	ds_read2st64_b64 v[8:11], v1 offset1:2
	s_waitcnt lgkmcnt(0)
	v_pk_add_f32 v[4:5], v[10:11], v[8:9]
	ds_write_b64 v1, v[4:5]
.LBB88_52:
	s_or_b64 exec, exec, s[2:3]
	v_cmp_gt_u32_e32 vcc, 64, v0
	s_waitcnt lgkmcnt(0)
	s_barrier
	s_and_saveexec_b64 s[2:3], vcc
	s_cbranch_execz .LBB88_54
; %bb.53:
	ds_read2st64_b64 v[8:11], v1 offset1:1
	s_waitcnt lgkmcnt(0)
	v_pk_add_f32 v[4:5], v[10:11], v[8:9]
	ds_write_b64 v1, v[4:5]
.LBB88_54:
	s_or_b64 exec, exec, s[2:3]
	v_cmp_gt_u32_e32 vcc, 32, v0
	s_waitcnt lgkmcnt(0)
	s_barrier
	s_and_saveexec_b64 s[2:3], vcc
	s_cbranch_execz .LBB88_56
; %bb.55:
	ds_read2_b64 v[8:11], v1 offset1:32
	s_waitcnt lgkmcnt(0)
	v_pk_add_f32 v[4:5], v[10:11], v[8:9]
	ds_write_b64 v1, v[4:5]
.LBB88_56:
	s_or_b64 exec, exec, s[2:3]
	v_cmp_gt_u32_e32 vcc, 16, v0
	s_waitcnt lgkmcnt(0)
	s_barrier
	s_and_saveexec_b64 s[2:3], vcc
	s_cbranch_execz .LBB88_58
; %bb.57:
	ds_read2_b64 v[8:11], v1 offset1:16
	s_waitcnt lgkmcnt(0)
	v_pk_add_f32 v[4:5], v[10:11], v[8:9]
	ds_write_b64 v1, v[4:5]
.LBB88_58:
	;; [unrolled: 12-line block ×5, first 2 shown]
	s_or_b64 exec, exec, s[2:3]
	s_waitcnt lgkmcnt(0)
	s_barrier
	s_and_saveexec_b64 s[2:3], s[0:1]
	s_cbranch_execz .LBB88_66
; %bb.65:
	v_mov_b32_e32 v1, 0
	ds_read2_b64 v[8:11], v1 offset1:1
	s_waitcnt lgkmcnt(0)
	v_pk_add_f32 v[4:5], v[10:11], v[8:9]
	ds_write_b64 v1, v[4:5]
.LBB88_66:
	s_or_b64 exec, exec, s[2:3]
	s_waitcnt lgkmcnt(0)
	s_barrier
	s_and_saveexec_b64 s[2:3], s[0:1]
	s_cbranch_execz .LBB88_79
; %bb.67:
	s_andn2_b64 vcc, exec, s[12:13]
	s_cbranch_vccnz .LBB88_73
; %bb.68:
	s_lshl_b64 s[0:1], s[10:11], 2
	s_add_u32 s0, s8, s0
	s_addc_u32 s1, s9, s1
	v_mov_b32_e32 v1, 0
	s_branch .LBB88_70
.LBB88_69:                              ;   in Loop: Header=BB88_70 Depth=1
	s_or_b64 exec, exec, s[8:9]
	s_waitcnt vmcnt(0)
	v_readfirstlane_b32 s8, v4
	s_cmp_eq_u32 s8, s20
	s_cbranch_scc0 .LBB88_72
.LBB88_70:                              ; =>This Inner Loop Header: Depth=1
	v_mbcnt_lo_u32_b32 v4, exec_lo, 0
	v_mbcnt_hi_u32_b32 v4, exec_hi, v4
	v_cmp_eq_u32_e32 vcc, 0, v4
                                        ; implicit-def: $vgpr4
	s_and_saveexec_b64 s[8:9], vcc
	s_cbranch_execz .LBB88_69
; %bb.71:                               ;   in Loop: Header=BB88_70 Depth=1
	global_load_dword v4, v1, s[0:1] glc
	s_branch .LBB88_69
.LBB88_72:
	v_mov_b32_e32 v1, 0
	global_load_dword v4, v1, s[6:7]
	s_waitcnt vmcnt(0)
	v_xor_b32_e32 v4, 1, v4
	global_store_dword v1, v4, s[6:7]
.LBB88_73:
	v_mov_b32_e32 v1, 0
	ds_read_b64 v[4:5], v1
	s_mov_b64 s[8:9], exec
	v_mbcnt_lo_u32_b32 v8, s8, 0
	s_add_u32 s0, s22, s46
	v_mbcnt_hi_u32_b32 v8, s9, v8
	s_addc_u32 s1, s23, s47
	v_cmp_eq_u32_e32 vcc, 0, v8
	s_and_saveexec_b64 s[6:7], vcc
	s_cbranch_execz .LBB88_76
; %bb.74:
	global_load_dword v9, v1, s[0:1]
	s_bcnt1_i32_b64 s8, s[8:9]
	v_cvt_f32_ubyte0_e32 v8, s8
	s_waitcnt lgkmcnt(0)
	v_mul_f32_e32 v4, v4, v8
	s_mov_b64 s[8:9], 0
.LBB88_75:                              ; =>This Inner Loop Header: Depth=1
	s_waitcnt vmcnt(0)
	v_add_f32_e32 v8, v9, v4
	global_atomic_cmpswap v8, v1, v[8:9], s[0:1] glc
	s_waitcnt vmcnt(0)
	v_cmp_eq_u32_e32 vcc, v8, v9
	s_or_b64 s[8:9], vcc, s[8:9]
	v_mov_b32_e32 v9, v8
	s_andn2_b64 exec, exec, s[8:9]
	s_cbranch_execnz .LBB88_75
.LBB88_76:
	s_or_b64 exec, exec, s[6:7]
	s_mov_b64 s[6:7], exec
	v_mbcnt_lo_u32_b32 v1, s6, 0
	v_mbcnt_hi_u32_b32 v1, s7, v1
	v_cmp_eq_u32_e32 vcc, 0, v1
	s_and_b64 s[8:9], exec, vcc
	s_mov_b64 exec, s[8:9]
	s_cbranch_execz .LBB88_79
; %bb.77:
	v_mov_b32_e32 v1, 0
	global_load_dword v9, v1, s[0:1] offset:4
	s_bcnt1_i32_b64 s6, s[6:7]
	s_waitcnt lgkmcnt(0)
	v_cvt_f32_ubyte0_e32 v4, s6
	v_mul_f32_e32 v4, v5, v4
	s_mov_b64 s[6:7], 0
.LBB88_78:                              ; =>This Inner Loop Header: Depth=1
	s_waitcnt vmcnt(0)
	v_add_f32_e32 v8, v9, v4
	global_atomic_cmpswap v5, v1, v[8:9], s[0:1] offset:4 glc
	s_waitcnt vmcnt(0)
	v_cmp_eq_u32_e32 vcc, v5, v9
	s_or_b64 s[6:7], vcc, s[6:7]
	v_mov_b32_e32 v9, v5
	s_andn2_b64 exec, exec, s[6:7]
	s_cbranch_execnz .LBB88_78
.LBB88_79:
	s_or_b64 exec, exec, s[2:3]
.LBB88_80:
	s_mov_b64 s[2:3], 0
.LBB88_81:
	s_andn2_b64 vcc, exec, s[2:3]
	s_cbranch_vccnz .LBB88_125
; %bb.82:
	s_load_dwordx2 s[0:1], s[4:5], 0x8
	v_subrev_co_u32_e32 v1, vcc, s44, v0
	s_waitcnt lgkmcnt(0)
	v_subb_co_u32_e64 v5, s[2:3], 0, 0, vcc
	v_mov_b32_e32 v8, s41
	v_add_co_u32_e32 v4, vcc, s40, v1
	v_addc_co_u32_e32 v5, vcc, v8, v5, vcc
	v_add_co_u32_e32 v8, vcc, 0x300, v4
	v_addc_co_u32_e32 v9, vcc, 0, v5, vcc
	s_mov_b32 s10, 0
	v_cmp_le_i64_e32 vcc, s[0:1], v[8:9]
	s_and_saveexec_b64 s[0:1], vcc
	s_xor_b64 s[2:3], exec, s[0:1]
	s_cbranch_execz .LBB88_87
; %bb.83:
	s_lshl_b64 s[0:1], s[38:39], 3
	s_add_u32 s0, s24, s0
	s_addc_u32 s1, s25, s1
	s_load_dwordx2 s[0:1], s[0:1], 0x0
	s_waitcnt lgkmcnt(0)
	s_sub_u32 s4, s0, s44
	s_subb_u32 s5, s1, 0
	v_cmp_gt_i64_e32 vcc, s[4:5], v[4:5]
	s_and_saveexec_b64 s[6:7], vcc
	s_cbranch_execz .LBB88_86
; %bb.84:
	s_mov_b32 s0, 0
	s_brev_b32 s1, 1
	v_pk_mul_f32 v[10:11], v[2:3], s[0:1]
	v_mov_b32_e32 v8, v11
	v_mov_b32_e32 v9, v10
	v_lshlrev_b64 v[10:11], 2, v[4:5]
	v_mov_b32_e32 v12, s29
	v_add_co_u32_e32 v10, vcc, s28, v10
	v_addc_co_u32_e32 v11, vcc, v12, v11, vcc
	v_lshlrev_b64 v[12:13], 3, v[4:5]
	v_mov_b32_e32 v14, s27
	v_add_co_u32_e32 v12, vcc, s26, v12
	v_lshlrev_b32_e32 v1, 3, v0
	v_addc_co_u32_e32 v13, vcc, v14, v13, vcc
	s_mov_b64 s[8:9], 0
	v_mov_b32_e32 v14, s10
	v_mov_b32_e32 v15, s31
	s_movk_i32 s11, 0x100
.LBB88_85:                              ; =>This Inner Loop Header: Depth=1
	global_load_dwordx2 v[16:17], v[12:13], off
	global_load_dword v18, v[10:11], off
	s_waitcnt vmcnt(1)
	v_subrev_co_u32_e32 v16, vcc, s44, v16
	v_subb_co_u32_e32 v17, vcc, v17, v14, vcc
	v_lshlrev_b64 v[16:17], 3, v[16:17]
	v_add_co_u32_e32 v16, vcc, s30, v16
	v_addc_co_u32_e32 v17, vcc, v15, v17, vcc
	global_load_dwordx2 v[16:17], v[16:17], off
	v_add_co_u32_e32 v4, vcc, s11, v4
	v_addc_co_u32_e32 v5, vcc, 0, v5, vcc
	v_add_co_u32_e32 v10, vcc, 0x400, v10
	s_waitcnt vmcnt(1)
	v_pk_fma_f32 v[18:19], v[2:3], v[18:19], v[8:9] op_sel_hi:[1,0,1]
	v_addc_co_u32_e32 v11, vcc, 0, v11, vcc
	v_add_co_u32_e32 v12, vcc, 0x800, v12
	v_cmp_le_i64_e64 s[0:1], s[4:5], v[4:5]
	v_addc_co_u32_e32 v13, vcc, 0, v13, vcc
	s_or_b64 s[8:9], s[0:1], s[8:9]
	s_waitcnt vmcnt(0)
	v_pk_mul_f32 v[20:21], v[16:17], v[18:19] op_sel:[1,1] op_sel_hi:[1,0] neg_lo:[0,1]
	v_pk_fma_f32 v[16:17], v[18:19], v[16:17], v[20:21] op_sel_hi:[1,0,1]
	ds_write_b64 v1, v[16:17]
	v_add_u32_e32 v1, 0x800, v1
	s_andn2_b64 exec, exec, s[8:9]
	s_cbranch_execnz .LBB88_85
.LBB88_86:
	s_or_b64 exec, exec, s[6:7]
                                        ; implicit-def: $vgpr2_vgpr3
                                        ; implicit-def: $vgpr4_vgpr5
.LBB88_87:
	s_or_saveexec_b64 s[0:1], s[2:3]
	v_lshlrev_b32_e32 v18, 3, v0
	s_xor_b64 exec, exec, s[0:1]
	s_cbranch_execz .LBB88_89
; %bb.88:
	v_lshlrev_b64 v[8:9], 3, v[4:5]
	v_mov_b32_e32 v1, s27
	v_add_co_u32_e32 v8, vcc, s26, v8
	v_addc_co_u32_e32 v9, vcc, v1, v9, vcc
	global_load_dwordx2 v[10:11], v[8:9], off
	global_load_dwordx2 v[12:13], v[8:9], off offset:2048
	s_movk_i32 s2, 0x1000
	v_add_co_u32_e32 v8, vcc, s2, v8
	v_addc_co_u32_e32 v9, vcc, 0, v9, vcc
	global_load_dwordx2 v[14:15], v[8:9], off
	global_load_dwordx2 v[16:17], v[8:9], off offset:2048
	v_lshlrev_b64 v[4:5], 2, v[4:5]
	v_mov_b32_e32 v1, s29
	v_add_co_u32_e32 v4, vcc, s28, v4
	v_addc_co_u32_e32 v5, vcc, v1, v5, vcc
	v_mov_b32_e32 v9, s10
	global_load_dword v8, v[4:5], off
	global_load_dword v20, v[4:5], off offset:1024
	global_load_dword v22, v[4:5], off offset:2048
	;; [unrolled: 1-line block ×3, first 2 shown]
	v_mov_b32_e32 v19, s31
	s_mov_b32 s2, 0
	s_brev_b32 s3, 1
	s_waitcnt vmcnt(7)
	v_subrev_co_u32_e32 v4, vcc, s44, v10
	v_subb_co_u32_e32 v5, vcc, v11, v9, vcc
	s_waitcnt vmcnt(6)
	v_subrev_co_u32_e32 v10, vcc, s44, v12
	v_subb_co_u32_e32 v11, vcc, v13, v9, vcc
	s_waitcnt vmcnt(5)
	v_subrev_co_u32_e32 v12, vcc, s44, v14
	v_subb_co_u32_e32 v13, vcc, v15, v9, vcc
	s_waitcnt vmcnt(4)
	v_subrev_co_u32_e32 v14, vcc, s44, v16
	v_lshlrev_b64 v[4:5], 3, v[4:5]
	v_subb_co_u32_e32 v15, vcc, v17, v9, vcc
	v_add_co_u32_e32 v4, vcc, s30, v4
	v_lshlrev_b64 v[10:11], 3, v[10:11]
	v_addc_co_u32_e32 v5, vcc, v19, v5, vcc
	v_add_co_u32_e32 v10, vcc, s30, v10
	v_addc_co_u32_e32 v11, vcc, v19, v11, vcc
	v_lshlrev_b64 v[12:13], 3, v[12:13]
	global_load_dwordx2 v[16:17], v[4:5], off
	global_load_dwordx2 v[26:27], v[10:11], off
	v_add_co_u32_e32 v4, vcc, s30, v12
	v_lshlrev_b64 v[14:15], 3, v[14:15]
	v_addc_co_u32_e32 v5, vcc, v19, v13, vcc
	v_add_co_u32_e32 v10, vcc, s30, v14
	v_addc_co_u32_e32 v11, vcc, v19, v15, vcc
	global_load_dwordx2 v[12:13], v[4:5], off
	global_load_dwordx2 v[14:15], v[10:11], off
	v_pk_mul_f32 v[4:5], v[2:3], s[2:3]
	s_waitcnt vmcnt(7)
	v_pk_fma_f32 v[8:9], v[2:3], v[8:9], v[4:5] op_sel:[0,0,1] op_sel_hi:[1,0,0]
	s_waitcnt vmcnt(6)
	v_pk_fma_f32 v[10:11], v[2:3], v[20:21], v[4:5] op_sel:[0,0,1] op_sel_hi:[1,0,0]
	s_waitcnt vmcnt(5)
	v_pk_fma_f32 v[20:21], v[2:3], v[22:23], v[4:5] op_sel:[0,0,1] op_sel_hi:[1,0,0]
	s_waitcnt vmcnt(4)
	v_pk_fma_f32 v[2:3], v[2:3], v[24:25], v[4:5] op_sel:[0,0,1] op_sel_hi:[1,0,0]
	s_waitcnt vmcnt(3)
	v_pk_mul_f32 v[4:5], v[16:17], v[8:9] op_sel:[1,1] op_sel_hi:[1,0] neg_lo:[0,1]
	s_waitcnt vmcnt(2)
	v_pk_mul_f32 v[22:23], v[26:27], v[10:11] op_sel:[1,1] op_sel_hi:[1,0] neg_lo:[0,1]
	v_pk_fma_f32 v[4:5], v[8:9], v[16:17], v[4:5] op_sel_hi:[1,0,1]
	v_pk_fma_f32 v[8:9], v[10:11], v[26:27], v[22:23] op_sel_hi:[1,0,1]
	ds_write2st64_b64 v18, v[4:5], v[8:9] offset1:4
	s_waitcnt vmcnt(1)
	v_pk_mul_f32 v[10:11], v[12:13], v[20:21] op_sel:[1,1] op_sel_hi:[1,0] neg_lo:[0,1]
	s_waitcnt vmcnt(0)
	v_pk_mul_f32 v[16:17], v[14:15], v[2:3] op_sel:[1,1] op_sel_hi:[1,0] neg_lo:[0,1]
	v_pk_fma_f32 v[4:5], v[20:21], v[12:13], v[10:11] op_sel_hi:[1,0,1]
	v_pk_fma_f32 v[2:3], v[2:3], v[14:15], v[16:17] op_sel_hi:[1,0,1]
	ds_write2st64_b64 v18, v[4:5], v[2:3] offset0:8 offset1:12
.LBB88_89:
	s_or_b64 exec, exec, s[0:1]
	v_cmp_lt_i64_e64 s[2:3], s[34:35], 2
	s_mov_b64 s[0:1], -1
	s_and_b64 vcc, exec, s[2:3]
	s_waitcnt lgkmcnt(0)
	s_barrier
	s_cbranch_vccz .LBB88_100
; %bb.90:
	v_mov_b32_e32 v1, s37
	v_add_co_u32_e32 v8, vcc, s36, v0
	v_addc_co_u32_e32 v9, vcc, 0, v1, vcc
	v_cmp_gt_i64_e32 vcc, s[38:39], v[8:9]
	s_and_saveexec_b64 s[2:3], vcc
	s_cbranch_execz .LBB88_99
; %bb.91:
	v_and_b32_e32 v1, 0x7fffffff, v6
	v_cmp_ne_u32_e32 vcc, 0, v1
	v_cmp_neq_f32_e64 s[0:1], 0, v7
	s_lshl_b32 s5, s40, 3
	s_mov_b32 s4, 0
	s_or_b64 s[0:1], vcc, s[0:1]
	v_xor_b32_e32 v10, 0x80000000, v7
	v_mov_b32_e32 v11, v6
	s_sub_i32 s12, 0, s5
	s_mov_b64 s[6:7], 0
	v_mov_b32_e32 v1, s25
	v_mov_b32_e32 v19, s23
	s_branch .LBB88_93
.LBB88_92:                              ;   in Loop: Header=BB88_93 Depth=1
	s_or_b64 exec, exec, s[8:9]
	v_add_co_u32_e32 v2, vcc, s22, v12
	v_addc_co_u32_e32 v3, vcc, v19, v13, vcc
	v_add_co_u32_e32 v8, vcc, 0x100, v8
	v_addc_co_u32_e32 v9, vcc, 0, v9, vcc
	v_cmp_le_i64_e32 vcc, s[38:39], v[8:9]
	s_or_b64 s[6:7], vcc, s[6:7]
	global_store_dwordx2 v[2:3], v[14:15], off
	s_andn2_b64 exec, exec, s[6:7]
	s_cbranch_execz .LBB88_99
.LBB88_93:                              ; =>This Loop Header: Depth=1
                                        ;     Child Loop BB88_95 Depth 2
	v_lshlrev_b64 v[12:13], 3, v[8:9]
	v_add_co_u32_e32 v2, vcc, s24, v12
	v_addc_co_u32_e32 v3, vcc, v1, v13, vcc
	global_load_dwordx4 v[2:5], v[2:3], off
	s_mov_b32 s5, s4
	v_pk_mov_b32 v[14:15], s[4:5], s[4:5] op_sel:[0,1]
	s_waitcnt vmcnt(0)
	v_cmp_lt_i64_e32 vcc, v[2:3], v[4:5]
	s_and_saveexec_b64 s[8:9], vcc
	s_cbranch_execz .LBB88_97
; %bb.94:                               ;   in Loop: Header=BB88_93 Depth=1
	v_mov_b32_e32 v14, s41
	v_subrev_co_u32_e32 v4, vcc, s40, v4
	v_subb_co_u32_e32 v5, vcc, v5, v14, vcc
	v_subrev_co_u32_e32 v16, vcc, s40, v2
	v_subb_co_u32_e32 v17, vcc, v3, v14, vcc
	v_mov_b32_e32 v14, 0
	v_lshl_add_u32 v2, v2, 3, s12
	s_mov_b64 s[10:11], 0
	v_mov_b32_e32 v15, v14
.LBB88_95:                              ;   Parent Loop BB88_93 Depth=1
                                        ; =>  This Inner Loop Header: Depth=2
	ds_read_b64 v[20:21], v2
	v_add_co_u32_e32 v16, vcc, 1, v16
	v_addc_co_u32_e32 v17, vcc, 0, v17, vcc
	v_cmp_ge_i64_e32 vcc, v[16:17], v[4:5]
	v_add_u32_e32 v2, 8, v2
	s_or_b64 s[10:11], vcc, s[10:11]
	s_waitcnt lgkmcnt(0)
	v_pk_add_f32 v[14:15], v[14:15], v[20:21]
	s_andn2_b64 exec, exec, s[10:11]
	s_cbranch_execnz .LBB88_95
; %bb.96:                               ;   in Loop: Header=BB88_93 Depth=1
	s_or_b64 exec, exec, s[10:11]
.LBB88_97:                              ;   in Loop: Header=BB88_93 Depth=1
	s_or_b64 exec, exec, s[8:9]
	s_and_saveexec_b64 s[8:9], s[0:1]
	s_cbranch_execz .LBB88_92
; %bb.98:                               ;   in Loop: Header=BB88_93 Depth=1
	v_mov_b32_e32 v3, s23
	v_add_co_u32_e32 v2, vcc, s22, v12
	v_addc_co_u32_e32 v3, vcc, v3, v13, vcc
	global_load_dwordx2 v[2:3], v[2:3], off
	s_waitcnt vmcnt(0)
	v_pk_fma_f32 v[4:5], v[6:7], v[2:3], v[14:15] op_sel_hi:[1,0,1]
	v_pk_fma_f32 v[14:15], v[10:11], v[2:3], v[4:5] op_sel:[0,1,0]
	s_branch .LBB88_92
.LBB88_99:
	s_or_b64 exec, exec, s[2:3]
	s_mov_b64 s[0:1], 0
.LBB88_100:
	s_andn2_b64 vcc, exec, s[0:1]
	s_cbranch_vccnz .LBB88_125
; %bb.101:
	s_flbit_i32_b32 s0, s34
	s_min_u32 s0, s0, 32
	s_sub_i32 s0, 31, s0
	v_lshrrev_b32_e32 v8, s0, v0
	v_mov_b32_e32 v1, s37
	v_add_co_u32_e32 v2, vcc, s36, v8
	s_mov_b32 s4, 0
	v_addc_co_u32_e32 v3, vcc, 0, v1, vcc
	s_add_i32 s0, s34, -1
	s_mov_b32 s5, s4
	v_and_b32_e64 v1, s0, 0
	v_and_b32_e32 v0, s0, v0
	v_cmp_le_i64_e64 s[0:1], s[38:39], v[2:3]
	v_cmp_gt_i64_e32 vcc, s[38:39], v[2:3]
	v_pk_mov_b32 v[4:5], s[4:5], s[4:5] op_sel:[0,1]
	s_and_saveexec_b64 s[2:3], vcc
	s_cbranch_execz .LBB88_107
; %bb.102:
	v_lshlrev_b32_e32 v4, 3, v8
	global_load_dwordx4 v[10:13], v4, s[42:43]
	v_mov_b32_e32 v4, s41
	v_subrev_co_u32_e32 v5, vcc, s40, v0
	v_subb_co_u32_e32 v14, vcc, v1, v4, vcc
	s_waitcnt vmcnt(0)
	v_subrev_co_u32_e32 v8, vcc, s40, v12
	v_subb_co_u32_e32 v9, vcc, v13, v4, vcc
	v_add_co_u32_e32 v10, vcc, v10, v5
	v_addc_co_u32_e32 v11, vcc, v11, v14, vcc
	v_cmp_lt_i64_e32 vcc, v[10:11], v[8:9]
	v_pk_mov_b32 v[4:5], s[4:5], s[4:5] op_sel:[0,1]
	s_and_saveexec_b64 s[4:5], vcc
	s_cbranch_execz .LBB88_106
; %bb.103:
	v_mov_b32_e32 v4, 0
	v_lshlrev_b32_e32 v12, 3, v10
	s_lshl_b32 s8, s34, 3
	s_mov_b64 s[6:7], 0
	v_mov_b32_e32 v13, s35
	v_mov_b32_e32 v5, v4
.LBB88_104:                             ; =>This Inner Loop Header: Depth=1
	ds_read_b64 v[14:15], v12
	v_add_co_u32_e32 v10, vcc, s34, v10
	v_addc_co_u32_e32 v11, vcc, v11, v13, vcc
	v_cmp_ge_i64_e32 vcc, v[10:11], v[8:9]
	v_add_u32_e32 v12, s8, v12
	s_or_b64 s[6:7], vcc, s[6:7]
	s_waitcnt lgkmcnt(0)
	v_pk_add_f32 v[4:5], v[4:5], v[14:15]
	s_andn2_b64 exec, exec, s[6:7]
	s_cbranch_execnz .LBB88_104
; %bb.105:
	s_or_b64 exec, exec, s[6:7]
.LBB88_106:
	s_or_b64 exec, exec, s[4:5]
.LBB88_107:
	s_or_b64 exec, exec, s[2:3]
	v_mov_b32_e32 v8, 0x81
	v_mov_b32_e32 v9, 0
	v_cmp_lt_i64_e32 vcc, s[34:35], v[8:9]
	s_and_b64 vcc, exec, vcc
	s_barrier
	ds_write_b64 v18, v[4:5]
	s_waitcnt lgkmcnt(0)
	s_barrier
	s_cbranch_vccnz .LBB88_109
; %bb.108:
	ds_read_b64 v[8:9], v18 offset:1024
	s_waitcnt lgkmcnt(0)
	s_barrier
	v_pk_add_f32 v[4:5], v[4:5], v[8:9]
	ds_write_b64 v18, v[4:5]
.LBB88_109:
	v_mov_b32_e32 v8, 0x41
	v_mov_b32_e32 v9, 0
	v_cmp_lt_i64_e32 vcc, s[34:35], v[8:9]
	s_waitcnt lgkmcnt(0)
	s_barrier
	s_cbranch_vccnz .LBB88_111
; %bb.110:
	ds_read_b64 v[8:9], v18 offset:512
	s_waitcnt lgkmcnt(0)
	s_barrier
	v_pk_add_f32 v[4:5], v[4:5], v[8:9]
	ds_write_b64 v18, v[4:5]
.LBB88_111:
	v_cmp_lt_i64_e64 s[2:3], s[34:35], 33
	s_and_b64 vcc, exec, s[2:3]
	s_waitcnt lgkmcnt(0)
	s_barrier
	s_cbranch_vccnz .LBB88_113
; %bb.112:
	ds_read_b64 v[8:9], v18 offset:256
	s_waitcnt lgkmcnt(0)
	s_barrier
	v_pk_add_f32 v[4:5], v[4:5], v[8:9]
	ds_write_b64 v18, v[4:5]
.LBB88_113:
	v_cmp_lt_i64_e64 s[2:3], s[34:35], 17
	s_and_b64 vcc, exec, s[2:3]
	s_waitcnt lgkmcnt(0)
	s_barrier
	s_cbranch_vccnz .LBB88_115
; %bb.114:
	ds_read_b64 v[8:9], v18 offset:128
	s_waitcnt lgkmcnt(0)
	s_barrier
	v_pk_add_f32 v[4:5], v[4:5], v[8:9]
	ds_write_b64 v18, v[4:5]
.LBB88_115:
	v_cmp_lt_i64_e64 s[2:3], s[34:35], 9
	s_and_b64 vcc, exec, s[2:3]
	s_waitcnt lgkmcnt(0)
	s_barrier
	s_cbranch_vccnz .LBB88_117
; %bb.116:
	ds_read_b64 v[8:9], v18 offset:64
	s_waitcnt lgkmcnt(0)
	s_barrier
	v_pk_add_f32 v[4:5], v[4:5], v[8:9]
	ds_write_b64 v18, v[4:5]
.LBB88_117:
	v_cmp_lt_i64_e64 s[2:3], s[34:35], 5
	s_and_b64 vcc, exec, s[2:3]
	s_waitcnt lgkmcnt(0)
	s_barrier
	s_cbranch_vccnz .LBB88_119
; %bb.118:
	ds_read_b64 v[8:9], v18 offset:32
	s_waitcnt lgkmcnt(0)
	s_barrier
	v_pk_add_f32 v[4:5], v[4:5], v[8:9]
	ds_write_b64 v18, v[4:5]
.LBB88_119:
	s_cmp_eq_u64 s[34:35], 2
	s_waitcnt lgkmcnt(0)
	s_barrier
	s_cbranch_scc1 .LBB88_121
; %bb.120:
	ds_read_b64 v[8:9], v18 offset:16
	s_waitcnt lgkmcnt(0)
	s_barrier
	v_pk_add_f32 v[4:5], v[4:5], v[8:9]
	ds_write_b64 v18, v[4:5]
.LBB88_121:
	s_waitcnt lgkmcnt(0)
	s_barrier
	ds_read_b64 v[8:9], v18 offset:8
	v_cmp_eq_u64_e32 vcc, 0, v[0:1]
	s_xor_b64 s[0:1], s[0:1], -1
	s_and_b64 s[0:1], vcc, s[0:1]
	s_waitcnt lgkmcnt(0)
	v_pk_add_f32 v[4:5], v[4:5], v[8:9]
	s_barrier
	ds_write_b64 v18, v[4:5]
	s_and_b64 exec, exec, s[0:1]
	s_cbranch_execz .LBB88_125
; %bb.122:
	v_and_b32_e32 v0, 0x7fffffff, v6
	v_cmp_ne_u32_e32 vcc, 0, v0
	v_cmp_neq_f32_e64 s[0:1], 0, v7
	s_or_b64 s[2:3], vcc, s[0:1]
	v_lshlrev_b64 v[0:1], 3, v[2:3]
	s_and_saveexec_b64 s[0:1], s[2:3]
	s_cbranch_execz .LBB88_124
; %bb.123:
	v_mov_b32_e32 v3, s23
	v_add_co_u32_e32 v2, vcc, s22, v0
	v_addc_co_u32_e32 v3, vcc, v3, v1, vcc
	global_load_dwordx2 v[2:3], v[2:3], off
	v_xor_b32_e32 v8, 0x80000000, v7
	v_mov_b32_e32 v9, v6
	s_waitcnt vmcnt(0)
	v_pk_fma_f32 v[4:5], v[6:7], v[2:3], v[4:5] op_sel_hi:[1,0,1]
	v_pk_fma_f32 v[4:5], v[8:9], v[2:3], v[4:5] op_sel:[0,1,0]
.LBB88_124:
	s_or_b64 exec, exec, s[0:1]
	v_mov_b32_e32 v2, s23
	v_add_co_u32_e32 v0, vcc, s22, v0
	v_addc_co_u32_e32 v1, vcc, v2, v1, vcc
	global_store_dwordx2 v[0:1], v[4:5], off
.LBB88_125:
	s_endpgm
	.section	.rodata,"a",@progbits
	.p2align	6, 0x0
	.amdhsa_kernel _ZN9rocsparseL22csrmvn_adaptive_kernelIllf21rocsparse_complex_numIfES2_S2_EEvbT_PKS3_PjPKT0_NS_24const_host_device_scalarIT4_EES5_S9_PKT1_PKT2_SC_PT3_21rocsparse_index_base_b
		.amdhsa_group_segment_fixed_size 8192
		.amdhsa_private_segment_fixed_size 0
		.amdhsa_kernarg_size 104
		.amdhsa_user_sgpr_count 6
		.amdhsa_user_sgpr_private_segment_buffer 1
		.amdhsa_user_sgpr_dispatch_ptr 0
		.amdhsa_user_sgpr_queue_ptr 0
		.amdhsa_user_sgpr_kernarg_segment_ptr 1
		.amdhsa_user_sgpr_dispatch_id 0
		.amdhsa_user_sgpr_flat_scratch_init 0
		.amdhsa_user_sgpr_kernarg_preload_length 0
		.amdhsa_user_sgpr_kernarg_preload_offset 0
		.amdhsa_user_sgpr_private_segment_size 0
		.amdhsa_uses_dynamic_stack 0
		.amdhsa_system_sgpr_private_segment_wavefront_offset 0
		.amdhsa_system_sgpr_workgroup_id_x 1
		.amdhsa_system_sgpr_workgroup_id_y 0
		.amdhsa_system_sgpr_workgroup_id_z 0
		.amdhsa_system_sgpr_workgroup_info 0
		.amdhsa_system_vgpr_workitem_id 0
		.amdhsa_next_free_vgpr 30
		.amdhsa_next_free_sgpr 63
		.amdhsa_accum_offset 32
		.amdhsa_reserve_vcc 1
		.amdhsa_reserve_flat_scratch 0
		.amdhsa_float_round_mode_32 0
		.amdhsa_float_round_mode_16_64 0
		.amdhsa_float_denorm_mode_32 3
		.amdhsa_float_denorm_mode_16_64 3
		.amdhsa_dx10_clamp 1
		.amdhsa_ieee_mode 1
		.amdhsa_fp16_overflow 0
		.amdhsa_tg_split 0
		.amdhsa_exception_fp_ieee_invalid_op 0
		.amdhsa_exception_fp_denorm_src 0
		.amdhsa_exception_fp_ieee_div_zero 0
		.amdhsa_exception_fp_ieee_overflow 0
		.amdhsa_exception_fp_ieee_underflow 0
		.amdhsa_exception_fp_ieee_inexact 0
		.amdhsa_exception_int_div_zero 0
	.end_amdhsa_kernel
	.section	.text._ZN9rocsparseL22csrmvn_adaptive_kernelIllf21rocsparse_complex_numIfES2_S2_EEvbT_PKS3_PjPKT0_NS_24const_host_device_scalarIT4_EES5_S9_PKT1_PKT2_SC_PT3_21rocsparse_index_base_b,"axG",@progbits,_ZN9rocsparseL22csrmvn_adaptive_kernelIllf21rocsparse_complex_numIfES2_S2_EEvbT_PKS3_PjPKT0_NS_24const_host_device_scalarIT4_EES5_S9_PKT1_PKT2_SC_PT3_21rocsparse_index_base_b,comdat
.Lfunc_end88:
	.size	_ZN9rocsparseL22csrmvn_adaptive_kernelIllf21rocsparse_complex_numIfES2_S2_EEvbT_PKS3_PjPKT0_NS_24const_host_device_scalarIT4_EES5_S9_PKT1_PKT2_SC_PT3_21rocsparse_index_base_b, .Lfunc_end88-_ZN9rocsparseL22csrmvn_adaptive_kernelIllf21rocsparse_complex_numIfES2_S2_EEvbT_PKS3_PjPKT0_NS_24const_host_device_scalarIT4_EES5_S9_PKT1_PKT2_SC_PT3_21rocsparse_index_base_b
                                        ; -- End function
	.section	.AMDGPU.csdata,"",@progbits
; Kernel info:
; codeLenInByte = 4804
; NumSgprs: 67
; NumVgprs: 30
; NumAgprs: 0
; TotalNumVgprs: 30
; ScratchSize: 0
; MemoryBound: 0
; FloatMode: 240
; IeeeMode: 1
; LDSByteSize: 8192 bytes/workgroup (compile time only)
; SGPRBlocks: 8
; VGPRBlocks: 3
; NumSGPRsForWavesPerEU: 67
; NumVGPRsForWavesPerEU: 30
; AccumOffset: 32
; Occupancy: 8
; WaveLimiterHint : 1
; COMPUTE_PGM_RSRC2:SCRATCH_EN: 0
; COMPUTE_PGM_RSRC2:USER_SGPR: 6
; COMPUTE_PGM_RSRC2:TRAP_HANDLER: 0
; COMPUTE_PGM_RSRC2:TGID_X_EN: 1
; COMPUTE_PGM_RSRC2:TGID_Y_EN: 0
; COMPUTE_PGM_RSRC2:TGID_Z_EN: 0
; COMPUTE_PGM_RSRC2:TIDIG_COMP_CNT: 0
; COMPUTE_PGM_RSRC3_GFX90A:ACCUM_OFFSET: 7
; COMPUTE_PGM_RSRC3_GFX90A:TG_SPLIT: 0
	.section	.text._ZN9rocsparseL27csrmvn_symm_adaptive_kernelIllf21rocsparse_complex_numIfES2_S2_EEvbT_S3_PKS3_NS_24const_host_device_scalarIT4_EES5_PKT0_PKT1_PKT2_S8_PT3_21rocsparse_index_base_b,"axG",@progbits,_ZN9rocsparseL27csrmvn_symm_adaptive_kernelIllf21rocsparse_complex_numIfES2_S2_EEvbT_S3_PKS3_NS_24const_host_device_scalarIT4_EES5_PKT0_PKT1_PKT2_S8_PT3_21rocsparse_index_base_b,comdat
	.globl	_ZN9rocsparseL27csrmvn_symm_adaptive_kernelIllf21rocsparse_complex_numIfES2_S2_EEvbT_S3_PKS3_NS_24const_host_device_scalarIT4_EES5_PKT0_PKT1_PKT2_S8_PT3_21rocsparse_index_base_b ; -- Begin function _ZN9rocsparseL27csrmvn_symm_adaptive_kernelIllf21rocsparse_complex_numIfES2_S2_EEvbT_S3_PKS3_NS_24const_host_device_scalarIT4_EES5_PKT0_PKT1_PKT2_S8_PT3_21rocsparse_index_base_b
	.p2align	8
	.type	_ZN9rocsparseL27csrmvn_symm_adaptive_kernelIllf21rocsparse_complex_numIfES2_S2_EEvbT_S3_PKS3_NS_24const_host_device_scalarIT4_EES5_PKT0_PKT1_PKT2_S8_PT3_21rocsparse_index_base_b,@function
_ZN9rocsparseL27csrmvn_symm_adaptive_kernelIllf21rocsparse_complex_numIfES2_S2_EEvbT_S3_PKS3_NS_24const_host_device_scalarIT4_EES5_PKT0_PKT1_PKT2_S8_PT3_21rocsparse_index_base_b: ; @_ZN9rocsparseL27csrmvn_symm_adaptive_kernelIllf21rocsparse_complex_numIfES2_S2_EEvbT_S3_PKS3_NS_24const_host_device_scalarIT4_EES5_PKT0_PKT1_PKT2_S8_PT3_21rocsparse_index_base_b
; %bb.0:
	s_load_dwordx2 s[30:31], s[4:5], 0x58
	s_load_dwordx2 s[8:9], s[4:5], 0x20
	;; [unrolled: 1-line block ×3, first 2 shown]
	s_waitcnt lgkmcnt(0)
	s_bitcmp1_b32 s31, 0
	s_cselect_b64 s[0:1], -1, 0
	s_xor_b64 s[10:11], s[0:1], -1
	s_and_b64 vcc, exec, s[0:1]
	v_mov_b32_e32 v2, s8
	s_cbranch_vccnz .LBB89_2
; %bb.1:
	v_pk_mov_b32 v[2:3], s[8:9], s[8:9] op_sel:[0,1]
	flat_load_dword v2, v[2:3]
.LBB89_2:
	v_cndmask_b32_e64 v1, 0, 1, s[10:11]
	v_cmp_ne_u32_e64 s[0:1], 1, v1
	s_andn2_b64 vcc, exec, s[10:11]
	v_mov_b32_e32 v3, s9
	s_cbranch_vccz .LBB89_12
; %bb.3:
	s_and_b64 vcc, exec, s[0:1]
	v_mov_b32_e32 v1, s2
	s_cbranch_vccz .LBB89_13
.LBB89_4:
	s_and_b64 vcc, exec, s[0:1]
	v_mov_b32_e32 v4, s3
	s_cbranch_vccnz .LBB89_6
.LBB89_5:
	v_pk_mov_b32 v[4:5], s[2:3], s[2:3] op_sel:[0,1]
	flat_load_dword v4, v[4:5] offset:4
.LBB89_6:
	s_waitcnt vmcnt(0) lgkmcnt(0)
	v_cmp_eq_f32_e32 vcc, 0, v2
	v_cmp_eq_f32_e64 s[0:1], 0, v3
	s_and_b64 s[8:9], vcc, s[0:1]
	s_mov_b64 s[0:1], -1
	s_and_saveexec_b64 s[2:3], s[8:9]
; %bb.7:
	v_cmp_neq_f32_e32 vcc, 1.0, v1
	v_and_b32_e32 v1, 0x7fffffff, v4
	v_cmp_ne_u32_e64 s[0:1], 0, v1
	s_or_b64 s[0:1], vcc, s[0:1]
	s_orn2_b64 s[0:1], s[0:1], exec
; %bb.8:
	s_or_b64 exec, exec, s[2:3]
	s_and_saveexec_b64 s[2:3], s[0:1]
	s_cbranch_execz .LBB89_216
; %bb.9:
	s_load_dwordx2 s[0:1], s[4:5], 0x18
	s_mov_b32 s31, 0
	s_mov_b32 s2, s31
	;; [unrolled: 1-line block ×3, first 2 shown]
	s_ashr_i32 s7, s6, 31
	v_pk_mov_b32 v[4:5], s[2:3], s[2:3] op_sel:[0,1]
	s_lshl_b64 s[2:3], s[6:7], 3
	s_waitcnt lgkmcnt(0)
	s_add_u32 s0, s0, s2
	v_lshlrev_b32_e32 v28, 3, v0
	s_addc_u32 s1, s1, s3
	ds_write2st64_b64 v28, v[4:5], v[4:5] offset1:4
	ds_write2st64_b64 v28, v[4:5], v[4:5] offset0:8 offset1:12
	s_waitcnt lgkmcnt(0)
	s_barrier
	s_load_dwordx4 s[24:27], s[0:1], 0x0
	s_load_dwordx8 s[16:23], s[4:5], 0x28
	s_load_dwordx2 s[14:15], s[4:5], 0x50
	s_mov_b64 s[0:1], -1
	s_waitcnt lgkmcnt(0)
	s_sub_u32 s28, s26, s24
	s_subb_u32 s29, s27, s25
	v_cmp_gt_i64_e64 s[2:3], s[28:29], 2
	s_and_b64 vcc, exec, s[2:3]
	s_cbranch_vccnz .LBB89_57
; %bb.10:
	v_pk_mov_b32 v[4:5], s[24:25], s[24:25] op_sel:[0,1]
	v_cmp_gt_i64_e32 vcc, s[26:27], v[4:5]
	v_subrev_co_u32_e64 v1, s[0:1], s30, v0
	v_subb_co_u32_e64 v16, s[0:1], 0, 0, s[0:1]
	s_cbranch_vccnz .LBB89_14
; %bb.11:
	s_lshl_b64 s[0:1], s[24:25], 3
	s_add_u32 s0, s16, s0
	s_addc_u32 s1, s17, s1
	s_load_dwordx2 s[34:35], s[0:1], 0x0
	s_cbranch_execz .LBB89_15
	s_branch .LBB89_44
.LBB89_12:
	v_pk_mov_b32 v[4:5], s[8:9], s[8:9] op_sel:[0,1]
	flat_load_dword v3, v[4:5] offset:4
	s_and_b64 vcc, exec, s[0:1]
	v_mov_b32_e32 v1, s2
	s_cbranch_vccnz .LBB89_4
.LBB89_13:
	v_pk_mov_b32 v[4:5], s[2:3], s[2:3] op_sel:[0,1]
	flat_load_dword v1, v[4:5]
	s_and_b64 vcc, exec, s[0:1]
	v_mov_b32_e32 v4, s3
	s_cbranch_vccz .LBB89_5
	s_branch .LBB89_6
.LBB89_14:
                                        ; implicit-def: $sgpr34_sgpr35
.LBB89_15:
	s_lshl_b64 s[12:13], s[24:25], 3
	s_add_u32 s12, s16, s12
	s_addc_u32 s13, s17, s13
	s_waitcnt lgkmcnt(0)
	s_load_dwordx2 s[34:35], s[12:13], 0x0
	s_movk_i32 s33, 0x100
	s_add_u32 s48, s16, 8
	v_cmp_gt_u32_e64 s[0:1], s33, v0
	v_cmp_gt_u32_e64 s[2:3], 64, v0
	;; [unrolled: 1-line block ×4, first 2 shown]
	v_cmp_eq_u32_e64 s[10:11], 0, v0
	s_addc_u32 s49, s17, 0
	v_mov_b32_e32 v17, s31
	v_mov_b32_e32 v18, s23
	;; [unrolled: 1-line block ×3, first 2 shown]
	v_bfrev_b32_e32 v6, 1
	s_waitcnt lgkmcnt(0)
	s_mov_b64 s[38:39], s[34:35]
	s_mov_b64 s[36:37], s[24:25]
	s_branch .LBB89_17
.LBB89_16:                              ;   in Loop: Header=BB89_17 Depth=1
	s_or_b64 exec, exec, s[12:13]
	s_add_u32 s36, s36, 1
	s_addc_u32 s37, s37, 0
	v_pk_mov_b32 v[8:9], s[26:27], s[26:27] op_sel:[0,1]
	v_cmp_ge_i64_e32 vcc, s[36:37], v[8:9]
	s_cbranch_vccnz .LBB89_44
.LBB89_17:                              ; =>This Loop Header: Depth=1
                                        ;     Child Loop BB89_19 Depth 2
                                        ;     Child Loop BB89_33 Depth 2
	;; [unrolled: 1-line block ×5, first 2 shown]
	s_lshl_b64 s[40:41], s[36:37], 3
	s_mov_b64 s[12:13], s[38:39]
	s_add_u32 s38, s48, s40
	s_addc_u32 s39, s49, s41
	s_load_dwordx2 s[38:39], s[38:39], 0x0
	v_mov_b32_e32 v4, s13
	v_add_co_u32_e32 v8, vcc, s12, v1
	v_addc_co_u32_e32 v9, vcc, v4, v16, vcc
	s_waitcnt lgkmcnt(0)
	s_sub_u32 s42, s38, s30
	s_subb_u32 s43, s39, 0
	v_cmp_gt_i64_e32 vcc, s[42:43], v[8:9]
	v_mov_b32_e32 v11, v5
	v_mov_b32_e32 v10, v5
	s_and_saveexec_b64 s[44:45], vcc
	s_cbranch_execz .LBB89_21
; %bb.18:                               ;   in Loop: Header=BB89_17 Depth=1
	v_lshlrev_b64 v[10:11], 3, v[8:9]
	v_mov_b32_e32 v4, s19
	v_add_co_u32_e32 v12, vcc, s18, v10
	v_addc_co_u32_e32 v13, vcc, v4, v11, vcc
	v_lshlrev_b64 v[10:11], 2, v[8:9]
	v_mov_b32_e32 v4, s21
	v_add_co_u32_e32 v14, vcc, s20, v10
	v_mov_b32_e32 v10, 0
	v_addc_co_u32_e32 v15, vcc, v4, v11, vcc
	s_mov_b64 s[46:47], 0
	v_mov_b32_e32 v11, v10
.LBB89_19:                              ;   Parent Loop BB89_17 Depth=1
                                        ; =>  This Inner Loop Header: Depth=2
	global_load_dwordx2 v[20:21], v[12:13], off
	global_load_dword v4, v[14:15], off
	s_waitcnt vmcnt(1)
	v_subrev_co_u32_e32 v20, vcc, s30, v20
	v_subb_co_u32_e32 v21, vcc, v21, v17, vcc
	v_lshlrev_b64 v[20:21], 3, v[20:21]
	v_add_co_u32_e32 v20, vcc, s22, v20
	v_addc_co_u32_e32 v21, vcc, v18, v21, vcc
	global_load_dwordx2 v[20:21], v[20:21], off
	v_add_co_u32_e32 v8, vcc, s33, v8
	v_addc_co_u32_e32 v9, vcc, 0, v9, vcc
	v_add_co_u32_e32 v12, vcc, 0x800, v12
	v_addc_co_u32_e32 v13, vcc, 0, v13, vcc
	v_add_co_u32_e32 v14, vcc, 0x400, v14
	v_cmp_le_i64_e64 s[12:13], s[42:43], v[8:9]
	s_waitcnt vmcnt(1)
	v_mov_b32_e32 v7, v4
	v_addc_co_u32_e32 v15, vcc, 0, v15, vcc
	s_or_b64 s[46:47], s[12:13], s[46:47]
	s_waitcnt vmcnt(0)
	v_pk_fma_f32 v[10:11], v[20:21], v[4:5], v[10:11] op_sel_hi:[0,1,1]
	v_pk_fma_f32 v[10:11], v[20:21], v[6:7], v[10:11] op_sel:[1,0,0]
	s_andn2_b64 exec, exec, s[46:47]
	s_cbranch_execnz .LBB89_19
; %bb.20:                               ;   in Loop: Header=BB89_17 Depth=1
	s_or_b64 exec, exec, s[46:47]
.LBB89_21:                              ;   in Loop: Header=BB89_17 Depth=1
	s_or_b64 exec, exec, s[44:45]
	ds_write_b64 v28, v[10:11]
	s_waitcnt lgkmcnt(0)
	s_barrier
	s_and_saveexec_b64 s[12:13], s[0:1]
	s_cbranch_execz .LBB89_23
; %bb.22:                               ;   in Loop: Header=BB89_17 Depth=1
	ds_read2st64_b64 v[8:11], v28 offset1:4
	ds_read2st64_b64 v[12:15], v28 offset0:8 offset1:12
	s_waitcnt lgkmcnt(0)
	v_pk_add_f32 v[10:11], v[12:13], v[10:11]
	v_pk_add_f32 v[10:11], v[10:11], v[14:15]
	;; [unrolled: 1-line block ×3, first 2 shown]
	ds_write_b64 v28, v[8:9]
.LBB89_23:                              ;   in Loop: Header=BB89_17 Depth=1
	s_or_b64 exec, exec, s[12:13]
	s_waitcnt lgkmcnt(0)
	s_barrier
	s_and_saveexec_b64 s[12:13], s[2:3]
	s_cbranch_execz .LBB89_25
; %bb.24:                               ;   in Loop: Header=BB89_17 Depth=1
	ds_read2st64_b64 v[8:11], v28 offset1:1
	ds_read2st64_b64 v[12:15], v28 offset0:2 offset1:3
	s_waitcnt lgkmcnt(0)
	v_pk_add_f32 v[10:11], v[12:13], v[10:11]
	v_pk_add_f32 v[10:11], v[10:11], v[14:15]
	;; [unrolled: 1-line block ×3, first 2 shown]
	ds_write_b64 v28, v[8:9]
.LBB89_25:                              ;   in Loop: Header=BB89_17 Depth=1
	s_or_b64 exec, exec, s[12:13]
	s_waitcnt lgkmcnt(0)
	s_barrier
	s_and_saveexec_b64 s[12:13], s[6:7]
	s_cbranch_execz .LBB89_27
; %bb.26:                               ;   in Loop: Header=BB89_17 Depth=1
	ds_read2_b64 v[8:11], v28 offset1:16
	ds_read2_b64 v[12:15], v28 offset0:32 offset1:48
	s_waitcnt lgkmcnt(0)
	v_pk_add_f32 v[10:11], v[12:13], v[10:11]
	v_pk_add_f32 v[10:11], v[10:11], v[14:15]
	;; [unrolled: 1-line block ×3, first 2 shown]
	ds_write_b64 v28, v[8:9]
.LBB89_27:                              ;   in Loop: Header=BB89_17 Depth=1
	s_or_b64 exec, exec, s[12:13]
	s_waitcnt lgkmcnt(0)
	s_barrier
	s_and_saveexec_b64 s[12:13], s[8:9]
	s_cbranch_execz .LBB89_29
; %bb.28:                               ;   in Loop: Header=BB89_17 Depth=1
	ds_read2_b64 v[8:11], v28 offset1:4
	ds_read2_b64 v[12:15], v28 offset0:8 offset1:12
	s_waitcnt lgkmcnt(0)
	v_pk_add_f32 v[10:11], v[12:13], v[10:11]
	v_pk_add_f32 v[10:11], v[10:11], v[14:15]
	;; [unrolled: 1-line block ×3, first 2 shown]
	ds_write_b64 v28, v[8:9]
.LBB89_29:                              ;   in Loop: Header=BB89_17 Depth=1
	s_or_b64 exec, exec, s[12:13]
	s_waitcnt lgkmcnt(0)
	s_barrier
	s_and_saveexec_b64 s[12:13], s[10:11]
	s_cbranch_execz .LBB89_31
; %bb.30:                               ;   in Loop: Header=BB89_17 Depth=1
	ds_read_b128 v[8:11], v5 offset:16
	ds_read_b64 v[12:13], v5 offset:8
	ds_read_b64 v[14:15], v28
	s_waitcnt lgkmcnt(1)
	v_pk_add_f32 v[8:9], v[8:9], v[12:13]
	v_pk_add_f32 v[8:9], v[8:9], v[10:11]
	s_waitcnt lgkmcnt(0)
	v_pk_add_f32 v[8:9], v[8:9], v[14:15]
	ds_write_b64 v28, v[8:9]
.LBB89_31:                              ;   in Loop: Header=BB89_17 Depth=1
	s_or_b64 exec, exec, s[12:13]
	s_waitcnt lgkmcnt(0)
	s_barrier
	s_and_saveexec_b64 s[12:13], s[10:11]
	s_cbranch_execz .LBB89_16
; %bb.32:                               ;   in Loop: Header=BB89_17 Depth=1
	ds_read_b64 v[8:9], v5
	s_mov_b64 s[42:43], exec
	v_bfrev_b32_e32 v4, 1
	s_waitcnt lgkmcnt(0)
	v_mul_f32_e64 v7, v9, -v3
	v_fmac_f32_e32 v7, v2, v8
.LBB89_33:                              ;   Parent Loop BB89_17 Depth=1
                                        ; =>  This Inner Loop Header: Depth=2
	s_ff1_i32_b64 s44, s[42:43]
	v_readlane_b32 s46, v7, s44
	s_lshl_b64 s[44:45], 1, s44
	s_andn2_b64 s[42:43], s[42:43], s[44:45]
	s_cmp_lg_u64 s[42:43], 0
	v_add_f32_e32 v4, s46, v4
	s_cbranch_scc1 .LBB89_33
; %bb.34:                               ;   in Loop: Header=BB89_17 Depth=1
	v_mbcnt_lo_u32_b32 v7, exec_lo, 0
	s_add_u32 s40, s14, s40
	v_mbcnt_hi_u32_b32 v7, exec_hi, v7
	s_addc_u32 s41, s15, s41
	v_cmp_eq_u32_e32 vcc, 0, v7
	s_and_saveexec_b64 s[42:43], vcc
	s_xor_b64 s[42:43], exec, s[42:43]
	s_cbranch_execz .LBB89_38
; %bb.35:                               ;   in Loop: Header=BB89_17 Depth=1
	global_load_dword v11, v5, s[40:41]
	s_mov_b64 s[44:45], 0
.LBB89_36:                              ;   Parent Loop BB89_17 Depth=1
                                        ; =>  This Inner Loop Header: Depth=2
	s_waitcnt vmcnt(0)
	v_add_f32_e32 v10, v11, v4
	global_atomic_cmpswap v7, v5, v[10:11], s[40:41] glc
	s_waitcnt vmcnt(0)
	v_cmp_eq_u32_e32 vcc, v7, v11
	s_or_b64 s[44:45], vcc, s[44:45]
	v_mov_b32_e32 v11, v7
	s_andn2_b64 exec, exec, s[44:45]
	s_cbranch_execnz .LBB89_36
; %bb.37:                               ;   in Loop: Header=BB89_17 Depth=1
	s_or_b64 exec, exec, s[44:45]
.LBB89_38:                              ;   in Loop: Header=BB89_17 Depth=1
	s_or_b64 exec, exec, s[42:43]
	v_mul_f32_e32 v7, v9, v2
	s_mov_b64 s[42:43], exec
	v_fmac_f32_e32 v7, v3, v8
	v_bfrev_b32_e32 v4, 1
.LBB89_39:                              ;   Parent Loop BB89_17 Depth=1
                                        ; =>  This Inner Loop Header: Depth=2
	s_ff1_i32_b64 s44, s[42:43]
	v_readlane_b32 s46, v7, s44
	s_lshl_b64 s[44:45], 1, s44
	s_andn2_b64 s[42:43], s[42:43], s[44:45]
	s_cmp_lg_u64 s[42:43], 0
	v_add_f32_e32 v4, s46, v4
	s_cbranch_scc1 .LBB89_39
; %bb.40:                               ;   in Loop: Header=BB89_17 Depth=1
	v_mbcnt_lo_u32_b32 v7, exec_lo, 0
	v_mbcnt_hi_u32_b32 v7, exec_hi, v7
	v_cmp_eq_u32_e32 vcc, 0, v7
	s_and_saveexec_b64 s[42:43], vcc
	s_xor_b64 s[42:43], exec, s[42:43]
	s_cbranch_execz .LBB89_16
; %bb.41:                               ;   in Loop: Header=BB89_17 Depth=1
	global_load_dword v9, v5, s[40:41] offset:4
	s_mov_b64 s[42:43], 0
.LBB89_42:                              ;   Parent Loop BB89_17 Depth=1
                                        ; =>  This Inner Loop Header: Depth=2
	s_waitcnt vmcnt(0)
	v_add_f32_e32 v8, v9, v4
	global_atomic_cmpswap v7, v5, v[8:9], s[40:41] offset:4 glc
	s_waitcnt vmcnt(0)
	v_cmp_eq_u32_e32 vcc, v7, v9
	s_or_b64 s[42:43], vcc, s[42:43]
	v_mov_b32_e32 v9, v7
	s_andn2_b64 exec, exec, s[42:43]
	s_cbranch_execnz .LBB89_42
; %bb.43:                               ;   in Loop: Header=BB89_17 Depth=1
	s_or_b64 exec, exec, s[42:43]
	s_branch .LBB89_16
.LBB89_44:
	s_lshl_b64 s[0:1], s[26:27], 3
	s_add_u32 s0, s16, s0
	s_addc_u32 s1, s17, s1
	s_load_dwordx2 s[0:1], s[0:1], 0x0
	s_waitcnt lgkmcnt(0)
	v_mov_b32_e32 v5, s35
	v_add_co_u32_e32 v4, vcc, s34, v1
	v_addc_co_u32_e32 v5, vcc, v5, v16, vcc
	s_sub_u32 s6, s0, s30
	s_subb_u32 s7, s1, 0
	v_cmp_gt_i64_e32 vcc, s[6:7], v[4:5]
	s_and_saveexec_b64 s[8:9], vcc
	s_cbranch_execz .LBB89_56
; %bb.45:
	s_add_u32 s10, s26, -1
	s_addc_u32 s11, s27, -1
	s_add_u32 s0, s26, -2
	s_addc_u32 s1, s27, -1
	v_pk_mov_b32 v[6:7], s[24:25], s[24:25] op_sel:[0,1]
	s_cmp_lg_u64 s[0:1], s[24:25]
	v_cmp_gt_i64_e32 vcc, s[10:11], v[6:7]
	s_cselect_b64 s[0:1], -1, 0
	s_and_b64 s[0:1], vcc, s[0:1]
	v_cndmask_b32_e64 v6, 0, 1, s[0:1]
	v_mul_f32_e32 v1, 0x80000000, v3
	v_mul_f32_e32 v12, 0, v2
	s_mov_b64 s[12:13], 0
	v_cmp_ne_u32_e64 s[0:1], 1, v6
	v_mov_b32_e32 v13, s17
	v_mov_b32_e32 v14, s31
	;; [unrolled: 1-line block ×3, first 2 shown]
	s_branch .LBB89_47
.LBB89_46:                              ;   in Loop: Header=BB89_47 Depth=1
	s_or_b64 exec, exec, s[2:3]
	v_add_co_u32_e32 v4, vcc, 0x100, v4
	v_addc_co_u32_e32 v5, vcc, 0, v5, vcc
	v_cmp_le_i64_e32 vcc, s[6:7], v[4:5]
	s_or_b64 s[12:13], vcc, s[12:13]
	s_andn2_b64 exec, exec, s[12:13]
	s_cbranch_execz .LBB89_56
.LBB89_47:                              ; =>This Loop Header: Depth=1
                                        ;     Child Loop BB89_49 Depth 2
                                        ;     Child Loop BB89_53 Depth 2
	;; [unrolled: 1-line block ×3, first 2 shown]
	s_and_b64 vcc, exec, s[0:1]
	v_pk_mov_b32 v[6:7], s[24:25], s[24:25] op_sel:[0,1]
	v_pk_mov_b32 v[8:9], s[10:11], s[10:11] op_sel:[0,1]
	s_cbranch_vccnz .LBB89_51
; %bb.48:                               ;   in Loop: Header=BB89_47 Depth=1
	s_mov_b64 s[34:35], 0
	v_pk_mov_b32 v[6:7], s[24:25], s[24:25] op_sel:[0,1]
	v_pk_mov_b32 v[8:9], s[10:11], s[10:11] op_sel:[0,1]
.LBB89_49:                              ;   Parent Loop BB89_47 Depth=1
                                        ; =>  This Inner Loop Header: Depth=2
	v_add_co_u32_e32 v10, vcc, v8, v6
	v_addc_co_u32_e32 v11, vcc, v9, v7, vcc
	v_lshrrev_b32_e32 v16, 31, v11
	v_add_co_u32_e32 v10, vcc, v10, v16
	v_addc_co_u32_e32 v11, vcc, 0, v11, vcc
	v_ashrrev_i64 v[10:11], 1, v[10:11]
	v_lshlrev_b64 v[16:17], 3, v[10:11]
	v_mov_b32_e32 v18, s17
	v_add_co_u32_e32 v16, vcc, s16, v16
	v_addc_co_u32_e32 v17, vcc, v18, v17, vcc
	global_load_dwordx2 v[16:17], v[16:17], off
	v_mov_b32_e32 v18, s31
	s_waitcnt vmcnt(0)
	v_subrev_co_u32_e32 v16, vcc, s30, v16
	v_subb_co_u32_e32 v17, vcc, v17, v18, vcc
	v_cmp_gt_i64_e32 vcc, v[16:17], v[4:5]
	v_cndmask_b32_e32 v8, v8, v10, vcc
	v_cndmask_b32_e32 v9, v9, v11, vcc
	;; [unrolled: 1-line block ×3, first 2 shown]
	v_add_co_u32_e64 v10, s[2:3], -1, v8
	v_cndmask_b32_e32 v7, v11, v7, vcc
	v_addc_co_u32_e64 v11, s[2:3], -1, v9, s[2:3]
	v_cmp_ge_i64_e32 vcc, v[6:7], v[8:9]
	v_cmp_eq_u64_e64 s[2:3], v[6:7], v[10:11]
	s_or_b64 s[2:3], vcc, s[2:3]
	s_and_b64 s[2:3], exec, s[2:3]
	s_or_b64 s[34:35], s[2:3], s[34:35]
	s_andn2_b64 exec, exec, s[34:35]
	s_cbranch_execnz .LBB89_49
; %bb.50:                               ;   in Loop: Header=BB89_47 Depth=1
	s_or_b64 exec, exec, s[34:35]
.LBB89_51:                              ;   in Loop: Header=BB89_47 Depth=1
	v_lshlrev_b64 v[10:11], 3, v[8:9]
	v_add_co_u32_e32 v10, vcc, s16, v10
	v_addc_co_u32_e32 v11, vcc, v13, v11, vcc
	global_load_dwordx2 v[10:11], v[10:11], off
	v_lshlrev_b64 v[16:17], 3, v[4:5]
	v_add_co_u32_e32 v16, vcc, s18, v16
	v_addc_co_u32_e32 v17, vcc, v15, v17, vcc
	global_load_dwordx2 v[16:17], v[16:17], off
	s_waitcnt vmcnt(1)
	v_subrev_co_u32_e32 v10, vcc, s30, v10
	v_subb_co_u32_e32 v11, vcc, v11, v14, vcc
	v_cmp_gt_i64_e32 vcc, v[10:11], v[4:5]
	v_cndmask_b32_e32 v7, v9, v7, vcc
	v_cndmask_b32_e32 v6, v8, v6, vcc
	s_waitcnt vmcnt(0)
	v_subrev_co_u32_e32 v8, vcc, s30, v16
	v_subb_co_u32_e32 v9, vcc, v17, v14, vcc
	v_cmp_ne_u64_e32 vcc, v[8:9], v[6:7]
	s_and_saveexec_b64 s[2:3], vcc
	s_cbranch_execz .LBB89_46
; %bb.52:                               ;   in Loop: Header=BB89_47 Depth=1
	v_lshlrev_b64 v[10:11], 3, v[8:9]
	v_lshlrev_b64 v[8:9], 2, v[4:5]
	v_mov_b32_e32 v17, s21
	v_add_co_u32_e32 v8, vcc, s20, v8
	v_addc_co_u32_e32 v9, vcc, v17, v9, vcc
	v_lshlrev_b64 v[6:7], 3, v[6:7]
	global_load_dword v17, v[8:9], off
	v_mov_b32_e32 v8, s23
	v_add_co_u32_e32 v6, vcc, s22, v6
	v_addc_co_u32_e32 v7, vcc, v8, v7, vcc
	v_mov_b32_e32 v16, s15
	global_load_dwordx2 v[8:9], v[6:7], off
	v_add_co_u32_e32 v6, vcc, s14, v10
	v_addc_co_u32_e32 v7, vcc, v16, v11, vcc
	global_load_dword v11, v[6:7], off
	s_mov_b64 s[34:35], 0
	s_waitcnt vmcnt(2)
	v_fma_f32 v16, v2, v17, v1
	v_fma_f32 v17, v3, v17, v12
	s_waitcnt vmcnt(1)
	v_mul_f32_e64 v18, v9, -v17
	v_fmac_f32_e32 v18, v16, v8
.LBB89_53:                              ;   Parent Loop BB89_47 Depth=1
                                        ; =>  This Inner Loop Header: Depth=2
	s_waitcnt vmcnt(0)
	v_add_f32_e32 v10, v11, v18
	global_atomic_cmpswap v10, v[6:7], v[10:11], off glc
	s_waitcnt vmcnt(0)
	v_cmp_eq_u32_e32 vcc, v10, v11
	s_or_b64 s[34:35], vcc, s[34:35]
	v_mov_b32_e32 v11, v10
	s_andn2_b64 exec, exec, s[34:35]
	s_cbranch_execnz .LBB89_53
; %bb.54:                               ;   in Loop: Header=BB89_47 Depth=1
	s_or_b64 exec, exec, s[34:35]
	global_load_dword v11, v[6:7], off offset:4
	v_mul_f32_e32 v9, v16, v9
	v_fmac_f32_e32 v9, v17, v8
	s_mov_b64 s[34:35], 0
.LBB89_55:                              ;   Parent Loop BB89_47 Depth=1
                                        ; =>  This Inner Loop Header: Depth=2
	s_waitcnt vmcnt(0)
	v_add_f32_e32 v10, v11, v9
	global_atomic_cmpswap v8, v[6:7], v[10:11], off offset:4 glc
	s_waitcnt vmcnt(0)
	v_cmp_eq_u32_e32 vcc, v8, v11
	s_or_b64 s[34:35], vcc, s[34:35]
	v_mov_b32_e32 v11, v8
	s_andn2_b64 exec, exec, s[34:35]
	s_cbranch_execnz .LBB89_55
	s_branch .LBB89_46
.LBB89_56:
	s_or_b64 exec, exec, s[8:9]
	s_mov_b64 s[0:1], 0
.LBB89_57:
	s_and_b64 vcc, exec, s[0:1]
	s_cbranch_vccz .LBB89_216
; %bb.58:
	s_load_dword s0, s[4:5], 0x6c
	s_mov_b32 s31, 0
	v_pk_mov_b32 v[4:5], s[28:29], s[28:29] op_sel:[0,1]
	s_mov_b32 s37, s31
	s_mov_b64 s[38:39], 0
	s_waitcnt lgkmcnt(0)
	s_and_b32 s36, s0, 0xffff
	v_cmp_lt_u64_e32 vcc, s[36:37], v[4:5]
	s_cbranch_vccnz .LBB89_60
; %bb.59:
	v_cvt_f32_u32_e32 v1, s28
	s_sub_i32 s0, 0, s28
	v_rcp_iflag_f32_e32 v1, v1
	v_mul_f32_e32 v1, 0x4f7ffffe, v1
	v_cvt_u32_f32_e32 v1, v1
	v_readfirstlane_b32 s1, v1
	s_mul_i32 s0, s0, s1
	s_mul_hi_u32 s0, s1, s0
	s_add_i32 s1, s1, s0
	s_mul_hi_u32 s0, s36, s1
	s_mul_i32 s2, s0, s28
	s_sub_i32 s2, s36, s2
	s_add_i32 s1, s0, 1
	s_sub_i32 s3, s2, s28
	s_cmp_ge_u32 s2, s28
	s_cselect_b32 s0, s1, s0
	s_cselect_b32 s2, s3, s2
	s_add_i32 s1, s0, 1
	s_cmp_ge_u32 s2, s28
	s_cselect_b32 s38, s1, s0
.LBB89_60:
	s_lshl_b64 s[0:1], s[24:25], 3
	s_add_u32 s34, s16, s0
	s_addc_u32 s35, s17, s1
	s_load_dwordx2 s[12:13], s[34:35], 0x0
	s_load_dwordx4 s[8:11], s[4:5], 0x8
	v_subrev_co_u32_e32 v4, vcc, s30, v0
	v_subb_co_u32_e64 v5, s[0:1], 0, 0, vcc
	s_waitcnt lgkmcnt(0)
	v_mov_b32_e32 v7, s13
	v_add_co_u32_e32 v6, vcc, s12, v4
	v_addc_co_u32_e32 v7, vcc, v7, v5, vcc
	v_add_co_u32_e32 v8, vcc, 0x300, v6
	v_addc_co_u32_e32 v9, vcc, 0, v7, vcc
	v_mov_b32_e32 v1, 0
	v_cmp_le_i64_e64 s[0:1], s[8:9], v[8:9]
	s_and_saveexec_b64 s[2:3], s[0:1]
	s_xor_b64 s[6:7], exec, s[2:3]
	s_cbranch_execnz .LBB89_63
; %bb.61:
	s_andn2_saveexec_b64 s[2:3], s[6:7]
	s_cbranch_execnz .LBB89_76
.LBB89_62:
	s_or_b64 exec, exec, s[2:3]
	v_cmp_gt_i64_e32 vcc, s[10:11], v[0:1]
	s_and_saveexec_b64 s[8:9], vcc
	s_cbranch_execnz .LBB89_77
	s_branch .LBB89_86
.LBB89_63:
	s_lshl_b64 s[2:3], s[26:27], 3
	s_add_u32 s2, s16, s2
	s_addc_u32 s3, s17, s3
	s_load_dwordx2 s[2:3], s[2:3], 0x0
	s_waitcnt lgkmcnt(0)
	s_sub_u32 s8, s2, s12
	s_subb_u32 s9, s3, s13
	v_cmp_gt_i64_e32 vcc, s[8:9], v[0:1]
	s_and_saveexec_b64 s[40:41], vcc
	s_cbranch_execz .LBB89_75
; %bb.64:
	s_mov_b32 s4, 0
	s_brev_b32 s5, 1
	v_pk_mul_f32 v[4:5], v[2:3], s[4:5]
	s_not_b64 s[4:5], s[12:13]
	s_add_u32 s2, s2, s4
	s_addc_u32 s3, s3, s5
	v_mov_b32_e32 v11, s3
	v_sub_co_u32_e32 v10, vcc, s2, v0
	v_subbrev_co_u32_e32 v11, vcc, 0, v11, vcc
	s_mov_b64 s[2:3], 0x1eff
	v_cmp_lt_u64_e32 vcc, s[2:3], v[10:11]
	s_mov_b64 s[2:3], 0
                                        ; implicit-def: $vgpr14_vgpr15
                                        ; implicit-def: $vgpr29
	s_and_saveexec_b64 s[4:5], vcc
	s_xor_b64 s[42:43], exec, s[4:5]
	s_cbranch_execnz .LBB89_67
; %bb.65:
	s_andn2_saveexec_b64 s[4:5], s[42:43]
	s_cbranch_execnz .LBB89_72
.LBB89_66:
	s_or_b64 exec, exec, s[4:5]
	s_and_b64 exec, exec, s[2:3]
	s_cbranch_execnz .LBB89_73
	s_branch .LBB89_75
.LBB89_67:
	v_lshlrev_b32_e32 v29, 3, v0
	v_alignbit_b32 v12, v11, v10, 8
	s_mov_b32 s2, 0x1fffff
	s_mov_b32 s4, -1
	v_cmp_lt_u32_e32 vcc, s2, v12
	v_lshl_or_b32 v12, v12, 11, v29
	s_movk_i32 s5, 0xff
	v_cmp_lt_u32_e64 s[2:3], v12, v29
	v_or_b32_e32 v13, 4, v29
	v_or_b32_e32 v12, 4, v12
	v_cmp_lt_u64_e64 s[4:5], s[4:5], v[10:11]
	s_or_b64 s[44:45], s[2:3], vcc
	v_cmp_lt_u32_e64 s[2:3], v12, v13
	s_or_b64 s[4:5], vcc, s[4:5]
	s_or_b64 s[2:3], s[4:5], s[2:3]
	s_or_b64 s[4:5], s[44:45], s[2:3]
	s_mov_b64 s[2:3], -1
	s_xor_b64 s[44:45], s[4:5], -1
	v_pk_mov_b32 v[14:15], 0, 0
	s_and_saveexec_b64 s[4:5], s[44:45]
	s_cbranch_execz .LBB89_71
; %bb.68:
	v_lshrrev_b64 v[10:11], 8, v[10:11]
	v_add_co_u32_e32 v10, vcc, 1, v10
	v_addc_co_u32_e32 v11, vcc, 0, v11, vcc
	v_lshlrev_b64 v[24:25], 2, v[6:7]
	v_mov_b32_e32 v26, s21
	v_add_co_u32_e32 v24, vcc, s20, v24
	v_addc_co_u32_e32 v25, vcc, v25, v26, vcc
	s_movk_i32 s2, 0x400
	v_and_b32_e32 v12, -2, v10
	v_mov_b32_e32 v13, v11
	v_add_co_u32_e32 v24, vcc, s2, v24
	v_mov_b32_e32 v14, v2
	v_mov_b32_e32 v15, v2
	;; [unrolled: 1-line block ×10, first 2 shown]
	v_addc_co_u32_e32 v25, vcc, 0, v25, vcc
	s_mov_b64 s[46:47], 0x100
	s_mov_b64 s[44:45], 0
	v_pk_mov_b32 v[26:27], v[12:13], v[12:13] op_sel:[0,1]
	s_mov_b64 s[48:49], 0
.LBB89_69:                              ; =>This Inner Loop Header: Depth=1
	global_load_dword v30, v[24:25], off offset:-1024
	global_load_dword v31, v[24:25], off
	v_add_lshl_u32 v36, v22, s48, 3
	s_add_u32 s48, s48, 0x200
	v_add_co_u32_e32 v24, vcc, 0x800, v24
	v_add_co_u32_e64 v26, s[2:3], -2, v26
	s_addc_u32 s49, s49, 0
	v_add_lshl_u32 v37, v23, s46, 3
	v_addc_co_u32_e64 v27, s[2:3], -1, v27, s[2:3]
	v_addc_co_u32_e32 v25, vcc, 0, v25, vcc
	s_add_u32 s46, s46, 0x200
	v_cmp_eq_u64_e32 vcc, 0, v[26:27]
	s_addc_u32 s47, s47, 0
	s_or_b64 s[44:45], vcc, s[44:45]
	s_waitcnt vmcnt(0)
	v_pk_fma_f32 v[32:33], v[14:15], v[30:31], v[16:17]
	v_pk_fma_f32 v[30:31], v[18:19], v[30:31], v[20:21]
	v_mov_b32_e32 v34, v32
	v_mov_b32_e32 v35, v30
	;; [unrolled: 1-line block ×3, first 2 shown]
	ds_write_b64 v36, v[34:35]
	ds_write_b64 v37, v[30:31]
	s_andn2_b64 exec, exec, s[44:45]
	s_cbranch_execnz .LBB89_69
; %bb.70:
	s_or_b64 exec, exec, s[44:45]
	v_cmp_ne_u64_e32 vcc, v[10:11], v[12:13]
	v_lshlrev_b64 v[14:15], 8, v[12:13]
	s_orn2_b64 s[2:3], vcc, exec
.LBB89_71:
	s_or_b64 exec, exec, s[4:5]
	s_and_b64 s[2:3], s[2:3], exec
	s_andn2_saveexec_b64 s[4:5], s[42:43]
	s_cbranch_execz .LBB89_66
.LBB89_72:
	v_pk_mov_b32 v[14:15], 0, 0
	s_or_b64 s[2:3], s[2:3], exec
	v_mov_b32_e32 v29, v28
	s_or_b64 exec, exec, s[4:5]
	s_and_b64 exec, exec, s[2:3]
	s_cbranch_execz .LBB89_75
.LBB89_73:
	v_mov_b32_e32 v10, v5
	v_mov_b32_e32 v11, v4
	v_lshlrev_b64 v[4:5], 2, v[14:15]
	v_lshlrev_b64 v[12:13], 2, v[6:7]
	v_add_co_u32_e32 v4, vcc, v4, v12
	v_addc_co_u32_e32 v5, vcc, v5, v13, vcc
	v_mov_b32_e32 v12, s21
	v_add_co_u32_e32 v4, vcc, s20, v4
	v_addc_co_u32_e32 v5, vcc, v12, v5, vcc
	v_add_co_u32_e32 v12, vcc, v14, v0
	v_addc_co_u32_e32 v13, vcc, 0, v15, vcc
	v_lshl_add_u32 v14, v14, 3, v29
	s_mov_b64 s[2:3], 0
.LBB89_74:                              ; =>This Inner Loop Header: Depth=1
	global_load_dword v16, v[4:5], off
	v_add_co_u32_e32 v4, vcc, 0x400, v4
	v_addc_co_u32_e32 v5, vcc, 0, v5, vcc
	v_add_co_u32_e32 v12, vcc, 0x100, v12
	v_addc_co_u32_e32 v13, vcc, 0, v13, vcc
	v_cmp_le_i64_e32 vcc, s[8:9], v[12:13]
	s_or_b64 s[2:3], vcc, s[2:3]
	s_waitcnt vmcnt(0)
	v_pk_fma_f32 v[16:17], v[2:3], v[16:17], v[10:11] op_sel_hi:[1,0,1]
	ds_write_b64 v14, v[16:17]
	v_add_u32_e32 v14, 0x800, v14
	s_andn2_b64 exec, exec, s[2:3]
	s_cbranch_execnz .LBB89_74
.LBB89_75:
	s_or_b64 exec, exec, s[40:41]
                                        ; implicit-def: $vgpr2_vgpr3
	s_andn2_saveexec_b64 s[2:3], s[6:7]
	s_cbranch_execz .LBB89_62
.LBB89_76:
	v_lshlrev_b64 v[4:5], 2, v[6:7]
	v_mov_b32_e32 v10, s21
	v_add_co_u32_e32 v4, vcc, s20, v4
	v_addc_co_u32_e32 v5, vcc, v10, v5, vcc
	global_load_dword v10, v[4:5], off
	global_load_dword v12, v[4:5], off offset:1024
	global_load_dword v14, v[4:5], off offset:2048
	;; [unrolled: 1-line block ×3, first 2 shown]
	s_mov_b32 s4, 0
	s_brev_b32 s5, 1
	v_pk_mul_f32 v[4:5], v[2:3], s[4:5]
	s_waitcnt vmcnt(3)
	v_pk_fma_f32 v[10:11], v[2:3], v[10:11], v[4:5] op_sel:[0,0,1] op_sel_hi:[1,0,0]
	s_waitcnt vmcnt(2)
	v_pk_fma_f32 v[12:13], v[2:3], v[12:13], v[4:5] op_sel:[0,0,1] op_sel_hi:[1,0,0]
	;; [unrolled: 2-line block ×4, first 2 shown]
	ds_write2st64_b64 v28, v[10:11], v[12:13] offset1:4
	ds_write2st64_b64 v28, v[14:15], v[2:3] offset0:8 offset1:12
	s_or_b64 exec, exec, s[2:3]
	v_cmp_gt_i64_e32 vcc, s[10:11], v[0:1]
	s_and_saveexec_b64 s[8:9], vcc
	s_cbranch_execz .LBB89_86
.LBB89_77:
	v_not_b32_e32 v3, v0
	v_not_b32_e32 v2, 0
	v_mov_b32_e32 v5, s11
	v_add_co_u32_e32 v4, vcc, s10, v3
	v_addc_co_u32_e32 v5, vcc, v2, v5, vcc
	s_mov_b64 s[2:3], 0x3100
	s_mov_b64 s[4:5], 0x30ff
	v_cmp_gt_u64_e64 s[2:3], s[2:3], v[4:5]
	v_cmp_lt_u64_e32 vcc, s[4:5], v[4:5]
	v_pk_mov_b32 v[2:3], v[0:1], v[0:1] op_sel:[0,1]
	s_and_saveexec_b64 s[20:21], vcc
	s_cbranch_execz .LBB89_83
; %bb.78:
	v_mov_b32_e32 v16, 0x2000
	v_lshl_add_u32 v2, v0, 3, v16
	v_alignbit_b32 v3, v5, v4, 8
	s_mov_b32 s4, 0x1fffff
	s_mov_b32 s6, -1
	v_cmp_lt_u32_e32 vcc, s4, v3
	v_lshl_add_u32 v3, v3, 11, v2
	s_movk_i32 s7, 0xff
	v_cmp_lt_u32_e64 s[4:5], v3, v2
	v_add_u32_e32 v2, 4, v2
	v_add_u32_e32 v3, 4, v3
	v_cmp_lt_u64_e64 s[6:7], s[6:7], v[4:5]
	s_or_b64 s[40:41], s[4:5], vcc
	v_cmp_lt_u32_e64 s[4:5], v3, v2
	s_or_b64 s[6:7], vcc, s[6:7]
	s_or_b64 s[4:5], s[6:7], s[4:5]
	s_or_b64 s[6:7], s[40:41], s[4:5]
	s_mov_b64 s[4:5], -1
	s_xor_b64 s[40:41], s[6:7], -1
	v_pk_mov_b32 v[2:3], v[0:1], v[0:1] op_sel:[0,1]
	s_and_saveexec_b64 s[6:7], s[40:41]
	s_cbranch_execz .LBB89_82
; %bb.79:
	v_lshrrev_b64 v[2:3], 8, v[4:5]
	v_add_co_u32_e32 v10, vcc, 1, v2
	v_addc_co_u32_e32 v11, vcc, 0, v3, vcc
	v_or_b32_e32 v2, 0x100, v0
	v_mov_b32_e32 v3, v1
	v_and_b32_e32 v12, -4, v10
	v_mov_b32_e32 v13, v11
	v_pk_mov_b32 v[4:5], v[2:3], v[2:3] op_sel:[0,1]
	s_mov_b64 s[40:41], 0
	v_mov_b32_e32 v17, 0
	s_movk_i32 s33, 0x400
	v_pk_mov_b32 v[14:15], v[12:13], v[12:13] op_sel:[0,1]
	v_pk_mov_b32 v[2:3], v[0:1], v[0:1] op_sel:[0,1]
.LBB89_80:                              ; =>This Inner Loop Header: Depth=1
	v_lshl_add_u32 v19, v4, 3, v16
	v_add_co_u32_e32 v4, vcc, s33, v4
	v_add_co_u32_e64 v14, s[4:5], -4, v14
	v_addc_co_u32_e32 v5, vcc, 0, v5, vcc
	v_addc_co_u32_e64 v15, s[4:5], -1, v15, s[4:5]
	v_lshl_add_u32 v18, v2, 3, v16
	v_add_co_u32_e32 v2, vcc, 0x400, v2
	v_cmp_eq_u64_e64 s[4:5], 0, v[14:15]
	s_or_b64 s[40:41], s[4:5], s[40:41]
	v_addc_co_u32_e32 v3, vcc, 0, v3, vcc
	v_add_u32_e32 v20, 0x1000, v18
	v_add_u32_e32 v21, 0x1000, v19
	ds_write2_b32 v18, v17, v17 offset1:1
	ds_write2_b32 v19, v17, v17 offset1:1
	;; [unrolled: 1-line block ×4, first 2 shown]
	s_andn2_b64 exec, exec, s[40:41]
	s_cbranch_execnz .LBB89_80
; %bb.81:
	s_or_b64 exec, exec, s[40:41]
	v_lshlrev_b64 v[2:3], 8, v[12:13]
	v_cmp_ne_u64_e32 vcc, v[10:11], v[12:13]
	v_or_b32_e32 v3, 0, v3
	v_or_b32_e32 v2, v2, v0
	s_orn2_b64 s[4:5], vcc, exec
.LBB89_82:
	s_or_b64 exec, exec, s[6:7]
	s_andn2_b64 s[2:3], s[2:3], exec
	s_and_b64 s[4:5], s[4:5], exec
	s_or_b64 s[2:3], s[2:3], s[4:5]
.LBB89_83:
	s_or_b64 exec, exec, s[20:21]
	s_and_b64 exec, exec, s[2:3]
	s_cbranch_execz .LBB89_86
; %bb.84:
	v_mov_b32_e32 v4, 0x2000
	v_lshl_add_u32 v4, v2, 3, v4
	s_mov_b64 s[2:3], 0
	v_mov_b32_e32 v5, 0
.LBB89_85:                              ; =>This Inner Loop Header: Depth=1
	v_add_co_u32_e32 v2, vcc, 0x100, v2
	v_addc_co_u32_e32 v3, vcc, 0, v3, vcc
	v_cmp_le_i64_e32 vcc, s[10:11], v[2:3]
	ds_write2_b32 v4, v5, v5 offset1:1
	s_or_b64 s[2:3], vcc, s[2:3]
	v_add_u32_e32 v4, 0x800, v4
	s_andn2_b64 exec, exec, s[2:3]
	s_cbranch_execnz .LBB89_85
.LBB89_86:
	s_or_b64 exec, exec, s[8:9]
	s_sub_u32 s4, s26, s10
	v_pk_mov_b32 v[2:3], s[10:11], s[10:11] op_sel:[0,1]
	s_subb_u32 s5, s27, s11
	v_cmp_ge_i64_e32 vcc, s[26:27], v[2:3]
	s_and_b64 s[2:3], vcc, exec
	s_cselect_b32 s5, s5, 0
	s_cselect_b32 s4, s4, 0
	s_waitcnt lgkmcnt(0)
	s_barrier
	s_and_saveexec_b64 s[2:3], s[0:1]
	s_xor_b64 s[6:7], exec, s[2:3]
	s_cbranch_execz .LBB89_107
; %bb.87:
	s_lshl_b64 s[0:1], s[26:27], 3
	s_add_u32 s0, s16, s0
	s_addc_u32 s1, s17, s1
	s_load_dwordx2 s[0:1], s[0:1], 0x0
	s_waitcnt lgkmcnt(0)
	s_sub_u32 s8, s0, s12
	s_subb_u32 s9, s1, s13
	v_cmp_gt_i64_e32 vcc, s[8:9], v[0:1]
	s_and_saveexec_b64 s[20:21], vcc
	s_cbranch_execz .LBB89_106
; %bb.88:
	s_add_u32 s40, s26, -1
	s_addc_u32 s41, s27, -1
	s_add_u32 s2, s26, -2
	s_addc_u32 s3, s27, -1
	v_pk_mov_b32 v[2:3], s[24:25], s[24:25] op_sel:[0,1]
	s_cmp_lg_u64 s[2:3], s[24:25]
	v_cmp_gt_i64_e32 vcc, s[40:41], v[2:3]
	s_cselect_b64 s[2:3], -1, 0
	s_and_b64 s[2:3], vcc, s[2:3]
	s_sub_u32 s42, s0, s30
	v_cndmask_b32_e64 v2, 0, 1, s[2:3]
	s_subb_u32 s43, s1, 0
	s_mov_b64 s[44:45], 0
	v_cmp_ne_u32_e64 s[0:1], 1, v2
	v_mov_b32_e32 v14, s17
	v_mov_b32_e32 v15, s31
	;; [unrolled: 1-line block ×4, first 2 shown]
	s_mov_b64 s[46:47], 0
	s_branch .LBB89_91
.LBB89_89:                              ;   in Loop: Header=BB89_91 Depth=1
	s_or_b64 exec, exec, s[2:3]
.LBB89_90:                              ;   in Loop: Header=BB89_91 Depth=1
	s_or_b64 exec, exec, s[48:49]
	v_lshlrev_b64 v[2:3], 3, v[2:3]
	v_mov_b32_e32 v8, s23
	v_add_co_u32_e32 v2, vcc, s22, v2
	v_addc_co_u32_e32 v3, vcc, v8, v3, vcc
	global_load_dwordx2 v[2:3], v[2:3], off
	s_add_u32 s46, s46, 0x100
	s_addc_u32 s47, s47, 0
	v_mov_b32_e32 v9, s47
	v_add_co_u32_e32 v8, vcc, s46, v0
	v_addc_co_u32_e32 v9, vcc, 0, v9, vcc
	v_cmp_le_i64_e32 vcc, s[8:9], v[8:9]
	v_lshlrev_b32_e32 v10, 3, v18
	s_or_b64 s[44:45], vcc, s[44:45]
	s_waitcnt vmcnt(0) lgkmcnt(0)
	v_pk_mul_f32 v[8:9], v[2:3], v[4:5] op_sel:[1,1] op_sel_hi:[1,0] neg_lo:[0,1]
	v_pk_fma_f32 v[2:3], v[4:5], v[2:3], v[8:9] op_sel_hi:[1,0,1]
	ds_write_b64 v10, v[2:3]
	s_andn2_b64 exec, exec, s[44:45]
	s_cbranch_execz .LBB89_106
.LBB89_91:                              ; =>This Loop Header: Depth=1
                                        ;     Child Loop BB89_93 Depth 2
                                        ;     Child Loop BB89_100 Depth 2
	;; [unrolled: 1-line block ×3, first 2 shown]
	v_mov_b32_e32 v2, s47
	v_add_co_u32_e32 v4, vcc, s46, v6
	v_addc_co_u32_e32 v5, vcc, v2, v7, vcc
	s_and_b64 vcc, exec, s[0:1]
	v_pk_mov_b32 v[8:9], s[24:25], s[24:25] op_sel:[0,1]
	v_pk_mov_b32 v[10:11], s[40:41], s[40:41] op_sel:[0,1]
	s_cbranch_vccnz .LBB89_95
; %bb.92:                               ;   in Loop: Header=BB89_91 Depth=1
	s_mov_b64 s[48:49], 0
	v_pk_mov_b32 v[8:9], s[24:25], s[24:25] op_sel:[0,1]
	v_pk_mov_b32 v[10:11], s[40:41], s[40:41] op_sel:[0,1]
.LBB89_93:                              ;   Parent Loop BB89_91 Depth=1
                                        ; =>  This Inner Loop Header: Depth=2
	v_add_co_u32_e32 v2, vcc, v10, v8
	v_addc_co_u32_e32 v3, vcc, v11, v9, vcc
	v_lshrrev_b32_e32 v12, 31, v3
	v_add_co_u32_e32 v2, vcc, v2, v12
	v_addc_co_u32_e32 v3, vcc, 0, v3, vcc
	v_ashrrev_i64 v[2:3], 1, v[2:3]
	v_lshlrev_b64 v[12:13], 3, v[2:3]
	v_mov_b32_e32 v18, s17
	v_add_co_u32_e32 v12, vcc, s16, v12
	v_addc_co_u32_e32 v13, vcc, v18, v13, vcc
	global_load_dwordx2 v[12:13], v[12:13], off
	v_mov_b32_e32 v18, s31
	s_waitcnt vmcnt(0)
	v_subrev_co_u32_e32 v12, vcc, s30, v12
	v_subb_co_u32_e32 v13, vcc, v13, v18, vcc
	v_cmp_gt_i64_e32 vcc, v[12:13], v[4:5]
	v_cndmask_b32_e32 v10, v10, v2, vcc
	v_cndmask_b32_e32 v11, v11, v3, vcc
	;; [unrolled: 1-line block ×3, first 2 shown]
	v_add_co_u32_e64 v2, s[2:3], -1, v10
	v_cndmask_b32_e32 v9, v3, v9, vcc
	v_addc_co_u32_e64 v3, s[2:3], -1, v11, s[2:3]
	v_cmp_ge_i64_e32 vcc, v[8:9], v[10:11]
	v_cmp_eq_u64_e64 s[2:3], v[8:9], v[2:3]
	s_or_b64 s[2:3], vcc, s[2:3]
	s_and_b64 s[2:3], exec, s[2:3]
	s_or_b64 s[48:49], s[2:3], s[48:49]
	s_andn2_b64 exec, exec, s[48:49]
	s_cbranch_execnz .LBB89_93
; %bb.94:                               ;   in Loop: Header=BB89_91 Depth=1
	s_or_b64 exec, exec, s[48:49]
.LBB89_95:                              ;   in Loop: Header=BB89_91 Depth=1
	v_lshlrev_b64 v[2:3], 3, v[10:11]
	v_add_co_u32_e32 v2, vcc, s16, v2
	v_addc_co_u32_e32 v3, vcc, v14, v3, vcc
	v_lshlrev_b64 v[12:13], 3, v[4:5]
	global_load_dwordx2 v[2:3], v[2:3], off
	v_add_co_u32_e32 v12, vcc, s18, v12
	v_addc_co_u32_e32 v13, vcc, v16, v13, vcc
	global_load_dwordx2 v[12:13], v[12:13], off
	v_add_co_u32_e32 v18, vcc, s46, v0
	v_cmp_le_i64_e32 vcc, s[42:43], v[4:5]
	s_waitcnt vmcnt(1)
	v_subrev_co_u32_e64 v20, s[2:3], s30, v2
	v_subb_co_u32_e64 v21, s[2:3], v3, v15, s[2:3]
	s_waitcnt vmcnt(0)
	v_subrev_co_u32_e64 v2, s[2:3], s30, v12
	v_subb_co_u32_e64 v3, s[2:3], v13, v15, s[2:3]
	v_cmp_gt_i64_e64 s[2:3], v[20:21], v[4:5]
	v_cndmask_b32_e64 v9, v11, v9, s[2:3]
	v_cndmask_b32_e64 v8, v10, v8, s[2:3]
	v_cmp_eq_u64_e64 s[2:3], v[2:3], v[8:9]
	s_or_b64 s[2:3], s[2:3], vcc
	v_lshlrev_b32_e32 v12, 3, v18
                                        ; implicit-def: $vgpr4_vgpr5
	s_and_saveexec_b64 s[48:49], s[2:3]
	s_xor_b64 s[2:3], exec, s[48:49]
	s_cbranch_execz .LBB89_97
; %bb.96:                               ;   in Loop: Header=BB89_91 Depth=1
	ds_read_b64 v[4:5], v12
                                        ; implicit-def: $vgpr12
                                        ; implicit-def: $vgpr8_vgpr9
.LBB89_97:                              ;   in Loop: Header=BB89_91 Depth=1
	s_andn2_saveexec_b64 s[48:49], s[2:3]
	s_cbranch_execz .LBB89_90
; %bb.98:                               ;   in Loop: Header=BB89_91 Depth=1
	v_cmp_gt_i64_e32 vcc, s[4:5], v[2:3]
	v_cmp_le_i64_e64 s[2:3], s[26:27], v[2:3]
	s_or_b64 s[2:3], vcc, s[2:3]
	v_lshlrev_b64 v[8:9], 3, v[8:9]
                                        ; implicit-def: $vgpr4_vgpr5
	s_and_saveexec_b64 s[50:51], s[2:3]
	s_xor_b64 s[2:3], exec, s[50:51]
	s_cbranch_execz .LBB89_104
; %bb.99:                               ;   in Loop: Header=BB89_91 Depth=1
	v_mov_b32_e32 v10, s23
	v_add_co_u32_e32 v8, vcc, s22, v8
	s_waitcnt lgkmcnt(0)
	v_lshlrev_b64 v[4:5], 3, v[2:3]
	v_addc_co_u32_e32 v9, vcc, v10, v9, vcc
	v_mov_b32_e32 v13, s15
	global_load_dwordx2 v[10:11], v[8:9], off
	v_add_co_u32_e32 v8, vcc, s14, v4
	v_addc_co_u32_e32 v9, vcc, v13, v5, vcc
	global_load_dword v13, v[8:9], off
	ds_read_b64 v[4:5], v12
	s_mov_b64 s[50:51], 0
	s_waitcnt vmcnt(1) lgkmcnt(0)
	v_mul_f32_e64 v19, v11, -v5
	v_fmac_f32_e32 v19, v4, v10
.LBB89_100:                             ;   Parent Loop BB89_91 Depth=1
                                        ; =>  This Inner Loop Header: Depth=2
	s_waitcnt vmcnt(0)
	v_add_f32_e32 v12, v13, v19
	global_atomic_cmpswap v12, v[8:9], v[12:13], off glc
	s_waitcnt vmcnt(0)
	v_cmp_eq_u32_e32 vcc, v12, v13
	s_or_b64 s[50:51], vcc, s[50:51]
	v_mov_b32_e32 v13, v12
	s_andn2_b64 exec, exec, s[50:51]
	s_cbranch_execnz .LBB89_100
; %bb.101:                              ;   in Loop: Header=BB89_91 Depth=1
	s_or_b64 exec, exec, s[50:51]
	global_load_dword v13, v[8:9], off offset:4
	v_mul_f32_e32 v11, v11, v4
	v_fmac_f32_e32 v11, v5, v10
	s_mov_b64 s[50:51], 0
.LBB89_102:                             ;   Parent Loop BB89_91 Depth=1
                                        ; =>  This Inner Loop Header: Depth=2
	s_waitcnt vmcnt(0)
	v_add_f32_e32 v12, v13, v11
	global_atomic_cmpswap v10, v[8:9], v[12:13], off offset:4 glc
	s_waitcnt vmcnt(0)
	v_cmp_eq_u32_e32 vcc, v10, v13
	s_or_b64 s[50:51], vcc, s[50:51]
	v_mov_b32_e32 v13, v10
	s_andn2_b64 exec, exec, s[50:51]
	s_cbranch_execnz .LBB89_102
; %bb.103:                              ;   in Loop: Header=BB89_91 Depth=1
	s_or_b64 exec, exec, s[50:51]
                                        ; implicit-def: $vgpr8_vgpr9
                                        ; implicit-def: $vgpr12
.LBB89_104:                             ;   in Loop: Header=BB89_91 Depth=1
	s_andn2_saveexec_b64 s[2:3], s[2:3]
	s_cbranch_execz .LBB89_89
; %bb.105:                              ;   in Loop: Header=BB89_91 Depth=1
	s_waitcnt lgkmcnt(0)
	v_mov_b32_e32 v5, s23
	v_add_co_u32_e32 v4, vcc, s22, v8
	v_addc_co_u32_e32 v5, vcc, v5, v9, vcc
	global_load_dwordx2 v[8:9], v[4:5], off
	ds_read_b64 v[4:5], v12
	v_subrev_u32_e32 v10, s4, v2
	v_lshl_add_u32 v10, v10, 3, v17
	s_waitcnt vmcnt(0) lgkmcnt(0)
	v_mul_f32_e64 v11, v9, -v5
	v_mul_f32_e32 v9, v9, v4
	v_fmac_f32_e32 v11, v4, v8
	v_fmac_f32_e32 v9, v5, v8
	ds_add_f32 v10, v11
	ds_add_f32 v10, v9 offset:4
	s_branch .LBB89_89
.LBB89_106:
	s_or_b64 exec, exec, s[20:21]
                                        ; implicit-def: $vgpr8_vgpr9
                                        ; implicit-def: $vgpr6
.LBB89_107:
	s_andn2_saveexec_b64 s[6:7], s[6:7]
	s_cbranch_execz .LBB89_165
; %bb.108:
	s_add_u32 s8, s26, -1
	s_addc_u32 s9, s27, -1
	s_add_u32 s0, s26, -2
	s_addc_u32 s1, s27, -1
	v_pk_mov_b32 v[4:5], s[24:25], s[24:25] op_sel:[0,1]
	s_cmp_eq_u64 s[0:1], s[24:25]
	v_cmp_le_i64_e32 vcc, s[8:9], v[4:5]
	s_cselect_b64 s[0:1], -1, 0
	s_or_b64 s[2:3], vcc, s[0:1]
	s_and_b64 vcc, exec, s[2:3]
	v_pk_mov_b32 v[10:11], s[8:9], s[8:9] op_sel:[0,1]
	s_cbranch_vccnz .LBB89_112
; %bb.109:
	s_mov_b64 s[20:21], 0
	v_pk_mov_b32 v[4:5], s[24:25], s[24:25] op_sel:[0,1]
	v_pk_mov_b32 v[10:11], s[8:9], s[8:9] op_sel:[0,1]
	v_mov_b32_e32 v2, s17
	v_mov_b32_e32 v3, s31
.LBB89_110:                             ; =>This Inner Loop Header: Depth=1
	v_add_co_u32_e32 v12, vcc, v10, v4
	v_addc_co_u32_e32 v13, vcc, v11, v5, vcc
	v_lshrrev_b32_e32 v14, 31, v13
	v_add_co_u32_e32 v12, vcc, v12, v14
	v_addc_co_u32_e32 v13, vcc, 0, v13, vcc
	v_ashrrev_i64 v[12:13], 1, v[12:13]
	v_lshlrev_b64 v[14:15], 3, v[12:13]
	v_add_co_u32_e32 v14, vcc, s16, v14
	v_addc_co_u32_e32 v15, vcc, v2, v15, vcc
	global_load_dwordx2 v[14:15], v[14:15], off
	s_waitcnt vmcnt(0)
	v_subrev_co_u32_e32 v14, vcc, s30, v14
	v_subb_co_u32_e32 v15, vcc, v15, v3, vcc
	v_cmp_gt_i64_e32 vcc, v[14:15], v[6:7]
	v_cndmask_b32_e32 v10, v10, v12, vcc
	v_cndmask_b32_e32 v11, v11, v13, vcc
	;; [unrolled: 1-line block ×3, first 2 shown]
	v_add_co_u32_e64 v12, s[0:1], -1, v10
	v_cndmask_b32_e32 v5, v13, v5, vcc
	v_addc_co_u32_e64 v13, s[0:1], -1, v11, s[0:1]
	v_cmp_ge_i64_e32 vcc, v[4:5], v[10:11]
	v_cmp_eq_u64_e64 s[0:1], v[4:5], v[12:13]
	s_or_b64 s[0:1], vcc, s[0:1]
	s_and_b64 s[0:1], exec, s[0:1]
	s_or_b64 s[20:21], s[0:1], s[20:21]
	s_andn2_b64 exec, exec, s[20:21]
	s_cbranch_execnz .LBB89_110
; %bb.111:
	s_or_b64 exec, exec, s[20:21]
.LBB89_112:
	v_lshlrev_b64 v[2:3], 3, v[10:11]
	v_mov_b32_e32 v12, s17
	v_add_co_u32_e32 v2, vcc, s16, v2
	v_addc_co_u32_e32 v3, vcc, v12, v3, vcc
	global_load_dwordx2 v[12:13], v[2:3], off
	v_lshlrev_b64 v[2:3], 3, v[6:7]
	v_mov_b32_e32 v14, s19
	v_add_co_u32_e32 v2, vcc, s18, v2
	v_addc_co_u32_e32 v3, vcc, v14, v3, vcc
	global_load_dwordx2 v[14:15], v[2:3], off
	v_mov_b32_e32 v16, s31
	s_xor_b64 s[2:3], s[2:3], -1
	s_lshl_b64 s[0:1], s[26:27], 3
	s_add_u32 s18, s16, s0
	s_addc_u32 s19, s17, s1
	s_waitcnt vmcnt(1)
	v_subrev_co_u32_e32 v12, vcc, s30, v12
	v_subb_co_u32_e32 v13, vcc, v13, v16, vcc
	v_cmp_gt_i64_e32 vcc, v[12:13], v[6:7]
	v_cndmask_b32_e32 v11, v11, v5, vcc
	v_cndmask_b32_e32 v10, v10, v4, vcc
	s_waitcnt vmcnt(0)
	v_subrev_co_u32_e32 v4, vcc, s30, v14
	v_subb_co_u32_e32 v5, vcc, v15, v16, vcc
	v_cmp_ne_u64_e32 vcc, v[4:5], v[10:11]
	s_and_saveexec_b64 s[20:21], vcc
	s_cbranch_execz .LBB89_122
; %bb.113:
	s_load_dwordx2 s[0:1], s[18:19], 0x0
	s_waitcnt lgkmcnt(0)
	s_sub_u32 s0, s0, s30
	s_subb_u32 s1, s1, 0
	v_cmp_gt_i64_e32 vcc, s[0:1], v[6:7]
	s_and_b64 exec, exec, vcc
	s_cbranch_execz .LBB89_122
; %bb.114:
	v_cmp_gt_i64_e32 vcc, s[4:5], v[4:5]
	v_cmp_le_i64_e64 s[0:1], s[26:27], v[4:5]
	s_or_b64 s[0:1], vcc, s[0:1]
	v_lshlrev_b64 v[10:11], 3, v[10:11]
	s_and_saveexec_b64 s[40:41], s[0:1]
	s_xor_b64 s[0:1], exec, s[40:41]
	s_cbranch_execz .LBB89_120
; %bb.115:
	v_mov_b32_e32 v12, s23
	v_add_co_u32_e32 v10, vcc, s22, v10
	v_lshlrev_b64 v[14:15], 3, v[4:5]
	v_addc_co_u32_e32 v11, vcc, v12, v11, vcc
	v_mov_b32_e32 v16, s15
	global_load_dwordx2 v[12:13], v[10:11], off
	v_add_co_u32_e32 v10, vcc, s14, v14
	v_addc_co_u32_e32 v11, vcc, v16, v15, vcc
	global_load_dword v17, v[10:11], off
	ds_read_b64 v[14:15], v28
	s_mov_b64 s[40:41], 0
	s_waitcnt vmcnt(1) lgkmcnt(0)
	v_mul_f32_e64 v18, v13, -v15
	v_fmac_f32_e32 v18, v14, v12
.LBB89_116:                             ; =>This Inner Loop Header: Depth=1
	s_waitcnt vmcnt(0)
	v_add_f32_e32 v16, v17, v18
	global_atomic_cmpswap v16, v[10:11], v[16:17], off glc
	s_waitcnt vmcnt(0)
	v_cmp_eq_u32_e32 vcc, v16, v17
	s_or_b64 s[40:41], vcc, s[40:41]
	v_mov_b32_e32 v17, v16
	s_andn2_b64 exec, exec, s[40:41]
	s_cbranch_execnz .LBB89_116
; %bb.117:
	s_or_b64 exec, exec, s[40:41]
	global_load_dword v17, v[10:11], off offset:4
	v_mul_f32_e32 v13, v13, v14
	v_fmac_f32_e32 v13, v15, v12
	s_mov_b64 s[40:41], 0
.LBB89_118:                             ; =>This Inner Loop Header: Depth=1
	s_waitcnt vmcnt(0)
	v_add_f32_e32 v16, v17, v13
	global_atomic_cmpswap v12, v[10:11], v[16:17], off offset:4 glc
	s_waitcnt vmcnt(0)
	v_cmp_eq_u32_e32 vcc, v12, v17
	s_or_b64 s[40:41], vcc, s[40:41]
	v_mov_b32_e32 v17, v12
	s_andn2_b64 exec, exec, s[40:41]
	s_cbranch_execnz .LBB89_118
; %bb.119:
	s_or_b64 exec, exec, s[40:41]
                                        ; implicit-def: $vgpr10_vgpr11
.LBB89_120:
	s_andn2_saveexec_b64 s[0:1], s[0:1]
	s_cbranch_execz .LBB89_122
; %bb.121:
	v_mov_b32_e32 v12, s23
	v_add_co_u32_e32 v10, vcc, s22, v10
	v_addc_co_u32_e32 v11, vcc, v12, v11, vcc
	global_load_dwordx2 v[10:11], v[10:11], off
	ds_read_b64 v[12:13], v28
	v_subrev_u32_e32 v14, s4, v4
	v_mov_b32_e32 v15, 0x2000
	v_lshl_add_u32 v14, v14, 3, v15
	s_waitcnt vmcnt(0) lgkmcnt(0)
	v_mul_f32_e64 v15, v11, -v13
	v_mul_f32_e32 v11, v11, v12
	v_fmac_f32_e32 v15, v12, v10
	v_fmac_f32_e32 v11, v13, v10
	ds_add_f32 v14, v15
	ds_add_f32 v14, v11 offset:4
.LBB89_122:
	s_or_b64 exec, exec, s[20:21]
	v_lshlrev_b64 v[4:5], 3, v[4:5]
	v_mov_b32_e32 v10, s23
	v_add_co_u32_e32 v4, vcc, s22, v4
	v_addc_co_u32_e32 v5, vcc, v10, v5, vcc
	global_load_dwordx2 v[12:13], v[4:5], off
	ds_read_b64 v[14:15], v28
	v_cndmask_b32_e64 v16, 0, 1, s[2:3]
	v_add_co_u32_e32 v10, vcc, 0x100, v6
	v_cmp_ne_u32_e64 s[0:1], 1, v16
	v_addc_co_u32_e32 v11, vcc, 0, v7, vcc
	v_pk_mov_b32 v[4:5], s[24:25], s[24:25] op_sel:[0,1]
	s_andn2_b64 vcc, exec, s[2:3]
	s_waitcnt vmcnt(0) lgkmcnt(0)
	v_pk_mul_f32 v[16:17], v[12:13], v[14:15] op_sel:[1,1] op_sel_hi:[1,0] neg_lo:[0,1]
	v_pk_fma_f32 v[12:13], v[14:15], v[12:13], v[16:17] op_sel_hi:[1,0,1]
	ds_write_b64 v28, v[12:13]
	v_pk_mov_b32 v[12:13], s[8:9], s[8:9] op_sel:[0,1]
	s_cbranch_vccnz .LBB89_126
; %bb.123:
	s_mov_b64 s[20:21], 0
	v_pk_mov_b32 v[4:5], s[24:25], s[24:25] op_sel:[0,1]
	v_pk_mov_b32 v[12:13], s[8:9], s[8:9] op_sel:[0,1]
	v_mov_b32_e32 v14, s17
	v_mov_b32_e32 v15, s31
.LBB89_124:                             ; =>This Inner Loop Header: Depth=1
	v_add_co_u32_e32 v16, vcc, v12, v4
	v_addc_co_u32_e32 v17, vcc, v13, v5, vcc
	v_lshrrev_b32_e32 v18, 31, v17
	v_add_co_u32_e32 v16, vcc, v16, v18
	v_addc_co_u32_e32 v17, vcc, 0, v17, vcc
	v_ashrrev_i64 v[16:17], 1, v[16:17]
	v_lshlrev_b64 v[18:19], 3, v[16:17]
	v_add_co_u32_e32 v18, vcc, s16, v18
	v_addc_co_u32_e32 v19, vcc, v14, v19, vcc
	global_load_dwordx2 v[18:19], v[18:19], off
	s_waitcnt vmcnt(0)
	v_subrev_co_u32_e32 v18, vcc, s30, v18
	v_subb_co_u32_e32 v19, vcc, v19, v15, vcc
	v_cmp_gt_i64_e32 vcc, v[18:19], v[10:11]
	v_cndmask_b32_e32 v12, v12, v16, vcc
	v_cndmask_b32_e32 v13, v13, v17, vcc
	;; [unrolled: 1-line block ×3, first 2 shown]
	v_add_co_u32_e64 v16, s[2:3], -1, v12
	v_cndmask_b32_e32 v5, v17, v5, vcc
	v_addc_co_u32_e64 v17, s[2:3], -1, v13, s[2:3]
	v_cmp_ge_i64_e32 vcc, v[4:5], v[12:13]
	v_cmp_eq_u64_e64 s[2:3], v[4:5], v[16:17]
	s_or_b64 s[2:3], vcc, s[2:3]
	s_and_b64 s[2:3], exec, s[2:3]
	s_or_b64 s[20:21], s[2:3], s[20:21]
	s_andn2_b64 exec, exec, s[20:21]
	s_cbranch_execnz .LBB89_124
; %bb.125:
	s_or_b64 exec, exec, s[20:21]
.LBB89_126:
	v_lshlrev_b64 v[14:15], 3, v[12:13]
	v_mov_b32_e32 v16, s17
	v_add_co_u32_e32 v14, vcc, s16, v14
	v_addc_co_u32_e32 v15, vcc, v16, v15, vcc
	global_load_dwordx2 v[16:17], v[14:15], off
	global_load_dwordx2 v[18:19], v[2:3], off offset:2048
	v_mov_b32_e32 v20, s31
	s_waitcnt vmcnt(1)
	v_subrev_co_u32_e32 v14, vcc, s30, v16
	v_subb_co_u32_e32 v15, vcc, v17, v20, vcc
	v_cmp_gt_i64_e32 vcc, v[14:15], v[10:11]
	v_cndmask_b32_e32 v13, v13, v5, vcc
	v_cndmask_b32_e32 v12, v12, v4, vcc
	s_waitcnt vmcnt(0)
	v_subrev_co_u32_e32 v4, vcc, s30, v18
	v_subb_co_u32_e32 v5, vcc, v19, v20, vcc
	v_cmp_ne_u64_e32 vcc, v[4:5], v[12:13]
	s_and_saveexec_b64 s[20:21], vcc
	s_cbranch_execz .LBB89_136
; %bb.127:
	s_load_dwordx2 s[2:3], s[18:19], 0x0
	s_waitcnt lgkmcnt(0)
	s_sub_u32 s2, s2, s30
	s_subb_u32 s3, s3, 0
	v_cmp_gt_i64_e32 vcc, s[2:3], v[10:11]
	s_and_b64 exec, exec, vcc
	s_cbranch_execz .LBB89_136
; %bb.128:
	v_cmp_gt_i64_e32 vcc, s[4:5], v[4:5]
	v_cmp_le_i64_e64 s[2:3], s[26:27], v[4:5]
	s_or_b64 s[2:3], vcc, s[2:3]
	v_lshlrev_b64 v[10:11], 3, v[12:13]
	s_and_saveexec_b64 s[40:41], s[2:3]
	s_xor_b64 s[2:3], exec, s[40:41]
	s_cbranch_execz .LBB89_134
; %bb.129:
	v_mov_b32_e32 v12, s23
	v_add_co_u32_e32 v10, vcc, s22, v10
	v_lshlrev_b64 v[14:15], 3, v[4:5]
	v_addc_co_u32_e32 v11, vcc, v12, v11, vcc
	v_mov_b32_e32 v16, s15
	global_load_dwordx2 v[12:13], v[10:11], off
	v_add_co_u32_e32 v10, vcc, s14, v14
	v_addc_co_u32_e32 v11, vcc, v16, v15, vcc
	global_load_dword v17, v[10:11], off
	ds_read_b64 v[14:15], v28 offset:2048
	s_mov_b64 s[40:41], 0
	s_waitcnt vmcnt(1) lgkmcnt(0)
	v_mul_f32_e64 v18, v13, -v15
	v_fmac_f32_e32 v18, v14, v12
.LBB89_130:                             ; =>This Inner Loop Header: Depth=1
	s_waitcnt vmcnt(0)
	v_add_f32_e32 v16, v17, v18
	global_atomic_cmpswap v16, v[10:11], v[16:17], off glc
	s_waitcnt vmcnt(0)
	v_cmp_eq_u32_e32 vcc, v16, v17
	s_or_b64 s[40:41], vcc, s[40:41]
	v_mov_b32_e32 v17, v16
	s_andn2_b64 exec, exec, s[40:41]
	s_cbranch_execnz .LBB89_130
; %bb.131:
	s_or_b64 exec, exec, s[40:41]
	global_load_dword v17, v[10:11], off offset:4
	v_mul_f32_e32 v13, v13, v14
	v_fmac_f32_e32 v13, v15, v12
	s_mov_b64 s[40:41], 0
.LBB89_132:                             ; =>This Inner Loop Header: Depth=1
	s_waitcnt vmcnt(0)
	v_add_f32_e32 v16, v17, v13
	global_atomic_cmpswap v12, v[10:11], v[16:17], off offset:4 glc
	s_waitcnt vmcnt(0)
	v_cmp_eq_u32_e32 vcc, v12, v17
	s_or_b64 s[40:41], vcc, s[40:41]
	v_mov_b32_e32 v17, v12
	s_andn2_b64 exec, exec, s[40:41]
	s_cbranch_execnz .LBB89_132
; %bb.133:
	s_or_b64 exec, exec, s[40:41]
                                        ; implicit-def: $vgpr10_vgpr11
.LBB89_134:
	s_andn2_saveexec_b64 s[2:3], s[2:3]
	s_cbranch_execz .LBB89_136
; %bb.135:
	v_mov_b32_e32 v12, s23
	v_add_co_u32_e32 v10, vcc, s22, v10
	v_addc_co_u32_e32 v11, vcc, v12, v11, vcc
	global_load_dwordx2 v[10:11], v[10:11], off
	ds_read_b64 v[12:13], v28 offset:2048
	v_subrev_u32_e32 v14, s4, v4
	v_mov_b32_e32 v15, 0x2000
	v_lshl_add_u32 v14, v14, 3, v15
	s_waitcnt vmcnt(0) lgkmcnt(0)
	v_mul_f32_e64 v15, v11, -v13
	v_mul_f32_e32 v11, v11, v12
	v_fmac_f32_e32 v15, v12, v10
	v_fmac_f32_e32 v11, v13, v10
	ds_add_f32 v14, v15
	ds_add_f32 v14, v11 offset:4
.LBB89_136:
	s_or_b64 exec, exec, s[20:21]
	v_lshlrev_b64 v[4:5], 3, v[4:5]
	v_mov_b32_e32 v10, s23
	v_add_co_u32_e32 v4, vcc, s22, v4
	v_addc_co_u32_e32 v5, vcc, v10, v5, vcc
	global_load_dwordx2 v[10:11], v[4:5], off
	ds_read_b64 v[12:13], v28 offset:2048
	v_add_co_u32_e32 v6, vcc, 0x200, v6
	v_addc_co_u32_e32 v7, vcc, 0, v7, vcc
	v_pk_mov_b32 v[4:5], s[24:25], s[24:25] op_sel:[0,1]
	s_and_b64 vcc, exec, s[0:1]
	s_waitcnt vmcnt(0) lgkmcnt(0)
	v_pk_mul_f32 v[14:15], v[10:11], v[12:13] op_sel:[1,1] op_sel_hi:[1,0] neg_lo:[0,1]
	v_pk_fma_f32 v[10:11], v[12:13], v[10:11], v[14:15] op_sel_hi:[1,0,1]
	ds_write_b64 v28, v[10:11] offset:2048
	v_pk_mov_b32 v[10:11], s[8:9], s[8:9] op_sel:[0,1]
	s_cbranch_vccnz .LBB89_140
; %bb.137:
	s_mov_b64 s[20:21], 0
	v_pk_mov_b32 v[4:5], s[24:25], s[24:25] op_sel:[0,1]
	v_pk_mov_b32 v[10:11], s[8:9], s[8:9] op_sel:[0,1]
	v_mov_b32_e32 v12, s17
	v_mov_b32_e32 v13, s31
.LBB89_138:                             ; =>This Inner Loop Header: Depth=1
	v_add_co_u32_e32 v14, vcc, v10, v4
	v_addc_co_u32_e32 v15, vcc, v11, v5, vcc
	v_lshrrev_b32_e32 v16, 31, v15
	v_add_co_u32_e32 v14, vcc, v14, v16
	v_addc_co_u32_e32 v15, vcc, 0, v15, vcc
	v_ashrrev_i64 v[14:15], 1, v[14:15]
	v_lshlrev_b64 v[16:17], 3, v[14:15]
	v_add_co_u32_e32 v16, vcc, s16, v16
	v_addc_co_u32_e32 v17, vcc, v12, v17, vcc
	global_load_dwordx2 v[16:17], v[16:17], off
	s_waitcnt vmcnt(0)
	v_subrev_co_u32_e32 v16, vcc, s30, v16
	v_subb_co_u32_e32 v17, vcc, v17, v13, vcc
	v_cmp_gt_i64_e32 vcc, v[16:17], v[6:7]
	v_cndmask_b32_e32 v10, v10, v14, vcc
	v_cndmask_b32_e32 v11, v11, v15, vcc
	;; [unrolled: 1-line block ×3, first 2 shown]
	v_add_co_u32_e64 v14, s[2:3], -1, v10
	v_cndmask_b32_e32 v5, v15, v5, vcc
	v_addc_co_u32_e64 v15, s[2:3], -1, v11, s[2:3]
	v_cmp_ge_i64_e32 vcc, v[4:5], v[10:11]
	v_cmp_eq_u64_e64 s[2:3], v[4:5], v[14:15]
	s_or_b64 s[2:3], vcc, s[2:3]
	s_and_b64 s[2:3], exec, s[2:3]
	s_or_b64 s[20:21], s[2:3], s[20:21]
	s_andn2_b64 exec, exec, s[20:21]
	s_cbranch_execnz .LBB89_138
; %bb.139:
	s_or_b64 exec, exec, s[20:21]
.LBB89_140:
	v_lshlrev_b64 v[12:13], 3, v[10:11]
	v_mov_b32_e32 v14, s17
	v_add_co_u32_e32 v12, vcc, s16, v12
	v_addc_co_u32_e32 v13, vcc, v14, v13, vcc
	global_load_dwordx2 v[12:13], v[12:13], off
	v_add_co_u32_e32 v14, vcc, 0x1000, v2
	v_addc_co_u32_e32 v15, vcc, 0, v3, vcc
	global_load_dwordx2 v[14:15], v[14:15], off
	v_mov_b32_e32 v16, s31
	s_waitcnt vmcnt(1)
	v_subrev_co_u32_e32 v12, vcc, s30, v12
	v_subb_co_u32_e32 v13, vcc, v13, v16, vcc
	v_cmp_gt_i64_e32 vcc, v[12:13], v[6:7]
	v_cndmask_b32_e32 v11, v11, v5, vcc
	v_cndmask_b32_e32 v10, v10, v4, vcc
	s_waitcnt vmcnt(0)
	v_subrev_co_u32_e32 v4, vcc, s30, v14
	v_subb_co_u32_e32 v5, vcc, v15, v16, vcc
	v_cmp_ne_u64_e32 vcc, v[4:5], v[10:11]
	s_and_saveexec_b64 s[20:21], vcc
	s_cbranch_execz .LBB89_150
; %bb.141:
	s_load_dwordx2 s[2:3], s[18:19], 0x0
	s_waitcnt lgkmcnt(0)
	s_sub_u32 s2, s2, s30
	s_subb_u32 s3, s3, 0
	v_cmp_gt_i64_e32 vcc, s[2:3], v[6:7]
	s_and_b64 exec, exec, vcc
	s_cbranch_execz .LBB89_150
; %bb.142:
	v_cmp_gt_i64_e32 vcc, s[4:5], v[4:5]
	v_cmp_le_i64_e64 s[2:3], s[26:27], v[4:5]
	s_or_b64 s[2:3], vcc, s[2:3]
	v_lshlrev_b64 v[6:7], 3, v[10:11]
	s_and_saveexec_b64 s[40:41], s[2:3]
	s_xor_b64 s[2:3], exec, s[40:41]
	s_cbranch_execz .LBB89_148
; %bb.143:
	v_mov_b32_e32 v10, s23
	v_add_co_u32_e32 v6, vcc, s22, v6
	v_lshlrev_b64 v[12:13], 3, v[4:5]
	v_addc_co_u32_e32 v7, vcc, v10, v7, vcc
	v_mov_b32_e32 v14, s15
	global_load_dwordx2 v[10:11], v[6:7], off
	v_add_co_u32_e32 v6, vcc, s14, v12
	v_addc_co_u32_e32 v7, vcc, v14, v13, vcc
	global_load_dword v15, v[6:7], off
	ds_read_b64 v[12:13], v28 offset:4096
	s_mov_b64 s[40:41], 0
	s_waitcnt vmcnt(1) lgkmcnt(0)
	v_mul_f32_e64 v16, v11, -v13
	v_fmac_f32_e32 v16, v12, v10
.LBB89_144:                             ; =>This Inner Loop Header: Depth=1
	s_waitcnt vmcnt(0)
	v_add_f32_e32 v14, v15, v16
	global_atomic_cmpswap v14, v[6:7], v[14:15], off glc
	s_waitcnt vmcnt(0)
	v_cmp_eq_u32_e32 vcc, v14, v15
	s_or_b64 s[40:41], vcc, s[40:41]
	v_mov_b32_e32 v15, v14
	s_andn2_b64 exec, exec, s[40:41]
	s_cbranch_execnz .LBB89_144
; %bb.145:
	s_or_b64 exec, exec, s[40:41]
	global_load_dword v15, v[6:7], off offset:4
	v_mul_f32_e32 v11, v11, v12
	v_fmac_f32_e32 v11, v13, v10
	s_mov_b64 s[40:41], 0
.LBB89_146:                             ; =>This Inner Loop Header: Depth=1
	s_waitcnt vmcnt(0)
	v_add_f32_e32 v14, v15, v11
	global_atomic_cmpswap v10, v[6:7], v[14:15], off offset:4 glc
	s_waitcnt vmcnt(0)
	v_cmp_eq_u32_e32 vcc, v10, v15
	s_or_b64 s[40:41], vcc, s[40:41]
	v_mov_b32_e32 v15, v10
	s_andn2_b64 exec, exec, s[40:41]
	s_cbranch_execnz .LBB89_146
; %bb.147:
	s_or_b64 exec, exec, s[40:41]
                                        ; implicit-def: $vgpr6_vgpr7
.LBB89_148:
	s_andn2_saveexec_b64 s[2:3], s[2:3]
	s_cbranch_execz .LBB89_150
; %bb.149:
	v_mov_b32_e32 v10, s23
	v_add_co_u32_e32 v6, vcc, s22, v6
	v_addc_co_u32_e32 v7, vcc, v10, v7, vcc
	global_load_dwordx2 v[6:7], v[6:7], off
	ds_read_b64 v[10:11], v28 offset:4096
	v_subrev_u32_e32 v12, s4, v4
	v_mov_b32_e32 v13, 0x2000
	v_lshl_add_u32 v12, v12, 3, v13
	s_waitcnt vmcnt(0) lgkmcnt(0)
	v_mul_f32_e64 v13, v7, -v11
	v_mul_f32_e32 v7, v7, v10
	v_fmac_f32_e32 v13, v10, v6
	v_fmac_f32_e32 v7, v11, v6
	ds_add_f32 v12, v13
	ds_add_f32 v12, v7 offset:4
.LBB89_150:
	s_or_b64 exec, exec, s[20:21]
	v_lshlrev_b64 v[4:5], 3, v[4:5]
	v_mov_b32_e32 v6, s23
	v_add_co_u32_e32 v4, vcc, s22, v4
	v_addc_co_u32_e32 v5, vcc, v6, v5, vcc
	global_load_dwordx2 v[6:7], v[4:5], off
	ds_read_b64 v[10:11], v28 offset:4096
	s_and_b64 vcc, exec, s[0:1]
	v_pk_mov_b32 v[4:5], s[24:25], s[24:25] op_sel:[0,1]
	s_waitcnt vmcnt(0) lgkmcnt(0)
	v_pk_mul_f32 v[12:13], v[6:7], v[10:11] op_sel:[1,1] op_sel_hi:[1,0] neg_lo:[0,1]
	v_pk_fma_f32 v[6:7], v[10:11], v[6:7], v[12:13] op_sel_hi:[1,0,1]
	ds_write_b64 v28, v[6:7] offset:4096
	v_pk_mov_b32 v[6:7], s[8:9], s[8:9] op_sel:[0,1]
	s_cbranch_vccnz .LBB89_154
; %bb.151:
	s_mov_b64 s[2:3], 0
	v_pk_mov_b32 v[4:5], s[24:25], s[24:25] op_sel:[0,1]
	v_pk_mov_b32 v[6:7], s[8:9], s[8:9] op_sel:[0,1]
	v_mov_b32_e32 v10, s17
	v_mov_b32_e32 v11, s31
.LBB89_152:                             ; =>This Inner Loop Header: Depth=1
	v_add_co_u32_e32 v12, vcc, v6, v4
	v_addc_co_u32_e32 v13, vcc, v7, v5, vcc
	v_lshrrev_b32_e32 v14, 31, v13
	v_add_co_u32_e32 v12, vcc, v12, v14
	v_addc_co_u32_e32 v13, vcc, 0, v13, vcc
	v_ashrrev_i64 v[12:13], 1, v[12:13]
	v_lshlrev_b64 v[14:15], 3, v[12:13]
	v_add_co_u32_e32 v14, vcc, s16, v14
	v_addc_co_u32_e32 v15, vcc, v10, v15, vcc
	global_load_dwordx2 v[14:15], v[14:15], off
	s_waitcnt vmcnt(0)
	v_subrev_co_u32_e32 v14, vcc, s30, v14
	v_subb_co_u32_e32 v15, vcc, v15, v11, vcc
	v_cmp_gt_i64_e32 vcc, v[14:15], v[8:9]
	v_cndmask_b32_e32 v6, v6, v12, vcc
	v_cndmask_b32_e32 v7, v7, v13, vcc
	;; [unrolled: 1-line block ×3, first 2 shown]
	v_add_co_u32_e64 v12, s[0:1], -1, v6
	v_cndmask_b32_e32 v5, v13, v5, vcc
	v_addc_co_u32_e64 v13, s[0:1], -1, v7, s[0:1]
	v_cmp_ge_i64_e32 vcc, v[4:5], v[6:7]
	v_cmp_eq_u64_e64 s[0:1], v[4:5], v[12:13]
	s_or_b64 s[0:1], vcc, s[0:1]
	s_and_b64 s[0:1], exec, s[0:1]
	s_or_b64 s[2:3], s[0:1], s[2:3]
	s_andn2_b64 exec, exec, s[2:3]
	s_cbranch_execnz .LBB89_152
; %bb.153:
	s_or_b64 exec, exec, s[2:3]
.LBB89_154:
	v_lshlrev_b64 v[10:11], 3, v[6:7]
	v_mov_b32_e32 v12, s17
	v_add_co_u32_e32 v10, vcc, s16, v10
	v_addc_co_u32_e32 v11, vcc, v12, v11, vcc
	global_load_dwordx2 v[10:11], v[10:11], off
	v_add_co_u32_e32 v2, vcc, 0x1000, v2
	v_addc_co_u32_e32 v3, vcc, 0, v3, vcc
	global_load_dwordx2 v[2:3], v[2:3], off offset:2048
	v_mov_b32_e32 v12, s31
	s_waitcnt vmcnt(1)
	v_subrev_co_u32_e32 v10, vcc, s30, v10
	v_subb_co_u32_e32 v11, vcc, v11, v12, vcc
	v_cmp_gt_i64_e32 vcc, v[10:11], v[8:9]
	v_cndmask_b32_e32 v5, v7, v5, vcc
	v_cndmask_b32_e32 v4, v6, v4, vcc
	s_waitcnt vmcnt(0)
	v_subrev_co_u32_e32 v2, vcc, s30, v2
	v_subb_co_u32_e32 v3, vcc, v3, v12, vcc
	v_cmp_ne_u64_e32 vcc, v[2:3], v[4:5]
	s_and_saveexec_b64 s[2:3], vcc
	s_cbranch_execz .LBB89_164
; %bb.155:
	s_load_dwordx2 s[0:1], s[18:19], 0x0
	s_waitcnt lgkmcnt(0)
	s_sub_u32 s0, s0, s30
	s_subb_u32 s1, s1, 0
	v_cmp_gt_i64_e32 vcc, s[0:1], v[8:9]
	s_and_b64 exec, exec, vcc
	s_cbranch_execz .LBB89_164
; %bb.156:
	v_cmp_gt_i64_e32 vcc, s[4:5], v[2:3]
	v_cmp_le_i64_e64 s[0:1], s[26:27], v[2:3]
	s_or_b64 s[0:1], vcc, s[0:1]
	v_lshlrev_b64 v[4:5], 3, v[4:5]
	s_and_saveexec_b64 s[8:9], s[0:1]
	s_xor_b64 s[0:1], exec, s[8:9]
	s_cbranch_execz .LBB89_162
; %bb.157:
	v_mov_b32_e32 v6, s23
	v_add_co_u32_e32 v4, vcc, s22, v4
	v_lshlrev_b64 v[8:9], 3, v[2:3]
	v_addc_co_u32_e32 v5, vcc, v6, v5, vcc
	v_mov_b32_e32 v10, s15
	global_load_dwordx2 v[6:7], v[4:5], off
	v_add_co_u32_e32 v4, vcc, s14, v8
	v_addc_co_u32_e32 v5, vcc, v10, v9, vcc
	global_load_dword v11, v[4:5], off
	ds_read_b64 v[8:9], v28 offset:6144
	s_mov_b64 s[8:9], 0
	s_waitcnt vmcnt(1) lgkmcnt(0)
	v_mul_f32_e64 v12, v7, -v9
	v_fmac_f32_e32 v12, v8, v6
.LBB89_158:                             ; =>This Inner Loop Header: Depth=1
	s_waitcnt vmcnt(0)
	v_add_f32_e32 v10, v11, v12
	global_atomic_cmpswap v10, v[4:5], v[10:11], off glc
	s_waitcnt vmcnt(0)
	v_cmp_eq_u32_e32 vcc, v10, v11
	s_or_b64 s[8:9], vcc, s[8:9]
	v_mov_b32_e32 v11, v10
	s_andn2_b64 exec, exec, s[8:9]
	s_cbranch_execnz .LBB89_158
; %bb.159:
	s_or_b64 exec, exec, s[8:9]
	global_load_dword v11, v[4:5], off offset:4
	v_mul_f32_e32 v7, v7, v8
	v_fmac_f32_e32 v7, v9, v6
	s_mov_b64 s[8:9], 0
.LBB89_160:                             ; =>This Inner Loop Header: Depth=1
	s_waitcnt vmcnt(0)
	v_add_f32_e32 v10, v11, v7
	global_atomic_cmpswap v6, v[4:5], v[10:11], off offset:4 glc
	s_waitcnt vmcnt(0)
	v_cmp_eq_u32_e32 vcc, v6, v11
	s_or_b64 s[8:9], vcc, s[8:9]
	v_mov_b32_e32 v11, v6
	s_andn2_b64 exec, exec, s[8:9]
	s_cbranch_execnz .LBB89_160
; %bb.161:
	s_or_b64 exec, exec, s[8:9]
                                        ; implicit-def: $vgpr4_vgpr5
.LBB89_162:
	s_andn2_saveexec_b64 s[0:1], s[0:1]
	s_cbranch_execz .LBB89_164
; %bb.163:
	v_mov_b32_e32 v6, s23
	v_add_co_u32_e32 v4, vcc, s22, v4
	v_addc_co_u32_e32 v5, vcc, v6, v5, vcc
	global_load_dwordx2 v[4:5], v[4:5], off
	ds_read_b64 v[6:7], v28 offset:6144
	v_subrev_u32_e32 v8, s4, v2
	v_mov_b32_e32 v9, 0x2000
	v_lshl_add_u32 v8, v8, 3, v9
	s_waitcnt vmcnt(0) lgkmcnt(0)
	v_mul_f32_e64 v9, v5, -v7
	v_mul_f32_e32 v5, v5, v6
	v_fmac_f32_e32 v9, v6, v4
	v_fmac_f32_e32 v5, v7, v4
	ds_add_f32 v8, v9
	ds_add_f32 v8, v5 offset:4
.LBB89_164:
	s_or_b64 exec, exec, s[2:3]
	v_lshlrev_b64 v[2:3], 3, v[2:3]
	v_mov_b32_e32 v4, s23
	v_add_co_u32_e32 v2, vcc, s22, v2
	v_addc_co_u32_e32 v3, vcc, v4, v3, vcc
	global_load_dwordx2 v[2:3], v[2:3], off
	ds_read_b64 v[4:5], v28 offset:6144
	s_waitcnt vmcnt(0) lgkmcnt(0)
	v_pk_mul_f32 v[6:7], v[2:3], v[4:5] op_sel:[1,1] op_sel_hi:[1,0] neg_lo:[0,1]
	v_pk_fma_f32 v[2:3], v[4:5], v[2:3], v[6:7] op_sel_hi:[1,0,1]
	ds_write_b64 v28, v[2:3] offset:6144
.LBB89_165:
	s_or_b64 exec, exec, s[6:7]
	v_pk_mov_b32 v[2:3], s[10:11], s[10:11] op_sel:[0,1]
	v_cmp_lt_i64_e32 vcc, s[26:27], v[2:3]
	s_and_b64 s[0:1], vcc, exec
	s_cselect_b32 s8, s26, s10
	s_cselect_b32 s0, s27, s11
	s_sub_u32 s2, s8, s28
	s_subb_u32 s3, s0, s29
	v_cmp_gt_i64_e32 vcc, s[2:3], v[0:1]
	s_waitcnt lgkmcnt(0)
	s_barrier
	s_and_saveexec_b64 s[0:1], vcc
	s_cbranch_execz .LBB89_172
; %bb.166:
	s_lshl_b64 s[4:5], s[4:5], 3
	s_add_u32 s9, s14, s4
	s_addc_u32 s6, s15, s5
	s_mov_b64 s[4:5], 0
	v_mov_b32_e32 v10, s6
	v_mov_b32_e32 v11, 0x2000
	v_pk_mov_b32 v[2:3], v[0:1], v[0:1] op_sel:[0,1]
.LBB89_167:                             ; =>This Loop Header: Depth=1
                                        ;     Child Loop BB89_168 Depth 2
                                        ;     Child Loop BB89_170 Depth 2
	v_lshlrev_b64 v[4:5], 3, v[2:3]
	v_add_co_u32_e32 v4, vcc, s9, v4
	v_addc_co_u32_e32 v5, vcc, v10, v5, vcc
	global_load_dword v9, v[4:5], off
	v_lshl_add_u32 v6, v2, 3, v11
	ds_read2_b32 v[6:7], v6 offset1:1
	s_mov_b64 s[6:7], 0
.LBB89_168:                             ;   Parent Loop BB89_167 Depth=1
                                        ; =>  This Inner Loop Header: Depth=2
	s_waitcnt vmcnt(0) lgkmcnt(0)
	v_add_f32_e32 v8, v9, v6
	global_atomic_cmpswap v8, v[4:5], v[8:9], off glc
	s_waitcnt vmcnt(0)
	v_cmp_eq_u32_e32 vcc, v8, v9
	s_or_b64 s[6:7], vcc, s[6:7]
	v_mov_b32_e32 v9, v8
	s_andn2_b64 exec, exec, s[6:7]
	s_cbranch_execnz .LBB89_168
; %bb.169:                              ;   in Loop: Header=BB89_167 Depth=1
	s_or_b64 exec, exec, s[6:7]
	global_load_dword v9, v[4:5], off offset:4
	s_mov_b64 s[6:7], 0
.LBB89_170:                             ;   Parent Loop BB89_167 Depth=1
                                        ; =>  This Inner Loop Header: Depth=2
	s_waitcnt vmcnt(0)
	v_add_f32_e32 v8, v9, v7
	global_atomic_cmpswap v6, v[4:5], v[8:9], off offset:4 glc
	s_waitcnt vmcnt(0)
	v_cmp_eq_u32_e32 vcc, v6, v9
	s_or_b64 s[6:7], vcc, s[6:7]
	v_mov_b32_e32 v9, v6
	s_andn2_b64 exec, exec, s[6:7]
	s_cbranch_execnz .LBB89_170
; %bb.171:                              ;   in Loop: Header=BB89_167 Depth=1
	s_or_b64 exec, exec, s[6:7]
	v_add_co_u32_e32 v2, vcc, 0x100, v2
	v_addc_co_u32_e32 v3, vcc, 0, v3, vcc
	v_cmp_le_i64_e32 vcc, s[2:3], v[2:3]
	s_or_b64 s[4:5], vcc, s[4:5]
	s_andn2_b64 exec, exec, s[4:5]
	s_cbranch_execnz .LBB89_167
.LBB89_172:
	s_or_b64 exec, exec, s[0:1]
	s_add_i32 s0, s38, -1
	s_ashr_i32 s1, s0, 1
	s_or_b32 s0, s1, s0
	s_ashr_i32 s1, s0, 2
	s_or_b32 s0, s1, s0
	;; [unrolled: 2-line block ×5, first 2 shown]
	s_add_i32 s3, s3, 1
	s_ashr_i32 s18, s3, 1
	v_mov_b32_e32 v2, s25
	v_add_co_u32_e32 v6, vcc, s24, v0
	v_addc_co_u32_e32 v7, vcc, 0, v2, vcc
	s_cmp_gt_i32 s18, 1
	s_mov_b64 s[0:1], -1
	s_barrier
	s_cbranch_scc1 .LBB89_185
; %bb.173:
	v_cmp_gt_i64_e32 vcc, s[26:27], v[6:7]
	s_and_saveexec_b64 s[0:1], vcc
	s_cbranch_execz .LBB89_184
; %bb.174:
	s_sub_i32 s4, s8, s26
	s_lshl_b32 s4, s4, 3
	s_add_i32 s10, s4, 0x2000
	s_lshl_b32 s4, s12, 3
	s_sub_i32 s11, 0, s4
	s_mov_b64 s[4:5], 0
	v_mov_b32_e32 v16, s17
	v_mov_b32_e32 v17, s15
	;; [unrolled: 1-line block ×3, first 2 shown]
	v_pk_mov_b32 v[8:9], v[6:7], v[6:7] op_sel:[0,1]
.LBB89_175:                             ; =>This Loop Header: Depth=1
                                        ;     Child Loop BB89_177 Depth 2
                                        ;     Child Loop BB89_180 Depth 2
	;; [unrolled: 1-line block ×3, first 2 shown]
	v_lshlrev_b64 v[10:11], 3, v[8:9]
	v_add_co_u32_e32 v2, vcc, s16, v10
	v_addc_co_u32_e32 v3, vcc, v16, v11, vcc
	global_load_dwordx4 v[2:5], v[2:3], off
	v_mov_b32_e32 v13, 0
	v_mov_b32_e32 v12, v13
	s_waitcnt vmcnt(0)
	v_cmp_lt_i64_e32 vcc, v[2:3], v[4:5]
	s_and_saveexec_b64 s[6:7], vcc
	s_cbranch_execz .LBB89_179
; %bb.176:                              ;   in Loop: Header=BB89_175 Depth=1
	v_mov_b32_e32 v12, s13
	v_subrev_co_u32_e32 v4, vcc, s12, v4
	v_subb_co_u32_e32 v5, vcc, v5, v12, vcc
	v_subrev_co_u32_e32 v14, vcc, s12, v2
	v_subb_co_u32_e32 v15, vcc, v3, v12, vcc
	v_mov_b32_e32 v12, 0
	v_lshl_add_u32 v2, v2, 3, s11
	s_mov_b64 s[8:9], 0
	v_mov_b32_e32 v13, v12
.LBB89_177:                             ;   Parent Loop BB89_175 Depth=1
                                        ; =>  This Inner Loop Header: Depth=2
	ds_read_b64 v[20:21], v2
	v_add_co_u32_e32 v14, vcc, 1, v14
	v_addc_co_u32_e32 v15, vcc, 0, v15, vcc
	v_cmp_ge_i64_e32 vcc, v[14:15], v[4:5]
	v_add_u32_e32 v2, 8, v2
	s_or_b64 s[8:9], vcc, s[8:9]
	s_waitcnt lgkmcnt(0)
	v_pk_add_f32 v[12:13], v[12:13], v[20:21]
	s_andn2_b64 exec, exec, s[8:9]
	s_cbranch_execnz .LBB89_177
; %bb.178:                              ;   in Loop: Header=BB89_175 Depth=1
	s_or_b64 exec, exec, s[8:9]
.LBB89_179:                             ;   in Loop: Header=BB89_175 Depth=1
	s_or_b64 exec, exec, s[6:7]
	v_add_co_u32_e32 v2, vcc, s14, v10
	v_addc_co_u32_e32 v3, vcc, v17, v11, vcc
	global_load_dword v11, v[2:3], off
	v_lshl_add_u32 v4, v8, 3, s10
	ds_read2_b32 v[4:5], v4 offset1:1
	s_mov_b64 s[6:7], 0
	s_waitcnt lgkmcnt(0)
	v_add_f32_e32 v4, v12, v4
.LBB89_180:                             ;   Parent Loop BB89_175 Depth=1
                                        ; =>  This Inner Loop Header: Depth=2
	s_waitcnt vmcnt(0)
	v_add_f32_e32 v10, v11, v4
	global_atomic_cmpswap v10, v[2:3], v[10:11], off glc
	s_waitcnt vmcnt(0)
	v_cmp_eq_u32_e32 vcc, v10, v11
	s_or_b64 s[6:7], vcc, s[6:7]
	v_mov_b32_e32 v11, v10
	s_andn2_b64 exec, exec, s[6:7]
	s_cbranch_execnz .LBB89_180
; %bb.181:                              ;   in Loop: Header=BB89_175 Depth=1
	s_or_b64 exec, exec, s[6:7]
	global_load_dword v11, v[2:3], off offset:4
	v_add_f32_e32 v4, v13, v5
	s_mov_b64 s[6:7], 0
.LBB89_182:                             ;   Parent Loop BB89_175 Depth=1
                                        ; =>  This Inner Loop Header: Depth=2
	s_waitcnt vmcnt(0)
	v_add_f32_e32 v10, v11, v4
	global_atomic_cmpswap v5, v[2:3], v[10:11], off offset:4 glc
	s_waitcnt vmcnt(0)
	v_cmp_eq_u32_e32 vcc, v5, v11
	s_or_b64 s[6:7], vcc, s[6:7]
	v_mov_b32_e32 v11, v5
	s_andn2_b64 exec, exec, s[6:7]
	s_cbranch_execnz .LBB89_182
; %bb.183:                              ;   in Loop: Header=BB89_175 Depth=1
	s_or_b64 exec, exec, s[6:7]
	v_add_co_u32_e32 v8, vcc, s36, v8
	v_addc_co_u32_e32 v9, vcc, v9, v18, vcc
	v_cmp_le_i64_e32 vcc, s[26:27], v[8:9]
	s_or_b64 s[4:5], vcc, s[4:5]
	s_andn2_b64 exec, exec, s[4:5]
	s_cbranch_execnz .LBB89_175
.LBB89_184:
	s_or_b64 exec, exec, s[0:1]
	s_mov_b64 s[0:1], 0
.LBB89_185:
	s_andn2_b64 vcc, exec, s[0:1]
	s_cbranch_vccnz .LBB89_216
; %bb.186:
	v_cvt_f32_u32_e32 v14, s18
	s_sub_i32 s6, 0, s18
	v_mov_b32_e32 v11, 0
	v_mov_b32_e32 v4, s35
	v_rcp_iflag_f32_e32 v2, v14
	v_mov_b32_e32 v12, s13
	v_mul_f32_e32 v2, 0x4f7ffffe, v2
	v_cvt_u32_f32_e32 v2, v2
	v_mul_lo_u32 v3, s6, v2
	v_mul_hi_u32 v3, v2, v3
	v_add_u32_e32 v2, v2, v3
	v_mul_hi_u32 v2, v0, v2
	v_mul_lo_u32 v3, v2, s18
	v_sub_u32_e32 v3, v0, v3
	v_add_u32_e32 v5, 1, v2
	v_cmp_le_u32_e32 vcc, s18, v3
	v_cndmask_b32_e32 v2, v2, v5, vcc
	v_subrev_u32_e32 v5, s18, v3
	v_cndmask_b32_e32 v3, v3, v5, vcc
	v_add_u32_e32 v5, 1, v2
	v_cmp_le_u32_e32 vcc, s18, v3
	v_cndmask_b32_e32 v10, v2, v5, vcc
	v_lshlrev_b64 v[2:3], 3, v[10:11]
	v_add_co_u32_e32 v2, vcc, s34, v2
	v_addc_co_u32_e32 v3, vcc, v4, v3, vcc
	global_load_dwordx4 v[2:5], v[2:3], off
	s_waitcnt vmcnt(0)
	v_subrev_co_u32_e32 v8, vcc, s12, v2
	v_subb_co_u32_e32 v9, vcc, v3, v12, vcc
	v_subrev_co_u32_e32 v18, vcc, s12, v4
	v_subb_co_u32_e32 v19, vcc, v5, v12, vcc
	v_sub_co_u32_e32 v3, vcc, v18, v8
	v_subb_co_u32_e32 v13, vcc, v19, v9, vcc
	v_mov_b32_e32 v12, v11
	v_cmp_ne_u64_e32 vcc, 0, v[12:13]
                                        ; implicit-def: $vgpr4_vgpr5
	s_and_saveexec_b64 s[0:1], vcc
	s_xor_b64 s[4:5], exec, s[0:1]
	s_cbranch_execz .LBB89_188
; %bb.187:
	v_cvt_f32_ubyte0_e32 v4, 0
	v_madmk_f32 v4, v4, 0x4f800000, v14
	v_rcp_f32_e32 v4, v4
	s_sub_u32 s0, 0, s18
	s_subb_u32 s1, 0, 0
	v_mul_f32_e32 v4, 0x5f7ffffc, v4
	v_mul_f32_e32 v5, 0x2f800000, v4
	v_trunc_f32_e32 v5, v5
	v_madmk_f32 v4, v5, 0xcf800000, v4
	v_cvt_u32_f32_e32 v5, v5
	v_cvt_u32_f32_e32 v4, v4
	v_mul_lo_u32 v12, s0, v5
	v_mul_hi_u32 v15, s0, v4
	v_mul_lo_u32 v14, s1, v4
	v_add_u32_e32 v12, v15, v12
	v_add_u32_e32 v12, v12, v14
	v_mul_lo_u32 v16, s0, v4
	v_mul_lo_u32 v15, v4, v12
	v_mul_hi_u32 v17, v4, v16
	v_mul_hi_u32 v14, v4, v12
	v_add_co_u32_e32 v15, vcc, v17, v15
	v_addc_co_u32_e32 v14, vcc, 0, v14, vcc
	v_mul_hi_u32 v20, v5, v16
	v_mul_lo_u32 v16, v5, v16
	v_add_co_u32_e32 v15, vcc, v15, v16
	v_mul_hi_u32 v17, v5, v12
	v_addc_co_u32_e32 v14, vcc, v14, v20, vcc
	v_addc_co_u32_e32 v15, vcc, 0, v17, vcc
	v_mul_lo_u32 v12, v5, v12
	v_add_co_u32_e32 v12, vcc, v14, v12
	v_addc_co_u32_e32 v14, vcc, 0, v15, vcc
	v_add_co_u32_e32 v4, vcc, v4, v12
	v_addc_co_u32_e32 v5, vcc, v5, v14, vcc
	v_mul_lo_u32 v12, s0, v5
	v_mul_hi_u32 v14, s0, v4
	v_add_u32_e32 v12, v14, v12
	v_mul_lo_u32 v14, s1, v4
	v_add_u32_e32 v12, v12, v14
	v_mul_lo_u32 v15, s0, v4
	v_mul_hi_u32 v16, v5, v15
	v_mul_lo_u32 v17, v5, v15
	v_mul_lo_u32 v21, v4, v12
	v_mul_hi_u32 v15, v4, v15
	v_mul_hi_u32 v20, v4, v12
	v_add_co_u32_e32 v15, vcc, v15, v21
	v_addc_co_u32_e32 v20, vcc, 0, v20, vcc
	v_add_co_u32_e32 v15, vcc, v15, v17
	v_mul_hi_u32 v14, v5, v12
	v_addc_co_u32_e32 v15, vcc, v20, v16, vcc
	v_addc_co_u32_e32 v14, vcc, 0, v14, vcc
	v_mul_lo_u32 v12, v5, v12
	v_add_co_u32_e32 v12, vcc, v15, v12
	v_addc_co_u32_e32 v14, vcc, 0, v14, vcc
	v_add_co_u32_e32 v12, vcc, v4, v12
	v_addc_co_u32_e32 v14, vcc, v5, v14, vcc
	v_ashrrev_i32_e32 v15, 31, v13
	v_add_co_u32_e32 v3, vcc, v3, v15
	v_addc_co_u32_e32 v4, vcc, v13, v15, vcc
	v_xor_b32_e32 v3, v3, v15
	v_xor_b32_e32 v16, v4, v15
	v_mad_u64_u32 v[4:5], s[0:1], v3, v14, 0
	v_mul_hi_u32 v13, v3, v12
	v_add_co_u32_e32 v17, vcc, v13, v4
	v_addc_co_u32_e32 v20, vcc, 0, v5, vcc
	v_mad_u64_u32 v[12:13], s[0:1], v16, v12, 0
	v_add_co_u32_e32 v12, vcc, v17, v12
	v_mad_u64_u32 v[4:5], s[0:1], v16, v14, 0
	v_addc_co_u32_e32 v12, vcc, v20, v13, vcc
	v_addc_co_u32_e32 v5, vcc, 0, v5, vcc
	v_add_co_u32_e32 v14, vcc, v12, v4
	v_addc_co_u32_e32 v17, vcc, 0, v5, vcc
	v_mad_u64_u32 v[4:5], s[0:1], s18, v14, 0
	v_mov_b32_e32 v12, v5
	v_mad_u64_u32 v[12:13], s[0:1], s18, v17, v[12:13]
	v_sub_co_u32_e32 v3, vcc, v3, v4
	v_subb_co_u32_e32 v4, vcc, v16, v12, vcc
	v_subrev_co_u32_e32 v5, vcc, s18, v3
	v_subbrev_co_u32_e32 v12, vcc, 0, v4, vcc
	v_cmp_le_u32_e32 vcc, s18, v5
	v_cndmask_b32_e64 v5, 0, -1, vcc
	v_cmp_eq_u32_e32 vcc, 0, v12
	v_cndmask_b32_e32 v5, -1, v5, vcc
	v_add_co_u32_e32 v12, vcc, 2, v14
	v_addc_co_u32_e32 v13, vcc, 0, v17, vcc
	v_add_co_u32_e32 v16, vcc, 1, v14
	v_cmp_le_u32_e64 s[0:1], s18, v3
	v_addc_co_u32_e32 v20, vcc, 0, v17, vcc
	v_cndmask_b32_e64 v3, 0, -1, s[0:1]
	v_cmp_eq_u32_e64 s[0:1], 0, v4
	v_cmp_ne_u32_e32 vcc, 0, v5
	v_cndmask_b32_e64 v3, -1, v3, s[0:1]
	v_cmp_ne_u32_e64 s[0:1], 0, v3
	v_cndmask_b32_e32 v4, v16, v12, vcc
	v_cndmask_b32_e32 v5, v20, v13, vcc
	v_cndmask_b32_e64 v4, v14, v4, s[0:1]
	v_cndmask_b32_e64 v3, v17, v5, s[0:1]
	v_xor_b32_e32 v4, v4, v15
	v_xor_b32_e32 v3, v3, v15
	v_sub_co_u32_e32 v4, vcc, v4, v15
	v_subb_co_u32_e32 v5, vcc, v3, v15, vcc
                                        ; implicit-def: $vgpr3
.LBB89_188:
	s_andn2_saveexec_b64 s[0:1], s[4:5]
	s_cbranch_execz .LBB89_190
; %bb.189:
	v_cvt_f32_u32_e32 v4, s18
	v_rcp_iflag_f32_e32 v4, v4
	v_mul_f32_e32 v4, 0x4f7ffffe, v4
	v_cvt_u32_f32_e32 v4, v4
	v_mul_lo_u32 v5, s6, v4
	v_mul_hi_u32 v5, v4, v5
	v_add_u32_e32 v4, v4, v5
	v_mul_hi_u32 v4, v3, v4
	v_mul_lo_u32 v5, v4, s18
	v_sub_u32_e32 v3, v3, v5
	v_add_u32_e32 v12, 1, v4
	v_subrev_u32_e32 v5, s18, v3
	v_cmp_le_u32_e32 vcc, s18, v3
	v_cndmask_b32_e32 v3, v3, v5, vcc
	v_cndmask_b32_e32 v4, v4, v12, vcc
	v_add_u32_e32 v5, 1, v4
	v_cmp_le_u32_e32 vcc, s18, v3
	v_cndmask_b32_e32 v4, v4, v5, vcc
	v_mov_b32_e32 v5, 0
.LBB89_190:
	s_or_b64 exec, exec, s[0:1]
	v_cmp_gt_i64_e32 vcc, s[28:29], v[10:11]
	v_mov_b32_e32 v11, 0
	v_mov_b32_e32 v10, 0
	s_and_saveexec_b64 s[0:1], vcc
	s_cbranch_execz .LBB89_204
; %bb.191:
	s_add_i32 s4, s18, -1
	v_and_b32_e32 v12, s4, v0
	v_cmp_lt_i64_e32 vcc, 0, v[4:5]
	s_mov_b32 s6, 0
	v_mov_b32_e32 v11, 0
	v_mov_b32_e32 v10, 0
	s_and_saveexec_b64 s[4:5], vcc
	s_cbranch_execz .LBB89_201
; %bb.192:
	s_mov_b32 s7, s6
	v_cmp_lt_u64_e32 vcc, 3, v[4:5]
	v_pk_mov_b32 v[10:11], s[6:7], s[6:7] op_sel:[0,1]
	v_pk_mov_b32 v[14:15], 0, 0
	s_and_saveexec_b64 s[6:7], vcc
	s_cbranch_execz .LBB89_196
; %bb.193:
	s_lshl_b32 s8, s18, 3
	s_lshl_b32 s9, s12, 3
	s_sub_i32 s13, s8, s9
	s_lshl_b32 s8, s18, 4
	v_lshlrev_b32_e32 v3, 3, v2
	s_sub_i32 s17, s8, s9
	s_mul_i32 s8, s18, 24
	v_mov_b32_e32 v10, 0
	v_and_b32_e32 v15, 0x7fffffff, v5
	v_and_b32_e32 v14, -4, v4
	v_lshl_add_u32 v3, v12, 3, v3
	s_lshl_b32 s16, s18, 5
	s_sub_i32 s19, s8, s9
	s_sub_i32 s20, 0, s9
	s_mov_b64 s[8:9], 0
	s_mov_b64 s[10:11], 0
	v_mov_b32_e32 v11, v10
.LBB89_194:                             ; =>This Inner Loop Header: Depth=1
	v_add_u32_e32 v13, s20, v3
	v_add_u32_e32 v20, s13, v3
	;; [unrolled: 1-line block ×4, first 2 shown]
	ds_read_b64 v[16:17], v13
	ds_read_b64 v[20:21], v20
	;; [unrolled: 1-line block ×4, first 2 shown]
	s_add_u32 s10, s10, 4
	s_waitcnt lgkmcnt(3)
	v_pk_add_f32 v[10:11], v[10:11], v[16:17]
	s_addc_u32 s11, s11, 0
	s_waitcnt lgkmcnt(2)
	v_pk_add_f32 v[10:11], v[10:11], v[20:21]
	v_cmp_eq_u64_e32 vcc, s[10:11], v[14:15]
	s_waitcnt lgkmcnt(1)
	v_pk_add_f32 v[10:11], v[10:11], v[22:23]
	v_add_u32_e32 v3, s16, v3
	s_or_b64 s[8:9], vcc, s[8:9]
	s_waitcnt lgkmcnt(0)
	v_pk_add_f32 v[10:11], v[10:11], v[24:25]
	s_andn2_b64 exec, exec, s[8:9]
	s_cbranch_execnz .LBB89_194
; %bb.195:
	s_or_b64 exec, exec, s[8:9]
.LBB89_196:
	s_or_b64 exec, exec, s[6:7]
	v_and_b32_e32 v16, 3, v4
	v_mov_b32_e32 v17, 0
	s_mov_b64 s[8:9], 0
	v_cmp_ne_u64_e32 vcc, 0, v[16:17]
	s_and_saveexec_b64 s[6:7], vcc
	s_cbranch_execz .LBB89_200
; %bb.197:
	v_mul_lo_u32 v3, s18, v14
	v_add3_u32 v2, v12, v3, v2
	v_subrev_u32_e32 v2, s12, v2
	v_lshlrev_b32_e32 v2, 3, v2
	s_lshl_b32 s10, s18, 3
.LBB89_198:                             ; =>This Inner Loop Header: Depth=1
	ds_read_b64 v[14:15], v2
	v_add_co_u32_e32 v16, vcc, -1, v16
	v_addc_co_u32_e32 v17, vcc, -1, v17, vcc
	v_cmp_eq_u64_e32 vcc, 0, v[16:17]
	v_add_u32_e32 v2, s10, v2
	s_or_b64 s[8:9], vcc, s[8:9]
	s_waitcnt lgkmcnt(0)
	v_pk_add_f32 v[10:11], v[10:11], v[14:15]
	s_andn2_b64 exec, exec, s[8:9]
	s_cbranch_execnz .LBB89_198
; %bb.199:
	s_or_b64 exec, exec, s[8:9]
.LBB89_200:
	s_or_b64 exec, exec, s[6:7]
.LBB89_201:
	s_or_b64 exec, exec, s[4:5]
	v_mad_u64_u32 v[2:3], s[4:5], v4, s18, v[8:9]
	v_mov_b32_e32 v4, v3
	v_mad_u64_u32 v[4:5], s[4:5], v5, s18, v[4:5]
	v_mov_b32_e32 v3, v4
	v_sub_co_u32_e32 v4, vcc, v18, v2
	v_mov_b32_e32 v13, 0
	v_subb_co_u32_e32 v5, vcc, v19, v3, vcc
	v_cmp_gt_i64_e32 vcc, v[4:5], v[12:13]
	s_and_saveexec_b64 s[4:5], vcc
	s_cbranch_execz .LBB89_203
; %bb.202:
	v_add_lshl_u32 v2, v12, v2, 3
	ds_read_b64 v[2:3], v2
	s_waitcnt lgkmcnt(0)
	v_pk_add_f32 v[10:11], v[10:11], v[2:3]
.LBB89_203:
	s_or_b64 exec, exec, s[4:5]
.LBB89_204:
	s_or_b64 exec, exec, s[0:1]
	v_cmp_gt_i64_e32 vcc, s[28:29], v[0:1]
	s_barrier
	ds_write_b64 v28, v[10:11]
	s_waitcnt lgkmcnt(0)
	s_barrier
	s_and_b64 exec, exec, vcc
	s_cbranch_execz .LBB89_216
; %bb.205:
	v_mul_lo_u32 v1, s18, v0
	s_mov_b32 s0, 0
	s_cmp_lt_u32 s18, 8
	s_cbranch_scc1 .LBB89_208
; %bb.206:
	v_mov_b32_e32 v2, 0
	s_and_b32 s0, s18, 0x7ffffff8
	v_lshlrev_b32_e32 v4, 3, v1
	s_mov_b32 s1, 0
	v_mov_b32_e32 v3, v2
.LBB89_207:                             ; =>This Inner Loop Header: Depth=1
	ds_read2_b64 v[8:11], v4 offset1:1
	ds_read2_b64 v[12:15], v4 offset0:2 offset1:3
	ds_read2_b64 v[16:19], v4 offset0:4 offset1:5
	;; [unrolled: 1-line block ×3, first 2 shown]
	s_add_i32 s1, s1, 8
	s_waitcnt lgkmcnt(3)
	v_pk_add_f32 v[2:3], v[2:3], v[8:9]
	v_pk_add_f32 v[2:3], v[2:3], v[10:11]
	s_waitcnt lgkmcnt(2)
	v_pk_add_f32 v[2:3], v[2:3], v[12:13]
	v_pk_add_f32 v[2:3], v[2:3], v[14:15]
	;; [unrolled: 3-line block ×3, first 2 shown]
	s_waitcnt lgkmcnt(0)
	v_pk_add_f32 v[2:3], v[2:3], v[20:21]
	v_add_u32_e32 v4, 64, v4
	s_cmp_eq_u32 s0, s1
	v_pk_add_f32 v[2:3], v[2:3], v[22:23]
	s_cbranch_scc0 .LBB89_207
	s_branch .LBB89_209
.LBB89_208:
	s_mov_b32 s1, s0
	v_pk_mov_b32 v[2:3], s[0:1], s[0:1] op_sel:[0,1]
.LBB89_209:
	s_bfe_u32 s1, s3, 0x30001
	s_cmp_eq_u32 s1, 0
	s_cbranch_scc1 .LBB89_212
; %bb.210:
	v_add_lshl_u32 v1, s0, v1, 3
.LBB89_211:                             ; =>This Inner Loop Header: Depth=1
	ds_read_b64 v[4:5], v1
	s_add_i32 s1, s1, -1
	v_add_u32_e32 v1, 8, v1
	s_cmp_lg_u32 s1, 0
	s_waitcnt lgkmcnt(0)
	v_pk_add_f32 v[2:3], v[2:3], v[4:5]
	s_cbranch_scc1 .LBB89_211
.LBB89_212:
	v_lshlrev_b64 v[4:5], 3, v[6:7]
	v_mov_b32_e32 v1, s15
	v_add_co_u32_e32 v4, vcc, s14, v4
	v_addc_co_u32_e32 v5, vcc, v1, v5, vcc
	global_load_dword v7, v[4:5], off
	s_lshl_b32 s0, s2, 3
	s_addk_i32 s0, 0x2000
	v_lshl_add_u32 v0, v0, 3, s0
	ds_read2_b32 v[0:1], v0 offset1:1
	s_mov_b64 s[0:1], 0
	s_waitcnt lgkmcnt(0)
	v_add_f32_e32 v0, v2, v0
.LBB89_213:                             ; =>This Inner Loop Header: Depth=1
	s_waitcnt vmcnt(0)
	v_add_f32_e32 v6, v7, v0
	global_atomic_cmpswap v2, v[4:5], v[6:7], off glc
	s_waitcnt vmcnt(0)
	v_cmp_eq_u32_e32 vcc, v2, v7
	s_or_b64 s[0:1], vcc, s[0:1]
	v_mov_b32_e32 v7, v2
	s_andn2_b64 exec, exec, s[0:1]
	s_cbranch_execnz .LBB89_213
; %bb.214:
	s_or_b64 exec, exec, s[0:1]
	global_load_dword v7, v[4:5], off offset:4
	v_add_f32_e32 v0, v3, v1
	s_mov_b64 s[0:1], 0
.LBB89_215:                             ; =>This Inner Loop Header: Depth=1
	s_waitcnt vmcnt(0)
	v_add_f32_e32 v6, v7, v0
	global_atomic_cmpswap v1, v[4:5], v[6:7], off offset:4 glc
	s_waitcnt vmcnt(0)
	v_cmp_eq_u32_e32 vcc, v1, v7
	s_or_b64 s[0:1], vcc, s[0:1]
	v_mov_b32_e32 v7, v1
	s_andn2_b64 exec, exec, s[0:1]
	s_cbranch_execnz .LBB89_215
.LBB89_216:
	s_endpgm
	.section	.rodata,"a",@progbits
	.p2align	6, 0x0
	.amdhsa_kernel _ZN9rocsparseL27csrmvn_symm_adaptive_kernelIllf21rocsparse_complex_numIfES2_S2_EEvbT_S3_PKS3_NS_24const_host_device_scalarIT4_EES5_PKT0_PKT1_PKT2_S8_PT3_21rocsparse_index_base_b
		.amdhsa_group_segment_fixed_size 8192
		.amdhsa_private_segment_fixed_size 0
		.amdhsa_kernarg_size 352
		.amdhsa_user_sgpr_count 6
		.amdhsa_user_sgpr_private_segment_buffer 1
		.amdhsa_user_sgpr_dispatch_ptr 0
		.amdhsa_user_sgpr_queue_ptr 0
		.amdhsa_user_sgpr_kernarg_segment_ptr 1
		.amdhsa_user_sgpr_dispatch_id 0
		.amdhsa_user_sgpr_flat_scratch_init 0
		.amdhsa_user_sgpr_kernarg_preload_length 0
		.amdhsa_user_sgpr_kernarg_preload_offset 0
		.amdhsa_user_sgpr_private_segment_size 0
		.amdhsa_uses_dynamic_stack 0
		.amdhsa_system_sgpr_private_segment_wavefront_offset 0
		.amdhsa_system_sgpr_workgroup_id_x 1
		.amdhsa_system_sgpr_workgroup_id_y 0
		.amdhsa_system_sgpr_workgroup_id_z 0
		.amdhsa_system_sgpr_workgroup_info 0
		.amdhsa_system_vgpr_workitem_id 0
		.amdhsa_next_free_vgpr 38
		.amdhsa_next_free_sgpr 52
		.amdhsa_accum_offset 40
		.amdhsa_reserve_vcc 1
		.amdhsa_reserve_flat_scratch 0
		.amdhsa_float_round_mode_32 0
		.amdhsa_float_round_mode_16_64 0
		.amdhsa_float_denorm_mode_32 3
		.amdhsa_float_denorm_mode_16_64 3
		.amdhsa_dx10_clamp 1
		.amdhsa_ieee_mode 1
		.amdhsa_fp16_overflow 0
		.amdhsa_tg_split 0
		.amdhsa_exception_fp_ieee_invalid_op 0
		.amdhsa_exception_fp_denorm_src 0
		.amdhsa_exception_fp_ieee_div_zero 0
		.amdhsa_exception_fp_ieee_overflow 0
		.amdhsa_exception_fp_ieee_underflow 0
		.amdhsa_exception_fp_ieee_inexact 0
		.amdhsa_exception_int_div_zero 0
	.end_amdhsa_kernel
	.section	.text._ZN9rocsparseL27csrmvn_symm_adaptive_kernelIllf21rocsparse_complex_numIfES2_S2_EEvbT_S3_PKS3_NS_24const_host_device_scalarIT4_EES5_PKT0_PKT1_PKT2_S8_PT3_21rocsparse_index_base_b,"axG",@progbits,_ZN9rocsparseL27csrmvn_symm_adaptive_kernelIllf21rocsparse_complex_numIfES2_S2_EEvbT_S3_PKS3_NS_24const_host_device_scalarIT4_EES5_PKT0_PKT1_PKT2_S8_PT3_21rocsparse_index_base_b,comdat
.Lfunc_end89:
	.size	_ZN9rocsparseL27csrmvn_symm_adaptive_kernelIllf21rocsparse_complex_numIfES2_S2_EEvbT_S3_PKS3_NS_24const_host_device_scalarIT4_EES5_PKT0_PKT1_PKT2_S8_PT3_21rocsparse_index_base_b, .Lfunc_end89-_ZN9rocsparseL27csrmvn_symm_adaptive_kernelIllf21rocsparse_complex_numIfES2_S2_EEvbT_S3_PKS3_NS_24const_host_device_scalarIT4_EES5_PKT0_PKT1_PKT2_S8_PT3_21rocsparse_index_base_b
                                        ; -- End function
	.section	.AMDGPU.csdata,"",@progbits
; Kernel info:
; codeLenInByte = 10328
; NumSgprs: 56
; NumVgprs: 38
; NumAgprs: 0
; TotalNumVgprs: 38
; ScratchSize: 0
; MemoryBound: 0
; FloatMode: 240
; IeeeMode: 1
; LDSByteSize: 8192 bytes/workgroup (compile time only)
; SGPRBlocks: 6
; VGPRBlocks: 4
; NumSGPRsForWavesPerEU: 56
; NumVGPRsForWavesPerEU: 38
; AccumOffset: 40
; Occupancy: 8
; WaveLimiterHint : 1
; COMPUTE_PGM_RSRC2:SCRATCH_EN: 0
; COMPUTE_PGM_RSRC2:USER_SGPR: 6
; COMPUTE_PGM_RSRC2:TRAP_HANDLER: 0
; COMPUTE_PGM_RSRC2:TGID_X_EN: 1
; COMPUTE_PGM_RSRC2:TGID_Y_EN: 0
; COMPUTE_PGM_RSRC2:TGID_Z_EN: 0
; COMPUTE_PGM_RSRC2:TIDIG_COMP_CNT: 0
; COMPUTE_PGM_RSRC3_GFX90A:ACCUM_OFFSET: 9
; COMPUTE_PGM_RSRC3_GFX90A:TG_SPLIT: 0
	.section	.text._ZL33csrmvn_symm_large_adaptive_kernelIllf21rocsparse_complex_numIfES1_S1_EvbT_PKS2_N9rocsparse24const_host_device_scalarIT4_EES4_PKT0_PKT1_PKT2_S8_PT3_21rocsparse_index_base_b,"axG",@progbits,_ZL33csrmvn_symm_large_adaptive_kernelIllf21rocsparse_complex_numIfES1_S1_EvbT_PKS2_N9rocsparse24const_host_device_scalarIT4_EES4_PKT0_PKT1_PKT2_S8_PT3_21rocsparse_index_base_b,comdat
	.globl	_ZL33csrmvn_symm_large_adaptive_kernelIllf21rocsparse_complex_numIfES1_S1_EvbT_PKS2_N9rocsparse24const_host_device_scalarIT4_EES4_PKT0_PKT1_PKT2_S8_PT3_21rocsparse_index_base_b ; -- Begin function _ZL33csrmvn_symm_large_adaptive_kernelIllf21rocsparse_complex_numIfES1_S1_EvbT_PKS2_N9rocsparse24const_host_device_scalarIT4_EES4_PKT0_PKT1_PKT2_S8_PT3_21rocsparse_index_base_b
	.p2align	8
	.type	_ZL33csrmvn_symm_large_adaptive_kernelIllf21rocsparse_complex_numIfES1_S1_EvbT_PKS2_N9rocsparse24const_host_device_scalarIT4_EES4_PKT0_PKT1_PKT2_S8_PT3_21rocsparse_index_base_b,@function
_ZL33csrmvn_symm_large_adaptive_kernelIllf21rocsparse_complex_numIfES1_S1_EvbT_PKS2_N9rocsparse24const_host_device_scalarIT4_EES4_PKT0_PKT1_PKT2_S8_PT3_21rocsparse_index_base_b: ; @_ZL33csrmvn_symm_large_adaptive_kernelIllf21rocsparse_complex_numIfES1_S1_EvbT_PKS2_N9rocsparse24const_host_device_scalarIT4_EES4_PKT0_PKT1_PKT2_S8_PT3_21rocsparse_index_base_b
; %bb.0:
	s_load_dwordx2 s[24:25], s[4:5], 0x50
	s_load_dwordx2 s[8:9], s[4:5], 0x18
	;; [unrolled: 1-line block ×3, first 2 shown]
	s_waitcnt lgkmcnt(0)
	s_bitcmp1_b32 s25, 0
	s_cselect_b64 s[0:1], -1, 0
	s_xor_b64 s[10:11], s[0:1], -1
	s_and_b64 vcc, exec, s[0:1]
	v_mov_b32_e32 v12, s8
	s_cbranch_vccnz .LBB90_2
; %bb.1:
	v_pk_mov_b32 v[2:3], s[8:9], s[8:9] op_sel:[0,1]
	flat_load_dword v12, v[2:3]
.LBB90_2:
	v_cndmask_b32_e64 v1, 0, 1, s[10:11]
	v_cmp_ne_u32_e64 s[0:1], 1, v1
	s_andn2_b64 vcc, exec, s[10:11]
	v_mov_b32_e32 v13, s9
	s_cbranch_vccz .LBB90_11
; %bb.3:
	s_and_b64 vcc, exec, s[0:1]
	v_mov_b32_e32 v1, s2
	s_cbranch_vccz .LBB90_12
.LBB90_4:
	s_and_b64 vcc, exec, s[0:1]
	v_mov_b32_e32 v2, s3
	s_cbranch_vccnz .LBB90_6
.LBB90_5:
	v_pk_mov_b32 v[2:3], s[2:3], s[2:3] op_sel:[0,1]
	flat_load_dword v2, v[2:3] offset:4
.LBB90_6:
	s_waitcnt vmcnt(0) lgkmcnt(0)
	v_cmp_eq_f32_e32 vcc, 0, v12
	v_cmp_eq_f32_e64 s[0:1], 0, v13
	s_and_b64 s[8:9], vcc, s[0:1]
	s_mov_b64 s[0:1], -1
	s_and_saveexec_b64 s[2:3], s[8:9]
; %bb.7:
	v_cmp_neq_f32_e32 vcc, 1.0, v1
	v_and_b32_e32 v1, 0x7fffffff, v2
	v_cmp_ne_u32_e64 s[0:1], 0, v1
	s_or_b64 s[0:1], vcc, s[0:1]
	s_orn2_b64 s[0:1], s[0:1], exec
; %bb.8:
	s_or_b64 exec, exec, s[2:3]
	s_and_saveexec_b64 s[2:3], s[0:1]
	s_cbranch_execz .LBB90_55
; %bb.9:
	s_load_dwordx2 s[0:1], s[4:5], 0x10
	s_ashr_i32 s7, s6, 31
	s_mov_b32 s2, 0
	s_lshl_b64 s[6:7], s[6:7], 3
	s_mov_b32 s3, s2
	s_waitcnt lgkmcnt(0)
	s_add_u32 s0, s0, s6
	v_lshlrev_b32_e32 v14, 3, v0
	v_pk_mov_b32 v[2:3], s[2:3], s[2:3] op_sel:[0,1]
	s_addc_u32 s1, s1, s7
	ds_write2st64_b64 v14, v[2:3], v[2:3] offset1:4
	ds_write2st64_b64 v14, v[2:3], v[2:3] offset0:8 offset1:12
	s_waitcnt lgkmcnt(0)
	s_barrier
	s_load_dwordx4 s[20:23], s[0:1], 0x0
	s_load_dwordx8 s[12:19], s[4:5], 0x20
	s_load_dwordx2 s[26:27], s[4:5], 0x48
	v_subrev_co_u32_e64 v15, s[0:1], s24, v0
	s_waitcnt lgkmcnt(0)
	v_pk_mov_b32 v[2:3], s[22:23], s[22:23] op_sel:[0,1]
	v_cmp_lt_i64_e32 vcc, s[20:21], v[2:3]
	s_mov_b32 s25, s2
	v_subb_co_u32_e64 v16, s[0:1], 0, 0, s[0:1]
	s_cbranch_vccnz .LBB90_13
; %bb.10:
	s_lshl_b64 s[0:1], s[20:21], 3
	s_add_u32 s0, s12, s0
	s_addc_u32 s1, s13, s1
	s_load_dwordx2 s[28:29], s[0:1], 0x0
	s_cbranch_execz .LBB90_14
	s_branch .LBB90_43
.LBB90_11:
	v_pk_mov_b32 v[2:3], s[8:9], s[8:9] op_sel:[0,1]
	flat_load_dword v13, v[2:3] offset:4
	s_and_b64 vcc, exec, s[0:1]
	v_mov_b32_e32 v1, s2
	s_cbranch_vccnz .LBB90_4
.LBB90_12:
	v_pk_mov_b32 v[2:3], s[2:3], s[2:3] op_sel:[0,1]
	flat_load_dword v1, v[2:3]
	s_and_b64 vcc, exec, s[0:1]
	v_mov_b32_e32 v2, s3
	s_cbranch_vccz .LBB90_5
	s_branch .LBB90_6
.LBB90_13:
                                        ; implicit-def: $sgpr28_sgpr29
.LBB90_14:
	s_lshl_b64 s[10:11], s[20:21], 3
	s_add_u32 s10, s12, s10
	s_addc_u32 s11, s13, s11
	s_waitcnt lgkmcnt(0)
	s_load_dwordx2 s[28:29], s[10:11], 0x0
	s_movk_i32 s33, 0x100
	s_add_u32 s44, s12, 8
	v_cmp_gt_u32_e64 s[0:1], s33, v0
	v_cmp_gt_u32_e64 s[2:3], 64, v0
	;; [unrolled: 1-line block ×4, first 2 shown]
	v_cmp_eq_u32_e64 s[8:9], 0, v0
	s_addc_u32 s45, s13, 0
	v_mov_b32_e32 v17, s25
	v_mov_b32_e32 v18, s19
	;; [unrolled: 1-line block ×3, first 2 shown]
	v_bfrev_b32_e32 v2, 1
	s_waitcnt lgkmcnt(0)
	s_mov_b64 s[34:35], s[28:29]
	s_mov_b64 s[30:31], s[20:21]
	s_branch .LBB90_16
.LBB90_15:                              ;   in Loop: Header=BB90_16 Depth=1
	s_or_b64 exec, exec, s[10:11]
	s_add_u32 s30, s30, 1
	s_addc_u32 s31, s31, 0
	v_pk_mov_b32 v[4:5], s[22:23], s[22:23] op_sel:[0,1]
	v_cmp_ge_i64_e32 vcc, s[30:31], v[4:5]
	s_cbranch_vccnz .LBB90_43
.LBB90_16:                              ; =>This Loop Header: Depth=1
                                        ;     Child Loop BB90_18 Depth 2
                                        ;     Child Loop BB90_32 Depth 2
	;; [unrolled: 1-line block ×5, first 2 shown]
	s_lshl_b64 s[36:37], s[30:31], 3
	s_mov_b64 s[10:11], s[34:35]
	s_add_u32 s34, s44, s36
	s_addc_u32 s35, s45, s37
	s_load_dwordx2 s[34:35], s[34:35], 0x0
	v_mov_b32_e32 v0, s11
	v_add_co_u32_e32 v4, vcc, s10, v15
	v_addc_co_u32_e32 v5, vcc, v0, v16, vcc
	s_waitcnt lgkmcnt(0)
	s_sub_u32 s38, s34, s24
	s_subb_u32 s39, s35, 0
	v_cmp_gt_i64_e32 vcc, s[38:39], v[4:5]
	v_mov_b32_e32 v7, v1
	v_mov_b32_e32 v6, v1
	s_and_saveexec_b64 s[40:41], vcc
	s_cbranch_execz .LBB90_20
; %bb.17:                               ;   in Loop: Header=BB90_16 Depth=1
	v_lshlrev_b64 v[6:7], 3, v[4:5]
	v_mov_b32_e32 v0, s15
	v_add_co_u32_e32 v8, vcc, s14, v6
	v_addc_co_u32_e32 v9, vcc, v0, v7, vcc
	v_lshlrev_b64 v[6:7], 2, v[4:5]
	v_mov_b32_e32 v0, s17
	v_add_co_u32_e32 v10, vcc, s16, v6
	v_mov_b32_e32 v6, 0
	v_addc_co_u32_e32 v11, vcc, v0, v7, vcc
	s_mov_b64 s[42:43], 0
	v_mov_b32_e32 v7, v6
.LBB90_18:                              ;   Parent Loop BB90_16 Depth=1
                                        ; =>  This Inner Loop Header: Depth=2
	global_load_dwordx2 v[20:21], v[8:9], off
	global_load_dword v0, v[10:11], off
	s_waitcnt vmcnt(1)
	v_subrev_co_u32_e32 v20, vcc, s24, v20
	v_subb_co_u32_e32 v21, vcc, v21, v17, vcc
	v_lshlrev_b64 v[20:21], 3, v[20:21]
	v_add_co_u32_e32 v20, vcc, s18, v20
	v_addc_co_u32_e32 v21, vcc, v18, v21, vcc
	global_load_dwordx2 v[20:21], v[20:21], off
	v_add_co_u32_e32 v4, vcc, s33, v4
	v_addc_co_u32_e32 v5, vcc, 0, v5, vcc
	v_add_co_u32_e32 v8, vcc, 0x800, v8
	v_addc_co_u32_e32 v9, vcc, 0, v9, vcc
	v_add_co_u32_e32 v10, vcc, 0x400, v10
	v_cmp_le_i64_e64 s[10:11], s[38:39], v[4:5]
	s_waitcnt vmcnt(1)
	v_mov_b32_e32 v3, v0
	v_addc_co_u32_e32 v11, vcc, 0, v11, vcc
	s_or_b64 s[42:43], s[10:11], s[42:43]
	s_waitcnt vmcnt(0)
	v_pk_fma_f32 v[6:7], v[20:21], v[0:1], v[6:7] op_sel_hi:[0,1,1]
	v_pk_fma_f32 v[6:7], v[20:21], v[2:3], v[6:7] op_sel:[1,0,0]
	s_andn2_b64 exec, exec, s[42:43]
	s_cbranch_execnz .LBB90_18
; %bb.19:                               ;   in Loop: Header=BB90_16 Depth=1
	s_or_b64 exec, exec, s[42:43]
.LBB90_20:                              ;   in Loop: Header=BB90_16 Depth=1
	s_or_b64 exec, exec, s[40:41]
	ds_write_b64 v14, v[6:7]
	s_waitcnt lgkmcnt(0)
	s_barrier
	s_and_saveexec_b64 s[10:11], s[0:1]
	s_cbranch_execz .LBB90_22
; %bb.21:                               ;   in Loop: Header=BB90_16 Depth=1
	ds_read2st64_b64 v[4:7], v14 offset1:4
	ds_read2st64_b64 v[8:11], v14 offset0:8 offset1:12
	s_waitcnt lgkmcnt(0)
	v_pk_add_f32 v[6:7], v[8:9], v[6:7]
	v_pk_add_f32 v[6:7], v[6:7], v[10:11]
	;; [unrolled: 1-line block ×3, first 2 shown]
	ds_write_b64 v14, v[4:5]
.LBB90_22:                              ;   in Loop: Header=BB90_16 Depth=1
	s_or_b64 exec, exec, s[10:11]
	s_waitcnt lgkmcnt(0)
	s_barrier
	s_and_saveexec_b64 s[10:11], s[2:3]
	s_cbranch_execz .LBB90_24
; %bb.23:                               ;   in Loop: Header=BB90_16 Depth=1
	ds_read2st64_b64 v[4:7], v14 offset1:1
	ds_read2st64_b64 v[8:11], v14 offset0:2 offset1:3
	s_waitcnt lgkmcnt(0)
	v_pk_add_f32 v[6:7], v[8:9], v[6:7]
	v_pk_add_f32 v[6:7], v[6:7], v[10:11]
	;; [unrolled: 1-line block ×3, first 2 shown]
	ds_write_b64 v14, v[4:5]
.LBB90_24:                              ;   in Loop: Header=BB90_16 Depth=1
	s_or_b64 exec, exec, s[10:11]
	s_waitcnt lgkmcnt(0)
	s_barrier
	s_and_saveexec_b64 s[10:11], s[4:5]
	s_cbranch_execz .LBB90_26
; %bb.25:                               ;   in Loop: Header=BB90_16 Depth=1
	ds_read2_b64 v[4:7], v14 offset1:16
	ds_read2_b64 v[8:11], v14 offset0:32 offset1:48
	s_waitcnt lgkmcnt(0)
	v_pk_add_f32 v[6:7], v[8:9], v[6:7]
	v_pk_add_f32 v[6:7], v[6:7], v[10:11]
	;; [unrolled: 1-line block ×3, first 2 shown]
	ds_write_b64 v14, v[4:5]
.LBB90_26:                              ;   in Loop: Header=BB90_16 Depth=1
	s_or_b64 exec, exec, s[10:11]
	s_waitcnt lgkmcnt(0)
	s_barrier
	s_and_saveexec_b64 s[10:11], s[6:7]
	s_cbranch_execz .LBB90_28
; %bb.27:                               ;   in Loop: Header=BB90_16 Depth=1
	ds_read2_b64 v[4:7], v14 offset1:4
	ds_read2_b64 v[8:11], v14 offset0:8 offset1:12
	s_waitcnt lgkmcnt(0)
	v_pk_add_f32 v[6:7], v[8:9], v[6:7]
	v_pk_add_f32 v[6:7], v[6:7], v[10:11]
	;; [unrolled: 1-line block ×3, first 2 shown]
	ds_write_b64 v14, v[4:5]
.LBB90_28:                              ;   in Loop: Header=BB90_16 Depth=1
	s_or_b64 exec, exec, s[10:11]
	s_waitcnt lgkmcnt(0)
	s_barrier
	s_and_saveexec_b64 s[10:11], s[8:9]
	s_cbranch_execz .LBB90_30
; %bb.29:                               ;   in Loop: Header=BB90_16 Depth=1
	ds_read_b128 v[4:7], v1 offset:16
	ds_read_b64 v[8:9], v1 offset:8
	ds_read_b64 v[10:11], v14
	s_waitcnt lgkmcnt(1)
	v_pk_add_f32 v[4:5], v[4:5], v[8:9]
	v_pk_add_f32 v[4:5], v[4:5], v[6:7]
	s_waitcnt lgkmcnt(0)
	v_pk_add_f32 v[4:5], v[4:5], v[10:11]
	ds_write_b64 v14, v[4:5]
.LBB90_30:                              ;   in Loop: Header=BB90_16 Depth=1
	s_or_b64 exec, exec, s[10:11]
	s_waitcnt lgkmcnt(0)
	s_barrier
	s_and_saveexec_b64 s[10:11], s[8:9]
	s_cbranch_execz .LBB90_15
; %bb.31:                               ;   in Loop: Header=BB90_16 Depth=1
	ds_read_b64 v[4:5], v1
	s_mov_b64 s[38:39], exec
	v_bfrev_b32_e32 v0, 1
	s_waitcnt lgkmcnt(0)
	v_mul_f32_e64 v3, v5, -v13
	v_fmac_f32_e32 v3, v12, v4
.LBB90_32:                              ;   Parent Loop BB90_16 Depth=1
                                        ; =>  This Inner Loop Header: Depth=2
	s_ff1_i32_b64 s40, s[38:39]
	v_readlane_b32 s42, v3, s40
	s_lshl_b64 s[40:41], 1, s40
	s_andn2_b64 s[38:39], s[38:39], s[40:41]
	s_cmp_lg_u64 s[38:39], 0
	v_add_f32_e32 v0, s42, v0
	s_cbranch_scc1 .LBB90_32
; %bb.33:                               ;   in Loop: Header=BB90_16 Depth=1
	v_mbcnt_lo_u32_b32 v3, exec_lo, 0
	s_add_u32 s36, s26, s36
	v_mbcnt_hi_u32_b32 v3, exec_hi, v3
	s_addc_u32 s37, s27, s37
	v_cmp_eq_u32_e32 vcc, 0, v3
	s_and_saveexec_b64 s[38:39], vcc
	s_xor_b64 s[38:39], exec, s[38:39]
	s_cbranch_execz .LBB90_37
; %bb.34:                               ;   in Loop: Header=BB90_16 Depth=1
	global_load_dword v7, v1, s[36:37]
	s_mov_b64 s[40:41], 0
.LBB90_35:                              ;   Parent Loop BB90_16 Depth=1
                                        ; =>  This Inner Loop Header: Depth=2
	s_waitcnt vmcnt(0)
	v_add_f32_e32 v6, v7, v0
	global_atomic_cmpswap v3, v1, v[6:7], s[36:37] glc
	s_waitcnt vmcnt(0)
	v_cmp_eq_u32_e32 vcc, v3, v7
	s_or_b64 s[40:41], vcc, s[40:41]
	v_mov_b32_e32 v7, v3
	s_andn2_b64 exec, exec, s[40:41]
	s_cbranch_execnz .LBB90_35
; %bb.36:                               ;   in Loop: Header=BB90_16 Depth=1
	s_or_b64 exec, exec, s[40:41]
.LBB90_37:                              ;   in Loop: Header=BB90_16 Depth=1
	s_or_b64 exec, exec, s[38:39]
	v_mul_f32_e32 v3, v5, v12
	s_mov_b64 s[38:39], exec
	v_fmac_f32_e32 v3, v13, v4
	v_bfrev_b32_e32 v0, 1
.LBB90_38:                              ;   Parent Loop BB90_16 Depth=1
                                        ; =>  This Inner Loop Header: Depth=2
	s_ff1_i32_b64 s40, s[38:39]
	v_readlane_b32 s42, v3, s40
	s_lshl_b64 s[40:41], 1, s40
	s_andn2_b64 s[38:39], s[38:39], s[40:41]
	s_cmp_lg_u64 s[38:39], 0
	v_add_f32_e32 v0, s42, v0
	s_cbranch_scc1 .LBB90_38
; %bb.39:                               ;   in Loop: Header=BB90_16 Depth=1
	v_mbcnt_lo_u32_b32 v3, exec_lo, 0
	v_mbcnt_hi_u32_b32 v3, exec_hi, v3
	v_cmp_eq_u32_e32 vcc, 0, v3
	s_and_saveexec_b64 s[38:39], vcc
	s_xor_b64 s[38:39], exec, s[38:39]
	s_cbranch_execz .LBB90_15
; %bb.40:                               ;   in Loop: Header=BB90_16 Depth=1
	global_load_dword v5, v1, s[36:37] offset:4
	s_mov_b64 s[38:39], 0
.LBB90_41:                              ;   Parent Loop BB90_16 Depth=1
                                        ; =>  This Inner Loop Header: Depth=2
	s_waitcnt vmcnt(0)
	v_add_f32_e32 v4, v5, v0
	global_atomic_cmpswap v3, v1, v[4:5], s[36:37] offset:4 glc
	s_waitcnt vmcnt(0)
	v_cmp_eq_u32_e32 vcc, v3, v5
	s_or_b64 s[38:39], vcc, s[38:39]
	v_mov_b32_e32 v5, v3
	s_andn2_b64 exec, exec, s[38:39]
	s_cbranch_execnz .LBB90_41
; %bb.42:                               ;   in Loop: Header=BB90_16 Depth=1
	s_or_b64 exec, exec, s[38:39]
	s_branch .LBB90_15
.LBB90_43:
	s_lshl_b64 s[0:1], s[22:23], 3
	s_add_u32 s0, s12, s0
	s_addc_u32 s1, s13, s1
	s_load_dwordx2 s[0:1], s[0:1], 0x0
	s_waitcnt lgkmcnt(0)
	v_mov_b32_e32 v1, s29
	v_add_co_u32_e32 v0, vcc, s28, v15
	v_addc_co_u32_e32 v1, vcc, v1, v16, vcc
	s_sub_u32 s4, s0, s24
	s_subb_u32 s5, s1, 0
	v_cmp_gt_i64_e32 vcc, s[4:5], v[0:1]
	s_and_b64 exec, exec, vcc
	s_cbranch_execz .LBB90_55
; %bb.44:
	s_add_u32 s6, s22, -1
	s_addc_u32 s7, s23, -1
	s_add_u32 s0, s22, -2
	s_addc_u32 s1, s23, -1
	v_pk_mov_b32 v[2:3], s[20:21], s[20:21] op_sel:[0,1]
	s_cmp_lg_u64 s[0:1], s[20:21]
	v_cmp_gt_i64_e32 vcc, s[6:7], v[2:3]
	s_cselect_b64 s[0:1], -1, 0
	s_and_b64 s[0:1], vcc, s[0:1]
	v_cndmask_b32_e64 v2, 0, 1, s[0:1]
	v_mul_f32_e32 v8, 0x80000000, v13
	v_mul_f32_e32 v9, 0, v12
	s_mov_b64 s[8:9], 0
	v_cmp_ne_u32_e64 s[0:1], 1, v2
	v_mov_b32_e32 v10, s13
	v_mov_b32_e32 v11, s25
	;; [unrolled: 1-line block ×3, first 2 shown]
	s_branch .LBB90_46
.LBB90_45:                              ;   in Loop: Header=BB90_46 Depth=1
	s_or_b64 exec, exec, s[2:3]
	v_add_co_u32_e32 v0, vcc, 0x100, v0
	v_addc_co_u32_e32 v1, vcc, 0, v1, vcc
	v_cmp_le_i64_e32 vcc, s[4:5], v[0:1]
	s_or_b64 s[8:9], vcc, s[8:9]
	s_andn2_b64 exec, exec, s[8:9]
	s_cbranch_execz .LBB90_55
.LBB90_46:                              ; =>This Loop Header: Depth=1
                                        ;     Child Loop BB90_48 Depth 2
                                        ;     Child Loop BB90_52 Depth 2
                                        ;     Child Loop BB90_54 Depth 2
	s_and_b64 vcc, exec, s[0:1]
	v_pk_mov_b32 v[2:3], s[20:21], s[20:21] op_sel:[0,1]
	v_pk_mov_b32 v[4:5], s[6:7], s[6:7] op_sel:[0,1]
	s_cbranch_vccnz .LBB90_50
; %bb.47:                               ;   in Loop: Header=BB90_46 Depth=1
	s_mov_b64 s[10:11], 0
	v_pk_mov_b32 v[2:3], s[20:21], s[20:21] op_sel:[0,1]
	v_pk_mov_b32 v[4:5], s[6:7], s[6:7] op_sel:[0,1]
.LBB90_48:                              ;   Parent Loop BB90_46 Depth=1
                                        ; =>  This Inner Loop Header: Depth=2
	v_add_co_u32_e32 v6, vcc, v4, v2
	v_addc_co_u32_e32 v7, vcc, v5, v3, vcc
	v_lshrrev_b32_e32 v16, 31, v7
	v_add_co_u32_e32 v6, vcc, v6, v16
	v_addc_co_u32_e32 v7, vcc, 0, v7, vcc
	v_ashrrev_i64 v[6:7], 1, v[6:7]
	v_lshlrev_b64 v[16:17], 3, v[6:7]
	v_mov_b32_e32 v15, s13
	v_add_co_u32_e32 v16, vcc, s12, v16
	v_addc_co_u32_e32 v17, vcc, v15, v17, vcc
	global_load_dwordx2 v[16:17], v[16:17], off
	v_mov_b32_e32 v15, s25
	s_waitcnt vmcnt(0)
	v_subrev_co_u32_e32 v16, vcc, s24, v16
	v_subb_co_u32_e32 v17, vcc, v17, v15, vcc
	v_cmp_gt_i64_e32 vcc, v[16:17], v[0:1]
	v_cndmask_b32_e32 v4, v4, v6, vcc
	v_cndmask_b32_e32 v5, v5, v7, vcc
	;; [unrolled: 1-line block ×3, first 2 shown]
	v_add_co_u32_e64 v6, s[2:3], -1, v4
	v_cndmask_b32_e32 v3, v7, v3, vcc
	v_addc_co_u32_e64 v7, s[2:3], -1, v5, s[2:3]
	v_cmp_ge_i64_e32 vcc, v[2:3], v[4:5]
	v_cmp_eq_u64_e64 s[2:3], v[2:3], v[6:7]
	s_or_b64 s[2:3], vcc, s[2:3]
	s_and_b64 s[2:3], exec, s[2:3]
	s_or_b64 s[10:11], s[2:3], s[10:11]
	s_andn2_b64 exec, exec, s[10:11]
	s_cbranch_execnz .LBB90_48
; %bb.49:                               ;   in Loop: Header=BB90_46 Depth=1
	s_or_b64 exec, exec, s[10:11]
.LBB90_50:                              ;   in Loop: Header=BB90_46 Depth=1
	v_lshlrev_b64 v[6:7], 3, v[4:5]
	v_add_co_u32_e32 v6, vcc, s12, v6
	v_addc_co_u32_e32 v7, vcc, v10, v7, vcc
	global_load_dwordx2 v[6:7], v[6:7], off
	v_lshlrev_b64 v[16:17], 3, v[0:1]
	v_add_co_u32_e32 v16, vcc, s14, v16
	v_addc_co_u32_e32 v17, vcc, v14, v17, vcc
	global_load_dwordx2 v[16:17], v[16:17], off
	s_waitcnt vmcnt(1)
	v_subrev_co_u32_e32 v6, vcc, s24, v6
	v_subb_co_u32_e32 v7, vcc, v7, v11, vcc
	v_cmp_gt_i64_e32 vcc, v[6:7], v[0:1]
	v_cndmask_b32_e32 v3, v5, v3, vcc
	v_cndmask_b32_e32 v2, v4, v2, vcc
	s_waitcnt vmcnt(0)
	v_subrev_co_u32_e32 v4, vcc, s24, v16
	v_subb_co_u32_e32 v5, vcc, v17, v11, vcc
	v_cmp_ne_u64_e32 vcc, v[4:5], v[2:3]
	s_and_saveexec_b64 s[2:3], vcc
	s_cbranch_execz .LBB90_45
; %bb.51:                               ;   in Loop: Header=BB90_46 Depth=1
	v_lshlrev_b64 v[6:7], 3, v[4:5]
	v_lshlrev_b64 v[4:5], 2, v[0:1]
	v_mov_b32_e32 v16, s17
	v_add_co_u32_e32 v4, vcc, s16, v4
	v_addc_co_u32_e32 v5, vcc, v16, v5, vcc
	v_lshlrev_b64 v[2:3], 3, v[2:3]
	global_load_dword v16, v[4:5], off
	v_mov_b32_e32 v4, s19
	v_add_co_u32_e32 v2, vcc, s18, v2
	v_addc_co_u32_e32 v3, vcc, v4, v3, vcc
	v_mov_b32_e32 v15, s27
	global_load_dwordx2 v[4:5], v[2:3], off
	v_add_co_u32_e32 v2, vcc, s26, v6
	v_addc_co_u32_e32 v3, vcc, v15, v7, vcc
	global_load_dword v7, v[2:3], off
	s_mov_b64 s[10:11], 0
	s_waitcnt vmcnt(2)
	v_fma_f32 v15, v12, v16, v8
	v_fma_f32 v16, v13, v16, v9
	s_waitcnt vmcnt(1)
	v_mul_f32_e64 v17, v5, -v16
	v_fmac_f32_e32 v17, v15, v4
.LBB90_52:                              ;   Parent Loop BB90_46 Depth=1
                                        ; =>  This Inner Loop Header: Depth=2
	s_waitcnt vmcnt(0)
	v_add_f32_e32 v6, v7, v17
	global_atomic_cmpswap v6, v[2:3], v[6:7], off glc
	s_waitcnt vmcnt(0)
	v_cmp_eq_u32_e32 vcc, v6, v7
	s_or_b64 s[10:11], vcc, s[10:11]
	v_mov_b32_e32 v7, v6
	s_andn2_b64 exec, exec, s[10:11]
	s_cbranch_execnz .LBB90_52
; %bb.53:                               ;   in Loop: Header=BB90_46 Depth=1
	s_or_b64 exec, exec, s[10:11]
	global_load_dword v7, v[2:3], off offset:4
	v_mul_f32_e32 v5, v15, v5
	v_fmac_f32_e32 v5, v16, v4
	s_mov_b64 s[10:11], 0
.LBB90_54:                              ;   Parent Loop BB90_46 Depth=1
                                        ; =>  This Inner Loop Header: Depth=2
	s_waitcnt vmcnt(0)
	v_add_f32_e32 v6, v7, v5
	global_atomic_cmpswap v4, v[2:3], v[6:7], off offset:4 glc
	s_waitcnt vmcnt(0)
	v_cmp_eq_u32_e32 vcc, v4, v7
	s_or_b64 s[10:11], vcc, s[10:11]
	v_mov_b32_e32 v7, v4
	s_andn2_b64 exec, exec, s[10:11]
	s_cbranch_execnz .LBB90_54
	s_branch .LBB90_45
.LBB90_55:
	s_endpgm
	.section	.rodata,"a",@progbits
	.p2align	6, 0x0
	.amdhsa_kernel _ZL33csrmvn_symm_large_adaptive_kernelIllf21rocsparse_complex_numIfES1_S1_EvbT_PKS2_N9rocsparse24const_host_device_scalarIT4_EES4_PKT0_PKT1_PKT2_S8_PT3_21rocsparse_index_base_b
		.amdhsa_group_segment_fixed_size 8192
		.amdhsa_private_segment_fixed_size 0
		.amdhsa_kernarg_size 88
		.amdhsa_user_sgpr_count 6
		.amdhsa_user_sgpr_private_segment_buffer 1
		.amdhsa_user_sgpr_dispatch_ptr 0
		.amdhsa_user_sgpr_queue_ptr 0
		.amdhsa_user_sgpr_kernarg_segment_ptr 1
		.amdhsa_user_sgpr_dispatch_id 0
		.amdhsa_user_sgpr_flat_scratch_init 0
		.amdhsa_user_sgpr_kernarg_preload_length 0
		.amdhsa_user_sgpr_kernarg_preload_offset 0
		.amdhsa_user_sgpr_private_segment_size 0
		.amdhsa_uses_dynamic_stack 0
		.amdhsa_system_sgpr_private_segment_wavefront_offset 0
		.amdhsa_system_sgpr_workgroup_id_x 1
		.amdhsa_system_sgpr_workgroup_id_y 0
		.amdhsa_system_sgpr_workgroup_id_z 0
		.amdhsa_system_sgpr_workgroup_info 0
		.amdhsa_system_vgpr_workitem_id 0
		.amdhsa_next_free_vgpr 22
		.amdhsa_next_free_sgpr 46
		.amdhsa_accum_offset 24
		.amdhsa_reserve_vcc 1
		.amdhsa_reserve_flat_scratch 0
		.amdhsa_float_round_mode_32 0
		.amdhsa_float_round_mode_16_64 0
		.amdhsa_float_denorm_mode_32 3
		.amdhsa_float_denorm_mode_16_64 3
		.amdhsa_dx10_clamp 1
		.amdhsa_ieee_mode 1
		.amdhsa_fp16_overflow 0
		.amdhsa_tg_split 0
		.amdhsa_exception_fp_ieee_invalid_op 0
		.amdhsa_exception_fp_denorm_src 0
		.amdhsa_exception_fp_ieee_div_zero 0
		.amdhsa_exception_fp_ieee_overflow 0
		.amdhsa_exception_fp_ieee_underflow 0
		.amdhsa_exception_fp_ieee_inexact 0
		.amdhsa_exception_int_div_zero 0
	.end_amdhsa_kernel
	.section	.text._ZL33csrmvn_symm_large_adaptive_kernelIllf21rocsparse_complex_numIfES1_S1_EvbT_PKS2_N9rocsparse24const_host_device_scalarIT4_EES4_PKT0_PKT1_PKT2_S8_PT3_21rocsparse_index_base_b,"axG",@progbits,_ZL33csrmvn_symm_large_adaptive_kernelIllf21rocsparse_complex_numIfES1_S1_EvbT_PKS2_N9rocsparse24const_host_device_scalarIT4_EES4_PKT0_PKT1_PKT2_S8_PT3_21rocsparse_index_base_b,comdat
.Lfunc_end90:
	.size	_ZL33csrmvn_symm_large_adaptive_kernelIllf21rocsparse_complex_numIfES1_S1_EvbT_PKS2_N9rocsparse24const_host_device_scalarIT4_EES4_PKT0_PKT1_PKT2_S8_PT3_21rocsparse_index_base_b, .Lfunc_end90-_ZL33csrmvn_symm_large_adaptive_kernelIllf21rocsparse_complex_numIfES1_S1_EvbT_PKS2_N9rocsparse24const_host_device_scalarIT4_EES4_PKT0_PKT1_PKT2_S8_PT3_21rocsparse_index_base_b
                                        ; -- End function
	.section	.AMDGPU.csdata,"",@progbits
; Kernel info:
; codeLenInByte = 2220
; NumSgprs: 50
; NumVgprs: 22
; NumAgprs: 0
; TotalNumVgprs: 22
; ScratchSize: 0
; MemoryBound: 0
; FloatMode: 240
; IeeeMode: 1
; LDSByteSize: 8192 bytes/workgroup (compile time only)
; SGPRBlocks: 6
; VGPRBlocks: 2
; NumSGPRsForWavesPerEU: 50
; NumVGPRsForWavesPerEU: 22
; AccumOffset: 24
; Occupancy: 8
; WaveLimiterHint : 1
; COMPUTE_PGM_RSRC2:SCRATCH_EN: 0
; COMPUTE_PGM_RSRC2:USER_SGPR: 6
; COMPUTE_PGM_RSRC2:TRAP_HANDLER: 0
; COMPUTE_PGM_RSRC2:TGID_X_EN: 1
; COMPUTE_PGM_RSRC2:TGID_Y_EN: 0
; COMPUTE_PGM_RSRC2:TGID_Z_EN: 0
; COMPUTE_PGM_RSRC2:TIDIG_COMP_CNT: 0
; COMPUTE_PGM_RSRC3_GFX90A:ACCUM_OFFSET: 5
; COMPUTE_PGM_RSRC3_GFX90A:TG_SPLIT: 0
	.section	.text._ZN9rocsparseL22csrmvn_adaptive_kernelIiifdddEEvbT_PKS1_PjPKT0_NS_24const_host_device_scalarIT4_EES3_S7_PKT1_PKT2_SA_PT3_21rocsparse_index_base_b,"axG",@progbits,_ZN9rocsparseL22csrmvn_adaptive_kernelIiifdddEEvbT_PKS1_PjPKT0_NS_24const_host_device_scalarIT4_EES3_S7_PKT1_PKT2_SA_PT3_21rocsparse_index_base_b,comdat
	.globl	_ZN9rocsparseL22csrmvn_adaptive_kernelIiifdddEEvbT_PKS1_PjPKT0_NS_24const_host_device_scalarIT4_EES3_S7_PKT1_PKT2_SA_PT3_21rocsparse_index_base_b ; -- Begin function _ZN9rocsparseL22csrmvn_adaptive_kernelIiifdddEEvbT_PKS1_PjPKT0_NS_24const_host_device_scalarIT4_EES3_S7_PKT1_PKT2_SA_PT3_21rocsparse_index_base_b
	.p2align	8
	.type	_ZN9rocsparseL22csrmvn_adaptive_kernelIiifdddEEvbT_PKS1_PjPKT0_NS_24const_host_device_scalarIT4_EES3_S7_PKT1_PKT2_SA_PT3_21rocsparse_index_base_b,@function
_ZN9rocsparseL22csrmvn_adaptive_kernelIiifdddEEvbT_PKS1_PjPKT0_NS_24const_host_device_scalarIT4_EES3_S7_PKT1_PKT2_SA_PT3_21rocsparse_index_base_b: ; @_ZN9rocsparseL22csrmvn_adaptive_kernelIiifdddEEvbT_PKS1_PjPKT0_NS_24const_host_device_scalarIT4_EES3_S7_PKT1_PKT2_SA_PT3_21rocsparse_index_base_b
; %bb.0:
	s_load_dwordx2 s[40:41], s[4:5], 0x58
	s_load_dwordx2 s[8:9], s[4:5], 0x20
	;; [unrolled: 1-line block ×3, first 2 shown]
	s_waitcnt lgkmcnt(0)
	s_bitcmp1_b32 s41, 0
	s_cselect_b64 s[10:11], -1, 0
	s_xor_b64 s[2:3], s[10:11], -1
	s_and_b64 vcc, exec, s[10:11]
	v_pk_mov_b32 v[8:9], s[8:9], s[8:9] op_sel:[0,1]
	s_cbranch_vccnz .LBB91_2
; %bb.1:
	v_pk_mov_b32 v[2:3], s[8:9], s[8:9] op_sel:[0,1]
	flat_load_dwordx2 v[8:9], v[2:3]
.LBB91_2:
	s_andn2_b64 vcc, exec, s[2:3]
	v_pk_mov_b32 v[6:7], s[0:1], s[0:1] op_sel:[0,1]
	s_cbranch_vccnz .LBB91_4
; %bb.3:
	v_pk_mov_b32 v[2:3], s[0:1], s[0:1] op_sel:[0,1]
	flat_load_dwordx2 v[6:7], v[2:3]
.LBB91_4:
	s_waitcnt vmcnt(0) lgkmcnt(0)
	v_cmp_neq_f64_e32 vcc, 0, v[8:9]
	v_cmp_neq_f64_e64 s[0:1], 1.0, v[6:7]
	s_or_b64 s[0:1], vcc, s[0:1]
	s_and_saveexec_b64 s[2:3], s[0:1]
	s_cbranch_execz .LBB91_116
; %bb.5:
	s_load_dwordx2 s[0:1], s[4:5], 0x8
	s_load_dwordx2 s[8:9], s[4:5], 0x18
	s_ashr_i32 s7, s6, 31
	s_lshl_b64 s[44:45], s[6:7], 2
	s_waitcnt lgkmcnt(0)
	s_add_u32 s0, s0, s44
	s_addc_u32 s1, s1, s45
	s_load_dwordx2 s[36:37], s[0:1], 0x0
	s_load_dwordx2 s[34:35], s[4:5], 0x50
	s_load_dwordx8 s[24:31], s[4:5], 0x28
	s_waitcnt lgkmcnt(0)
	s_sub_i32 s2, s37, s36
	s_add_u32 s0, s8, s44
	s_mov_b32 s42, s36
	s_addc_u32 s1, s9, s45
	s_ashr_i32 s43, s36, 31
	s_load_dword s33, s[0:1], 0x0
	s_lshl_b64 s[0:1], s[42:43], 2
	s_add_u32 s38, s24, s0
	s_addc_u32 s39, s25, s1
	s_load_dword s41, s[38:39], 0x0
	s_cmp_lt_i32 s2, 2
	s_mov_b64 s[0:1], -1
	s_cbranch_scc0 .LBB91_72
; %bb.6:
	s_cmp_lg_u32 s2, 1
	s_cselect_b64 s[0:1], -1, 0
	s_waitcnt lgkmcnt(0)
	s_cmp_lg_u32 s33, 0
	s_cselect_b64 s[2:3], -1, 0
	s_or_b64 s[2:3], s[0:1], s[2:3]
	s_mov_b64 s[0:1], -1
	s_and_b64 vcc, exec, s[2:3]
	s_cbranch_vccnz .LBB91_35
; %bb.7:
	s_cmp_le_i32 s37, s36
	s_cbranch_scc1 .LBB91_34
; %bb.8:
	s_movk_i32 s0, 0x80
	s_add_u32 s7, s24, 4
	v_subrev_u32_e32 v1, s40, v0
	v_lshlrev_b32_e32 v14, 3, v0
	v_cmp_gt_u32_e64 s[0:1], s0, v0
	v_cmp_gt_u32_e64 s[2:3], 64, v0
	;; [unrolled: 1-line block ×7, first 2 shown]
	v_cmp_eq_u32_e64 s[18:19], 0, v0
	v_cmp_neq_f64_e64 s[20:21], 0, v[6:7]
	s_addc_u32 s52, s25, 0
	v_mov_b32_e32 v15, s31
	v_mov_b32_e32 v16, 0
	s_mov_b32 s53, s41
	s_mov_b32 s46, s36
	s_branch .LBB91_11
.LBB91_9:                               ;   in Loop: Header=BB91_11 Depth=1
	s_or_b64 exec, exec, s[48:49]
	s_lshl_b64 s[48:49], s[46:47], 3
	s_add_u32 s48, s34, s48
	s_addc_u32 s49, s35, s49
	s_waitcnt lgkmcnt(0)
	global_store_dwordx2 v16, v[2:3], s[48:49]
.LBB91_10:                              ;   in Loop: Header=BB91_11 Depth=1
	s_or_b64 exec, exec, s[22:23]
	s_add_i32 s46, s46, 1
	s_cmp_ge_i32 s46, s37
	s_cbranch_scc1 .LBB91_34
.LBB91_11:                              ; =>This Loop Header: Depth=1
                                        ;     Child Loop BB91_13 Depth 2
	s_ashr_i32 s47, s46, 31
	s_lshl_b64 s[22:23], s[46:47], 2
	s_add_u32 s22, s7, s22
	s_addc_u32 s23, s52, s23
	s_mov_b32 s48, s53
	s_load_dword s53, s[22:23], 0x0
	v_add_u32_e32 v2, s48, v1
	v_pk_mov_b32 v[4:5], 0, 0
	s_waitcnt lgkmcnt(0)
	s_sub_i32 s54, s53, s40
	v_cmp_gt_i32_e32 vcc, s54, v2
	s_and_saveexec_b64 s[48:49], vcc
	s_cbranch_execz .LBB91_15
; %bb.12:                               ;   in Loop: Header=BB91_11 Depth=1
	v_ashrrev_i32_e32 v3, 31, v2
	v_lshlrev_b64 v[4:5], 2, v[2:3]
	v_mov_b32_e32 v3, s29
	v_add_co_u32_e32 v10, vcc, s28, v4
	v_addc_co_u32_e32 v11, vcc, v3, v5, vcc
	v_mov_b32_e32 v3, s27
	v_add_co_u32_e32 v12, vcc, s26, v4
	v_addc_co_u32_e32 v13, vcc, v3, v5, vcc
	s_mov_b64 s[50:51], 0
	v_pk_mov_b32 v[4:5], 0, 0
.LBB91_13:                              ;   Parent Loop BB91_11 Depth=1
                                        ; =>  This Inner Loop Header: Depth=2
	global_load_dword v3, v[12:13], off
	global_load_dword v17, v[10:11], off
	v_add_u32_e32 v2, 0x100, v2
	v_cmp_le_i32_e64 s[22:23], s54, v2
	s_or_b64 s[50:51], s[22:23], s[50:51]
	s_waitcnt vmcnt(1)
	v_subrev_u32_e32 v18, s40, v3
	v_ashrrev_i32_e32 v19, 31, v18
	v_lshlrev_b64 v[18:19], 3, v[18:19]
	v_add_co_u32_e32 v18, vcc, s30, v18
	v_addc_co_u32_e32 v19, vcc, v15, v19, vcc
	global_load_dwordx2 v[18:19], v[18:19], off
	v_add_co_u32_e32 v10, vcc, 0x400, v10
	v_addc_co_u32_e32 v11, vcc, 0, v11, vcc
	s_waitcnt vmcnt(1)
	v_cvt_f64_f32_e32 v[20:21], v17
	v_add_co_u32_e32 v12, vcc, 0x400, v12
	v_mul_f64 v[20:21], v[8:9], v[20:21]
	v_addc_co_u32_e32 v13, vcc, 0, v13, vcc
	s_waitcnt vmcnt(0)
	v_fmac_f64_e32 v[4:5], v[20:21], v[18:19]
	s_andn2_b64 exec, exec, s[50:51]
	s_cbranch_execnz .LBB91_13
; %bb.14:                               ;   in Loop: Header=BB91_11 Depth=1
	s_or_b64 exec, exec, s[50:51]
.LBB91_15:                              ;   in Loop: Header=BB91_11 Depth=1
	s_or_b64 exec, exec, s[48:49]
	ds_write_b64 v14, v[4:5]
	s_waitcnt lgkmcnt(0)
	s_barrier
	s_and_saveexec_b64 s[22:23], s[0:1]
	s_cbranch_execz .LBB91_17
; %bb.16:                               ;   in Loop: Header=BB91_11 Depth=1
	ds_read2st64_b64 v[2:5], v14 offset1:2
	s_waitcnt lgkmcnt(0)
	v_add_f64 v[2:3], v[2:3], v[4:5]
	ds_write_b64 v14, v[2:3]
.LBB91_17:                              ;   in Loop: Header=BB91_11 Depth=1
	s_or_b64 exec, exec, s[22:23]
	s_waitcnt lgkmcnt(0)
	s_barrier
	s_and_saveexec_b64 s[22:23], s[2:3]
	s_cbranch_execz .LBB91_19
; %bb.18:                               ;   in Loop: Header=BB91_11 Depth=1
	ds_read2st64_b64 v[2:5], v14 offset1:1
	s_waitcnt lgkmcnt(0)
	v_add_f64 v[2:3], v[2:3], v[4:5]
	ds_write_b64 v14, v[2:3]
.LBB91_19:                              ;   in Loop: Header=BB91_11 Depth=1
	s_or_b64 exec, exec, s[22:23]
	s_waitcnt lgkmcnt(0)
	s_barrier
	s_and_saveexec_b64 s[22:23], s[8:9]
	s_cbranch_execz .LBB91_21
; %bb.20:                               ;   in Loop: Header=BB91_11 Depth=1
	ds_read2_b64 v[2:5], v14 offset1:32
	s_waitcnt lgkmcnt(0)
	v_add_f64 v[2:3], v[2:3], v[4:5]
	ds_write_b64 v14, v[2:3]
.LBB91_21:                              ;   in Loop: Header=BB91_11 Depth=1
	s_or_b64 exec, exec, s[22:23]
	s_waitcnt lgkmcnt(0)
	s_barrier
	s_and_saveexec_b64 s[22:23], s[10:11]
	s_cbranch_execz .LBB91_23
; %bb.22:                               ;   in Loop: Header=BB91_11 Depth=1
	ds_read2_b64 v[2:5], v14 offset1:16
	s_waitcnt lgkmcnt(0)
	v_add_f64 v[2:3], v[2:3], v[4:5]
	ds_write_b64 v14, v[2:3]
.LBB91_23:                              ;   in Loop: Header=BB91_11 Depth=1
	;; [unrolled: 11-line block ×5, first 2 shown]
	s_or_b64 exec, exec, s[22:23]
	s_waitcnt lgkmcnt(0)
	s_barrier
	s_and_saveexec_b64 s[22:23], s[18:19]
	s_cbranch_execz .LBB91_31
; %bb.30:                               ;   in Loop: Header=BB91_11 Depth=1
	ds_read_b128 v[2:5], v16
	s_waitcnt lgkmcnt(0)
	v_add_f64 v[2:3], v[2:3], v[4:5]
	ds_write_b64 v16, v[2:3]
.LBB91_31:                              ;   in Loop: Header=BB91_11 Depth=1
	s_or_b64 exec, exec, s[22:23]
	s_waitcnt lgkmcnt(0)
	s_barrier
	s_and_saveexec_b64 s[22:23], s[18:19]
	s_cbranch_execz .LBB91_10
; %bb.32:                               ;   in Loop: Header=BB91_11 Depth=1
	ds_read_b64 v[2:3], v16
	s_and_saveexec_b64 s[48:49], s[20:21]
	s_cbranch_execz .LBB91_9
; %bb.33:                               ;   in Loop: Header=BB91_11 Depth=1
	s_lshl_b64 s[50:51], s[46:47], 3
	s_add_u32 s50, s34, s50
	s_addc_u32 s51, s35, s51
	global_load_dwordx2 v[4:5], v16, s[50:51]
	s_waitcnt vmcnt(0) lgkmcnt(0)
	v_fmac_f64_e32 v[2:3], v[6:7], v[4:5]
	s_branch .LBB91_9
.LBB91_34:
	s_mov_b64 s[0:1], 0
.LBB91_35:
	s_andn2_b64 vcc, exec, s[0:1]
	s_cbranch_vccnz .LBB91_71
; %bb.36:
	s_load_dwordx2 s[8:9], s[4:5], 0x10
	s_sub_i32 s6, s6, s33
	v_or_b32_e32 v1, s33, v0
	v_cmp_eq_u32_e32 vcc, 0, v1
	v_pk_mov_b32 v[2:3], 0, 0
	s_waitcnt lgkmcnt(0)
	s_add_u32 s2, s8, s44
	s_addc_u32 s3, s9, s45
	s_load_dword s16, s[2:3], 0x0
	s_and_saveexec_b64 s[0:1], vcc
	s_cbranch_execz .LBB91_40
; %bb.37:
	s_lshl_b64 s[10:11], s[42:43], 3
	s_add_u32 s10, s34, s10
	s_addc_u32 s11, s35, s11
	s_load_dwordx2 s[10:11], s[10:11], 0x0
	s_mov_b64 s[12:13], exec
	v_mbcnt_lo_u32_b32 v1, s12, 0
	v_mbcnt_hi_u32_b32 v1, s13, v1
	v_add_f64 v[2:3], v[6:7], -1.0
	v_cmp_eq_u32_e32 vcc, 0, v1
	s_waitcnt vmcnt(0) expcnt(0) lgkmcnt(0)
	s_and_saveexec_b64 s[14:15], vcc
	s_cbranch_execz .LBB91_39
; %bb.38:
	s_ashr_i32 s7, s6, 31
	s_lshl_b64 s[18:19], s[6:7], 2
	s_add_u32 s18, s8, s18
	s_addc_u32 s19, s9, s19
	s_bcnt1_i32_b64 s7, s[12:13]
	s_and_b32 s7, s7, 1
	v_mov_b32_e32 v1, 0
	v_mov_b32_e32 v4, s7
	global_atomic_xor v1, v4, s[18:19]
.LBB91_39:
	s_or_b64 exec, exec, s[14:15]
	v_mul_f64 v[2:3], v[2:3], s[10:11]
.LBB91_40:
	s_or_b64 exec, exec, s[0:1]
	s_load_dword s1, s[38:39], 0x4
	s_mul_i32 s0, s33, 0xc00
	s_sub_i32 s7, s41, s40
	s_add_i32 s0, s7, s0
	v_add_u32_e32 v4, s0, v0
	s_waitcnt lgkmcnt(0)
	s_sub_i32 s1, s1, s40
	v_cmp_gt_i32_e32 vcc, s1, v4
	s_and_saveexec_b64 s[10:11], vcc
	s_cbranch_execz .LBB91_44
; %bb.41:
	v_ashrrev_i32_e32 v5, 31, v4
	v_lshlrev_b64 v[12:13], 2, v[4:5]
	v_mov_b32_e32 v1, s29
	v_add_co_u32_e32 v10, vcc, s28, v12
	v_addc_co_u32_e32 v11, vcc, v1, v13, vcc
	s_addk_i32 s0, 0xc00
	v_mov_b32_e32 v1, s27
	v_add_co_u32_e32 v12, vcc, s26, v12
	s_min_i32 s7, s0, s1
	v_addc_co_u32_e32 v13, vcc, v1, v13, vcc
	s_mov_b64 s[12:13], 0
	v_mov_b32_e32 v1, s31
.LBB91_42:                              ; =>This Inner Loop Header: Depth=1
	global_load_dword v5, v[12:13], off
	global_load_dword v16, v[10:11], off
	v_add_u32_e32 v4, 0x100, v4
	v_cmp_le_i32_e64 s[0:1], s7, v4
	s_or_b64 s[12:13], s[0:1], s[12:13]
	s_waitcnt vmcnt(1)
	v_subrev_u32_e32 v14, s40, v5
	v_ashrrev_i32_e32 v15, 31, v14
	v_lshlrev_b64 v[14:15], 3, v[14:15]
	v_add_co_u32_e32 v14, vcc, s30, v14
	v_addc_co_u32_e32 v15, vcc, v1, v15, vcc
	global_load_dwordx2 v[14:15], v[14:15], off
	v_add_co_u32_e32 v10, vcc, 0x400, v10
	v_addc_co_u32_e32 v11, vcc, 0, v11, vcc
	s_waitcnt vmcnt(1)
	v_cvt_f64_f32_e32 v[16:17], v16
	v_add_co_u32_e32 v12, vcc, 0x400, v12
	v_mul_f64 v[16:17], v[8:9], v[16:17]
	v_addc_co_u32_e32 v13, vcc, 0, v13, vcc
	s_waitcnt vmcnt(0)
	v_fmac_f64_e32 v[2:3], v[16:17], v[14:15]
	s_andn2_b64 exec, exec, s[12:13]
	s_cbranch_execnz .LBB91_42
; %bb.43:
	s_or_b64 exec, exec, s[12:13]
.LBB91_44:
	s_or_b64 exec, exec, s[10:11]
	s_movk_i32 s0, 0x80
	v_lshlrev_b32_e32 v1, 3, v0
	v_cmp_gt_u32_e32 vcc, s0, v0
	ds_write_b64 v1, v[2:3]
	s_waitcnt lgkmcnt(0)
	s_barrier
	s_and_saveexec_b64 s[0:1], vcc
	s_cbranch_execz .LBB91_46
; %bb.45:
	ds_read2st64_b64 v[2:5], v1 offset1:2
	s_waitcnt lgkmcnt(0)
	v_add_f64 v[2:3], v[2:3], v[4:5]
	ds_write_b64 v1, v[2:3]
.LBB91_46:
	s_or_b64 exec, exec, s[0:1]
	v_cmp_gt_u32_e32 vcc, 64, v0
	s_waitcnt lgkmcnt(0)
	s_barrier
	s_and_saveexec_b64 s[0:1], vcc
	s_cbranch_execz .LBB91_48
; %bb.47:
	ds_read2st64_b64 v[2:5], v1 offset1:1
	s_waitcnt lgkmcnt(0)
	v_add_f64 v[2:3], v[2:3], v[4:5]
	ds_write_b64 v1, v[2:3]
.LBB91_48:
	s_or_b64 exec, exec, s[0:1]
	v_cmp_gt_u32_e32 vcc, 32, v0
	s_waitcnt lgkmcnt(0)
	s_barrier
	s_and_saveexec_b64 s[0:1], vcc
	s_cbranch_execz .LBB91_50
; %bb.49:
	ds_read2_b64 v[2:5], v1 offset1:32
	s_waitcnt lgkmcnt(0)
	v_add_f64 v[2:3], v[2:3], v[4:5]
	ds_write_b64 v1, v[2:3]
.LBB91_50:
	s_or_b64 exec, exec, s[0:1]
	v_cmp_gt_u32_e32 vcc, 16, v0
	s_waitcnt lgkmcnt(0)
	s_barrier
	s_and_saveexec_b64 s[0:1], vcc
	s_cbranch_execz .LBB91_52
; %bb.51:
	ds_read2_b64 v[2:5], v1 offset1:16
	s_waitcnt lgkmcnt(0)
	v_add_f64 v[2:3], v[2:3], v[4:5]
	ds_write_b64 v1, v[2:3]
.LBB91_52:
	s_or_b64 exec, exec, s[0:1]
	v_cmp_gt_u32_e32 vcc, 8, v0
	s_waitcnt lgkmcnt(0)
	s_barrier
	s_and_saveexec_b64 s[0:1], vcc
	s_cbranch_execz .LBB91_54
; %bb.53:
	ds_read2_b64 v[2:5], v1 offset1:8
	s_waitcnt lgkmcnt(0)
	v_add_f64 v[2:3], v[2:3], v[4:5]
	ds_write_b64 v1, v[2:3]
.LBB91_54:
	s_or_b64 exec, exec, s[0:1]
	v_cmp_gt_u32_e32 vcc, 4, v0
	s_waitcnt lgkmcnt(0)
	s_barrier
	s_and_saveexec_b64 s[0:1], vcc
	s_cbranch_execz .LBB91_56
; %bb.55:
	ds_read2_b64 v[2:5], v1 offset1:4
	s_waitcnt lgkmcnt(0)
	v_add_f64 v[2:3], v[2:3], v[4:5]
	ds_write_b64 v1, v[2:3]
.LBB91_56:
	s_or_b64 exec, exec, s[0:1]
	v_cmp_gt_u32_e32 vcc, 2, v0
	s_waitcnt lgkmcnt(0)
	s_barrier
	s_and_saveexec_b64 s[0:1], vcc
	s_cbranch_execz .LBB91_58
; %bb.57:
	ds_read2_b64 v[2:5], v1 offset1:2
	s_waitcnt lgkmcnt(0)
	v_add_f64 v[2:3], v[2:3], v[4:5]
	ds_write_b64 v1, v[2:3]
.LBB91_58:
	s_or_b64 exec, exec, s[0:1]
	v_cmp_eq_u32_e32 vcc, 0, v0
	s_waitcnt lgkmcnt(0)
	s_barrier
	s_and_saveexec_b64 s[0:1], vcc
	s_cbranch_execz .LBB91_60
; %bb.59:
	v_mov_b32_e32 v1, 0
	ds_read_b128 v[2:5], v1
	s_waitcnt lgkmcnt(0)
	v_add_f64 v[2:3], v[2:3], v[4:5]
	ds_write_b64 v1, v[2:3]
.LBB91_60:
	s_or_b64 exec, exec, s[0:1]
	s_waitcnt lgkmcnt(0)
	s_barrier
	s_and_saveexec_b64 s[0:1], vcc
	s_cbranch_execz .LBB91_70
; %bb.61:
	s_cmp_eq_u32 s33, 0
	s_cbranch_scc1 .LBB91_67
; %bb.62:
	s_ashr_i32 s7, s6, 31
	s_lshl_b64 s[6:7], s[6:7], 2
	s_add_u32 s6, s8, s6
	s_addc_u32 s7, s9, s7
	v_mov_b32_e32 v1, 0
	s_branch .LBB91_64
.LBB91_63:                              ;   in Loop: Header=BB91_64 Depth=1
	s_or_b64 exec, exec, s[8:9]
	s_waitcnt vmcnt(0)
	v_readfirstlane_b32 s8, v2
	s_cmp_eq_u32 s8, s16
	s_cbranch_scc0 .LBB91_66
.LBB91_64:                              ; =>This Inner Loop Header: Depth=1
	v_mbcnt_lo_u32_b32 v2, exec_lo, 0
	v_mbcnt_hi_u32_b32 v2, exec_hi, v2
	v_cmp_eq_u32_e32 vcc, 0, v2
                                        ; implicit-def: $vgpr2
	s_and_saveexec_b64 s[8:9], vcc
	s_cbranch_execz .LBB91_63
; %bb.65:                               ;   in Loop: Header=BB91_64 Depth=1
	global_load_dword v2, v1, s[6:7] glc
	s_branch .LBB91_63
.LBB91_66:
	v_mov_b32_e32 v1, 0
	global_load_dword v2, v1, s[2:3]
	s_waitcnt vmcnt(0)
	v_xor_b32_e32 v2, 1, v2
	global_store_dword v1, v2, s[2:3]
.LBB91_67:
	s_mov_b64 s[6:7], exec
	v_mbcnt_lo_u32_b32 v1, s6, 0
	v_mbcnt_hi_u32_b32 v1, s7, v1
	v_cmp_eq_u32_e32 vcc, 0, v1
	s_and_b64 s[2:3], exec, vcc
	s_mov_b64 exec, s[2:3]
	s_cbranch_execz .LBB91_70
; %bb.68:
	s_lshl_b64 s[2:3], s[42:43], 3
	s_add_u32 s2, s34, s2
	s_addc_u32 s3, s35, s3
	v_mov_b32_e32 v1, 0
	global_load_dwordx2 v[4:5], v1, s[2:3]
	ds_read_b64 v[2:3], v1
	s_bcnt1_i32_b64 s6, s[6:7]
	v_cvt_f64_u32_e32 v[10:11], s6
	s_mov_b64 s[6:7], 0
	s_waitcnt lgkmcnt(0)
	v_mul_f64 v[10:11], v[2:3], v[10:11]
.LBB91_69:                              ; =>This Inner Loop Header: Depth=1
	s_waitcnt vmcnt(0)
	v_add_f64 v[2:3], v[4:5], v[10:11]
	global_atomic_cmpswap_x2 v[2:3], v1, v[2:5], s[2:3] glc
	s_waitcnt vmcnt(0)
	v_cmp_eq_u64_e32 vcc, v[2:3], v[4:5]
	s_or_b64 s[6:7], vcc, s[6:7]
	v_pk_mov_b32 v[4:5], v[2:3], v[2:3] op_sel:[0,1]
	s_andn2_b64 exec, exec, s[6:7]
	s_cbranch_execnz .LBB91_69
.LBB91_70:
	s_or_b64 exec, exec, s[0:1]
.LBB91_71:
	s_mov_b64 s[0:1], 0
.LBB91_72:
	s_andn2_b64 vcc, exec, s[0:1]
	s_cbranch_vccnz .LBB91_116
; %bb.73:
	s_load_dword s0, s[4:5], 0x4
	v_subrev_u32_e32 v1, s40, v0
	s_waitcnt lgkmcnt(0)
	v_add_u32_e32 v2, s41, v1
	v_add_u32_e32 v1, 0x300, v2
	v_cmp_le_i32_e32 vcc, s0, v1
	s_and_saveexec_b64 s[0:1], vcc
	s_xor_b64 s[0:1], exec, s[0:1]
	s_cbranch_execz .LBB91_78
; %bb.74:
	s_ashr_i32 s3, s37, 31
	s_mov_b32 s2, s37
	s_lshl_b64 s[2:3], s[2:3], 2
	s_add_u32 s2, s24, s2
	s_addc_u32 s3, s25, s3
	s_load_dword s2, s[2:3], 0x0
	s_waitcnt lgkmcnt(0)
	s_sub_i32 s6, s2, s40
	v_cmp_gt_i32_e32 vcc, s6, v2
	s_and_saveexec_b64 s[2:3], vcc
	s_cbranch_execz .LBB91_77
; %bb.75:
	v_lshlrev_b32_e32 v1, 3, v0
	s_mov_b64 s[4:5], 0
	v_mov_b32_e32 v4, s29
	v_mov_b32_e32 v5, s27
	;; [unrolled: 1-line block ×3, first 2 shown]
.LBB91_76:                              ; =>This Inner Loop Header: Depth=1
	v_ashrrev_i32_e32 v3, 31, v2
	v_lshlrev_b64 v[12:13], 2, v[2:3]
	v_add_co_u32_e32 v14, vcc, s26, v12
	v_addc_co_u32_e32 v15, vcc, v5, v13, vcc
	global_load_dword v3, v[14:15], off
	v_add_co_u32_e32 v12, vcc, s28, v12
	v_addc_co_u32_e32 v13, vcc, v4, v13, vcc
	global_load_dword v11, v[12:13], off
	v_add_u32_e32 v2, 0x100, v2
	s_waitcnt vmcnt(1)
	v_subrev_u32_e32 v12, s40, v3
	v_ashrrev_i32_e32 v13, 31, v12
	v_lshlrev_b64 v[12:13], 3, v[12:13]
	v_add_co_u32_e32 v12, vcc, s30, v12
	v_addc_co_u32_e32 v13, vcc, v10, v13, vcc
	global_load_dwordx2 v[12:13], v[12:13], off
	s_waitcnt vmcnt(1)
	v_cvt_f64_f32_e32 v[14:15], v11
	v_mul_f64 v[14:15], v[8:9], v[14:15]
	v_cmp_le_i32_e32 vcc, s6, v2
	s_or_b64 s[4:5], vcc, s[4:5]
	s_waitcnt vmcnt(0)
	v_mul_f64 v[12:13], v[14:15], v[12:13]
	ds_write_b64 v1, v[12:13]
	v_add_u32_e32 v1, 0x800, v1
	s_andn2_b64 exec, exec, s[4:5]
	s_cbranch_execnz .LBB91_76
.LBB91_77:
	s_or_b64 exec, exec, s[2:3]
                                        ; implicit-def: $vgpr2
                                        ; implicit-def: $vgpr8_vgpr9
.LBB91_78:
	s_or_saveexec_b64 s[0:1], s[0:1]
	v_lshlrev_b32_e32 v10, 3, v0
	s_xor_b64 exec, exec, s[0:1]
	s_cbranch_execz .LBB91_80
; %bb.79:
	v_ashrrev_i32_e32 v3, 31, v2
	v_lshlrev_b64 v[2:3], 2, v[2:3]
	v_mov_b32_e32 v1, s27
	v_add_co_u32_e32 v4, vcc, s26, v2
	v_addc_co_u32_e32 v5, vcc, v1, v3, vcc
	global_load_dword v1, v[4:5], off
	global_load_dword v11, v[4:5], off offset:1024
	global_load_dword v12, v[4:5], off offset:2048
	;; [unrolled: 1-line block ×3, first 2 shown]
	v_mov_b32_e32 v4, s29
	v_add_co_u32_e32 v2, vcc, s28, v2
	v_addc_co_u32_e32 v3, vcc, v4, v3, vcc
	global_load_dword v24, v[2:3], off
	global_load_dword v25, v[2:3], off offset:1024
	global_load_dword v26, v[2:3], off offset:2048
	global_load_dword v27, v[2:3], off offset:3072
	v_mov_b32_e32 v16, s31
	s_waitcnt vmcnt(7)
	v_subrev_u32_e32 v2, s40, v1
	v_ashrrev_i32_e32 v3, 31, v2
	s_waitcnt vmcnt(6)
	v_subrev_u32_e32 v4, s40, v11
	v_lshlrev_b64 v[2:3], 3, v[2:3]
	v_ashrrev_i32_e32 v5, 31, v4
	v_add_co_u32_e32 v2, vcc, s30, v2
	s_waitcnt vmcnt(5)
	v_subrev_u32_e32 v12, s40, v12
	v_lshlrev_b64 v[4:5], 3, v[4:5]
	v_addc_co_u32_e32 v3, vcc, v16, v3, vcc
	s_waitcnt vmcnt(4)
	v_subrev_u32_e32 v14, s40, v13
	v_ashrrev_i32_e32 v13, 31, v12
	v_add_co_u32_e32 v4, vcc, s30, v4
	v_lshlrev_b64 v[12:13], 3, v[12:13]
	v_addc_co_u32_e32 v5, vcc, v16, v5, vcc
	v_ashrrev_i32_e32 v15, 31, v14
	v_add_co_u32_e32 v12, vcc, s30, v12
	v_lshlrev_b64 v[14:15], 3, v[14:15]
	v_addc_co_u32_e32 v13, vcc, v16, v13, vcc
	v_add_co_u32_e32 v14, vcc, s30, v14
	v_addc_co_u32_e32 v15, vcc, v16, v15, vcc
	global_load_dwordx2 v[16:17], v[2:3], off
	global_load_dwordx2 v[18:19], v[4:5], off
	;; [unrolled: 1-line block ×4, first 2 shown]
	s_waitcnt vmcnt(7)
	v_cvt_f64_f32_e32 v[2:3], v24
	s_waitcnt vmcnt(6)
	v_cvt_f64_f32_e32 v[4:5], v25
	;; [unrolled: 2-line block ×4, first 2 shown]
	v_mul_f64 v[2:3], v[8:9], v[2:3]
	v_mul_f64 v[4:5], v[8:9], v[4:5]
	;; [unrolled: 1-line block ×4, first 2 shown]
	s_waitcnt vmcnt(3)
	v_mul_f64 v[2:3], v[2:3], v[16:17]
	s_waitcnt vmcnt(2)
	v_mul_f64 v[4:5], v[4:5], v[18:19]
	;; [unrolled: 2-line block ×4, first 2 shown]
	ds_write2st64_b64 v10, v[2:3], v[4:5] offset1:4
	ds_write2st64_b64 v10, v[12:13], v[8:9] offset0:8 offset1:12
.LBB91_80:
	s_or_b64 exec, exec, s[0:1]
	s_cmp_lt_i32 s33, 2
	s_mov_b64 s[0:1], -1
	s_waitcnt lgkmcnt(0)
	s_barrier
	s_cbranch_scc0 .LBB91_91
; %bb.81:
	v_add_u32_e32 v2, s36, v0
	v_cmp_gt_i32_e32 vcc, s37, v2
	s_and_saveexec_b64 s[2:3], vcc
	s_cbranch_execz .LBB91_90
; %bb.82:
	s_lshl_b32 s0, s41, 3
	s_mov_b64 s[4:5], 0
	v_cmp_neq_f64_e32 vcc, 0, v[6:7]
	s_sub_i32 s10, 0, s0
	v_mov_b32_e32 v1, s25
	v_mov_b32_e32 v11, s35
	s_branch .LBB91_84
.LBB91_83:                              ;   in Loop: Header=BB91_84 Depth=1
	s_or_b64 exec, exec, s[6:7]
	v_add_co_u32_e64 v8, s[0:1], s34, v8
	v_addc_co_u32_e64 v9, s[0:1], v11, v9, s[0:1]
	v_add_u32_e32 v2, 0x100, v2
	v_cmp_le_i32_e64 s[0:1], s37, v2
	s_or_b64 s[4:5], s[0:1], s[4:5]
	global_store_dwordx2 v[8:9], v[4:5], off
	s_andn2_b64 exec, exec, s[4:5]
	s_cbranch_execz .LBB91_90
.LBB91_84:                              ; =>This Loop Header: Depth=1
                                        ;     Child Loop BB91_86 Depth 2
	v_ashrrev_i32_e32 v3, 31, v2
	v_lshlrev_b64 v[4:5], 2, v[2:3]
	v_add_co_u32_e64 v4, s[0:1], s24, v4
	v_addc_co_u32_e64 v5, s[0:1], v1, v5, s[0:1]
	global_load_dwordx2 v[8:9], v[4:5], off
	v_pk_mov_b32 v[4:5], 0, 0
	s_waitcnt vmcnt(0)
	v_cmp_lt_i32_e64 s[0:1], v8, v9
	s_and_saveexec_b64 s[6:7], s[0:1]
	s_cbranch_execz .LBB91_88
; %bb.85:                               ;   in Loop: Header=BB91_84 Depth=1
	v_subrev_u32_e32 v9, s41, v9
	v_subrev_u32_e32 v12, s41, v8
	v_lshl_add_u32 v8, v8, 3, s10
	s_mov_b64 s[8:9], 0
	v_pk_mov_b32 v[4:5], 0, 0
.LBB91_86:                              ;   Parent Loop BB91_84 Depth=1
                                        ; =>  This Inner Loop Header: Depth=2
	ds_read_b64 v[14:15], v8
	v_add_u32_e32 v12, 1, v12
	v_cmp_ge_i32_e64 s[0:1], v12, v9
	v_add_u32_e32 v8, 8, v8
	s_or_b64 s[8:9], s[0:1], s[8:9]
	s_waitcnt lgkmcnt(0)
	v_add_f64 v[4:5], v[4:5], v[14:15]
	s_andn2_b64 exec, exec, s[8:9]
	s_cbranch_execnz .LBB91_86
; %bb.87:                               ;   in Loop: Header=BB91_84 Depth=1
	s_or_b64 exec, exec, s[8:9]
.LBB91_88:                              ;   in Loop: Header=BB91_84 Depth=1
	s_or_b64 exec, exec, s[6:7]
	v_lshlrev_b64 v[8:9], 3, v[2:3]
	s_and_saveexec_b64 s[6:7], vcc
	s_cbranch_execz .LBB91_83
; %bb.89:                               ;   in Loop: Header=BB91_84 Depth=1
	v_mov_b32_e32 v3, s35
	v_add_co_u32_e64 v12, s[0:1], s34, v8
	v_addc_co_u32_e64 v13, s[0:1], v3, v9, s[0:1]
	global_load_dwordx2 v[12:13], v[12:13], off
	s_waitcnt vmcnt(0)
	v_fmac_f64_e32 v[4:5], v[6:7], v[12:13]
	s_branch .LBB91_83
.LBB91_90:
	s_or_b64 exec, exec, s[2:3]
	s_mov_b64 s[0:1], 0
.LBB91_91:
	s_andn2_b64 vcc, exec, s[0:1]
	s_cbranch_vccnz .LBB91_116
; %bb.92:
	s_flbit_i32_b32 s0, s33
	s_xor_b32 s0, s0, 31
	v_lshrrev_b32_e32 v4, s0, v0
	v_add_u32_e32 v2, s36, v4
	s_add_i32 s0, s33, -1
	v_and_b32_e32 v3, s0, v0
	v_cmp_le_i32_e32 vcc, s37, v2
	v_cmp_gt_i32_e64 s[0:1], s37, v2
	v_pk_mov_b32 v[0:1], 0, 0
	s_and_saveexec_b64 s[2:3], s[0:1]
	s_cbranch_execz .LBB91_98
; %bb.93:
	v_lshlrev_b32_e32 v0, 2, v4
	global_load_dwordx2 v[0:1], v0, s[38:39]
	v_subrev_u32_e32 v5, s41, v3
	s_waitcnt vmcnt(0)
	v_subrev_u32_e32 v4, s41, v1
	v_add_u32_e32 v5, v0, v5
	v_cmp_lt_i32_e64 s[0:1], v5, v4
	v_pk_mov_b32 v[0:1], 0, 0
	s_and_saveexec_b64 s[4:5], s[0:1]
	s_cbranch_execz .LBB91_97
; %bb.94:
	v_lshlrev_b32_e32 v8, 3, v5
	s_lshl_b32 s8, s33, 3
	s_mov_b64 s[6:7], 0
	v_pk_mov_b32 v[0:1], 0, 0
.LBB91_95:                              ; =>This Inner Loop Header: Depth=1
	ds_read_b64 v[12:13], v8
	v_add_u32_e32 v5, s33, v5
	v_cmp_ge_i32_e64 s[0:1], v5, v4
	v_add_u32_e32 v8, s8, v8
	s_or_b64 s[6:7], s[0:1], s[6:7]
	s_waitcnt lgkmcnt(0)
	v_add_f64 v[0:1], v[0:1], v[12:13]
	s_andn2_b64 exec, exec, s[6:7]
	s_cbranch_execnz .LBB91_95
; %bb.96:
	s_or_b64 exec, exec, s[6:7]
.LBB91_97:
	s_or_b64 exec, exec, s[4:5]
.LBB91_98:
	s_or_b64 exec, exec, s[2:3]
	s_cmpk_lt_i32 s33, 0x81
	s_barrier
	ds_write_b64 v10, v[0:1]
	s_waitcnt lgkmcnt(0)
	s_barrier
	s_cbranch_scc1 .LBB91_100
; %bb.99:
	ds_read_b64 v[4:5], v10 offset:1024
	s_waitcnt lgkmcnt(0)
	s_barrier
	v_add_f64 v[0:1], v[0:1], v[4:5]
	ds_write_b64 v10, v[0:1]
.LBB91_100:
	s_cmpk_lt_i32 s33, 0x41
	s_waitcnt lgkmcnt(0)
	s_barrier
	s_cbranch_scc1 .LBB91_102
; %bb.101:
	ds_read_b64 v[4:5], v10 offset:512
	s_waitcnt lgkmcnt(0)
	s_barrier
	v_add_f64 v[0:1], v[0:1], v[4:5]
	ds_write_b64 v10, v[0:1]
.LBB91_102:
	s_cmp_lt_i32 s33, 33
	s_waitcnt lgkmcnt(0)
	s_barrier
	s_cbranch_scc1 .LBB91_104
; %bb.103:
	ds_read_b64 v[4:5], v10 offset:256
	s_waitcnt lgkmcnt(0)
	s_barrier
	v_add_f64 v[0:1], v[0:1], v[4:5]
	ds_write_b64 v10, v[0:1]
.LBB91_104:
	s_cmp_lt_i32 s33, 17
	;; [unrolled: 11-line block ×4, first 2 shown]
	s_waitcnt lgkmcnt(0)
	s_barrier
	s_cbranch_scc1 .LBB91_110
; %bb.109:
	ds_read_b64 v[4:5], v10 offset:32
	s_waitcnt lgkmcnt(0)
	s_barrier
	v_add_f64 v[0:1], v[0:1], v[4:5]
	ds_write_b64 v10, v[0:1]
.LBB91_110:
	s_cmp_eq_u32 s33, 2
	s_waitcnt lgkmcnt(0)
	s_barrier
	s_cbranch_scc1 .LBB91_112
; %bb.111:
	ds_read_b64 v[4:5], v10 offset:16
	s_waitcnt lgkmcnt(0)
	s_barrier
	v_add_f64 v[0:1], v[0:1], v[4:5]
	ds_write_b64 v10, v[0:1]
.LBB91_112:
	s_waitcnt lgkmcnt(0)
	s_barrier
	ds_read_b64 v[4:5], v10 offset:8
	v_cmp_eq_u32_e64 s[0:1], 0, v3
	s_xor_b64 s[2:3], vcc, -1
	s_and_b64 s[0:1], s[0:1], s[2:3]
	s_waitcnt lgkmcnt(0)
	v_add_f64 v[0:1], v[0:1], v[4:5]
	s_barrier
	ds_write_b64 v10, v[0:1]
	s_and_b64 exec, exec, s[0:1]
	s_cbranch_execz .LBB91_116
; %bb.113:
	v_ashrrev_i32_e32 v3, 31, v2
	v_cmp_neq_f64_e32 vcc, 0, v[6:7]
	v_lshlrev_b64 v[2:3], 3, v[2:3]
	s_and_saveexec_b64 s[0:1], vcc
	s_cbranch_execz .LBB91_115
; %bb.114:
	v_mov_b32_e32 v5, s35
	v_add_co_u32_e32 v4, vcc, s34, v2
	v_addc_co_u32_e32 v5, vcc, v5, v3, vcc
	global_load_dwordx2 v[4:5], v[4:5], off
	s_waitcnt vmcnt(0)
	v_fmac_f64_e32 v[0:1], v[6:7], v[4:5]
.LBB91_115:
	s_or_b64 exec, exec, s[0:1]
	v_mov_b32_e32 v4, s35
	v_add_co_u32_e32 v2, vcc, s34, v2
	v_addc_co_u32_e32 v3, vcc, v4, v3, vcc
	global_store_dwordx2 v[2:3], v[0:1], off
.LBB91_116:
	s_endpgm
	.section	.rodata,"a",@progbits
	.p2align	6, 0x0
	.amdhsa_kernel _ZN9rocsparseL22csrmvn_adaptive_kernelIiifdddEEvbT_PKS1_PjPKT0_NS_24const_host_device_scalarIT4_EES3_S7_PKT1_PKT2_SA_PT3_21rocsparse_index_base_b
		.amdhsa_group_segment_fixed_size 8192
		.amdhsa_private_segment_fixed_size 0
		.amdhsa_kernarg_size 96
		.amdhsa_user_sgpr_count 6
		.amdhsa_user_sgpr_private_segment_buffer 1
		.amdhsa_user_sgpr_dispatch_ptr 0
		.amdhsa_user_sgpr_queue_ptr 0
		.amdhsa_user_sgpr_kernarg_segment_ptr 1
		.amdhsa_user_sgpr_dispatch_id 0
		.amdhsa_user_sgpr_flat_scratch_init 0
		.amdhsa_user_sgpr_kernarg_preload_length 0
		.amdhsa_user_sgpr_kernarg_preload_offset 0
		.amdhsa_user_sgpr_private_segment_size 0
		.amdhsa_uses_dynamic_stack 0
		.amdhsa_system_sgpr_private_segment_wavefront_offset 0
		.amdhsa_system_sgpr_workgroup_id_x 1
		.amdhsa_system_sgpr_workgroup_id_y 0
		.amdhsa_system_sgpr_workgroup_id_z 0
		.amdhsa_system_sgpr_workgroup_info 0
		.amdhsa_system_vgpr_workitem_id 0
		.amdhsa_next_free_vgpr 28
		.amdhsa_next_free_sgpr 55
		.amdhsa_accum_offset 28
		.amdhsa_reserve_vcc 1
		.amdhsa_reserve_flat_scratch 0
		.amdhsa_float_round_mode_32 0
		.amdhsa_float_round_mode_16_64 0
		.amdhsa_float_denorm_mode_32 3
		.amdhsa_float_denorm_mode_16_64 3
		.amdhsa_dx10_clamp 1
		.amdhsa_ieee_mode 1
		.amdhsa_fp16_overflow 0
		.amdhsa_tg_split 0
		.amdhsa_exception_fp_ieee_invalid_op 0
		.amdhsa_exception_fp_denorm_src 0
		.amdhsa_exception_fp_ieee_div_zero 0
		.amdhsa_exception_fp_ieee_overflow 0
		.amdhsa_exception_fp_ieee_underflow 0
		.amdhsa_exception_fp_ieee_inexact 0
		.amdhsa_exception_int_div_zero 0
	.end_amdhsa_kernel
	.section	.text._ZN9rocsparseL22csrmvn_adaptive_kernelIiifdddEEvbT_PKS1_PjPKT0_NS_24const_host_device_scalarIT4_EES3_S7_PKT1_PKT2_SA_PT3_21rocsparse_index_base_b,"axG",@progbits,_ZN9rocsparseL22csrmvn_adaptive_kernelIiifdddEEvbT_PKS1_PjPKT0_NS_24const_host_device_scalarIT4_EES3_S7_PKT1_PKT2_SA_PT3_21rocsparse_index_base_b,comdat
.Lfunc_end91:
	.size	_ZN9rocsparseL22csrmvn_adaptive_kernelIiifdddEEvbT_PKS1_PjPKT0_NS_24const_host_device_scalarIT4_EES3_S7_PKT1_PKT2_SA_PT3_21rocsparse_index_base_b, .Lfunc_end91-_ZN9rocsparseL22csrmvn_adaptive_kernelIiifdddEEvbT_PKS1_PjPKT0_NS_24const_host_device_scalarIT4_EES3_S7_PKT1_PKT2_SA_PT3_21rocsparse_index_base_b
                                        ; -- End function
	.section	.AMDGPU.csdata,"",@progbits
; Kernel info:
; codeLenInByte = 3984
; NumSgprs: 59
; NumVgprs: 28
; NumAgprs: 0
; TotalNumVgprs: 28
; ScratchSize: 0
; MemoryBound: 0
; FloatMode: 240
; IeeeMode: 1
; LDSByteSize: 8192 bytes/workgroup (compile time only)
; SGPRBlocks: 7
; VGPRBlocks: 3
; NumSGPRsForWavesPerEU: 59
; NumVGPRsForWavesPerEU: 28
; AccumOffset: 28
; Occupancy: 8
; WaveLimiterHint : 1
; COMPUTE_PGM_RSRC2:SCRATCH_EN: 0
; COMPUTE_PGM_RSRC2:USER_SGPR: 6
; COMPUTE_PGM_RSRC2:TRAP_HANDLER: 0
; COMPUTE_PGM_RSRC2:TGID_X_EN: 1
; COMPUTE_PGM_RSRC2:TGID_Y_EN: 0
; COMPUTE_PGM_RSRC2:TGID_Z_EN: 0
; COMPUTE_PGM_RSRC2:TIDIG_COMP_CNT: 0
; COMPUTE_PGM_RSRC3_GFX90A:ACCUM_OFFSET: 6
; COMPUTE_PGM_RSRC3_GFX90A:TG_SPLIT: 0
	.section	.text._ZN9rocsparseL27csrmvn_symm_adaptive_kernelIiifdddEEvbT_S1_PKS1_NS_24const_host_device_scalarIT4_EES3_PKT0_PKT1_PKT2_S6_PT3_21rocsparse_index_base_b,"axG",@progbits,_ZN9rocsparseL27csrmvn_symm_adaptive_kernelIiifdddEEvbT_S1_PKS1_NS_24const_host_device_scalarIT4_EES3_PKT0_PKT1_PKT2_S6_PT3_21rocsparse_index_base_b,comdat
	.globl	_ZN9rocsparseL27csrmvn_symm_adaptive_kernelIiifdddEEvbT_S1_PKS1_NS_24const_host_device_scalarIT4_EES3_PKT0_PKT1_PKT2_S6_PT3_21rocsparse_index_base_b ; -- Begin function _ZN9rocsparseL27csrmvn_symm_adaptive_kernelIiifdddEEvbT_S1_PKS1_NS_24const_host_device_scalarIT4_EES3_PKT0_PKT1_PKT2_S6_PT3_21rocsparse_index_base_b
	.p2align	8
	.type	_ZN9rocsparseL27csrmvn_symm_adaptive_kernelIiifdddEEvbT_S1_PKS1_NS_24const_host_device_scalarIT4_EES3_PKT0_PKT1_PKT2_S6_PT3_21rocsparse_index_base_b,@function
_ZN9rocsparseL27csrmvn_symm_adaptive_kernelIiifdddEEvbT_S1_PKS1_NS_24const_host_device_scalarIT4_EES3_PKT0_PKT1_PKT2_S6_PT3_21rocsparse_index_base_b: ; @_ZN9rocsparseL27csrmvn_symm_adaptive_kernelIiifdddEEvbT_S1_PKS1_NS_24const_host_device_scalarIT4_EES3_PKT0_PKT1_PKT2_S6_PT3_21rocsparse_index_base_b
; %bb.0:
	s_load_dwordx2 s[26:27], s[4:5], 0x50
	s_load_dwordx2 s[8:9], s[4:5], 0x18
	;; [unrolled: 1-line block ×3, first 2 shown]
	s_waitcnt lgkmcnt(0)
	s_bitcmp1_b32 s27, 0
	s_cselect_b64 s[10:11], -1, 0
	s_xor_b64 s[2:3], s[10:11], -1
	s_and_b64 vcc, exec, s[10:11]
	v_pk_mov_b32 v[8:9], s[8:9], s[8:9] op_sel:[0,1]
	s_cbranch_vccnz .LBB92_2
; %bb.1:
	v_pk_mov_b32 v[2:3], s[8:9], s[8:9] op_sel:[0,1]
	flat_load_dwordx2 v[8:9], v[2:3]
.LBB92_2:
	s_andn2_b64 vcc, exec, s[2:3]
	v_pk_mov_b32 v[2:3], s[0:1], s[0:1] op_sel:[0,1]
	s_cbranch_vccnz .LBB92_4
; %bb.3:
	v_pk_mov_b32 v[2:3], s[0:1], s[0:1] op_sel:[0,1]
	flat_load_dwordx2 v[2:3], v[2:3]
.LBB92_4:
	s_waitcnt vmcnt(0) lgkmcnt(0)
	v_cmp_neq_f64_e32 vcc, 0, v[8:9]
	v_cmp_neq_f64_e64 s[0:1], 1.0, v[2:3]
	s_or_b64 s[0:1], vcc, s[0:1]
	s_and_saveexec_b64 s[2:3], s[0:1]
	s_cbranch_execz .LBB92_180
; %bb.5:
	s_load_dwordx2 s[0:1], s[4:5], 0x10
	s_mov_b32 s2, 0
	s_mov_b32 s3, s2
	s_ashr_i32 s7, s6, 31
	v_pk_mov_b32 v[2:3], s[2:3], s[2:3] op_sel:[0,1]
	s_lshl_b64 s[2:3], s[6:7], 2
	s_waitcnt lgkmcnt(0)
	s_add_u32 s0, s0, s2
	v_lshlrev_b32_e32 v1, 3, v0
	s_addc_u32 s1, s1, s3
	ds_write2st64_b64 v1, v[2:3], v[2:3] offset1:4
	ds_write2st64_b64 v1, v[2:3], v[2:3] offset0:8 offset1:12
	s_waitcnt lgkmcnt(0)
	s_barrier
	s_load_dwordx2 s[24:25], s[0:1], 0x0
	s_load_dwordx8 s[16:23], s[4:5], 0x20
	s_load_dwordx2 s[14:15], s[4:5], 0x48
	s_mov_b64 s[0:1], -1
	v_subrev_u32_e32 v14, s26, v0
	s_waitcnt lgkmcnt(0)
	s_sub_i32 s27, s25, s24
	s_cmp_gt_i32 s27, 2
	s_cbranch_scc1 .LBB92_43
; %bb.6:
	s_cmp_gt_i32 s25, s24
	s_cbranch_scc1 .LBB92_8
; %bb.7:
	s_ashr_i32 s1, s24, 31
	s_mov_b32 s0, s24
	s_lshl_b64 s[0:1], s[0:1], 2
	s_add_u32 s0, s16, s0
	s_addc_u32 s1, s17, s1
	s_load_dword s33, s[0:1], 0x0
	s_cbranch_execz .LBB92_9
	s_branch .LBB92_32
.LBB92_8:
                                        ; implicit-def: $sgpr33
	s_andn2_b64 vcc, exec, s[0:1]
	s_cbranch_vccnz .LBB92_32
.LBB92_9:
	s_ashr_i32 s13, s24, 31
	s_mov_b32 s12, s24
	s_lshl_b64 s[12:13], s[12:13], 2
	s_add_u32 s12, s16, s12
	s_addc_u32 s13, s17, s13
	s_waitcnt lgkmcnt(0)
	s_load_dword s33, s[12:13], 0x0
	s_movk_i32 s0, 0x100
	s_add_u32 s36, s16, 4
	v_cmp_gt_u32_e64 s[0:1], s0, v0
	v_cmp_gt_u32_e64 s[2:3], 64, v0
	;; [unrolled: 1-line block ×4, first 2 shown]
	v_cmp_eq_u32_e64 s[10:11], 0, v0
	s_addc_u32 s37, s17, 0
	v_mov_b32_e32 v12, s23
	v_mov_b32_e32 v13, 0
	s_waitcnt lgkmcnt(0)
	s_mov_b32 s38, s33
	s_mov_b32 s28, s24
	s_branch .LBB92_11
.LBB92_10:                              ;   in Loop: Header=BB92_11 Depth=1
	s_or_b64 exec, exec, s[12:13]
	s_add_i32 s28, s28, 1
	s_cmp_ge_i32 s28, s25
	s_cbranch_scc1 .LBB92_32
.LBB92_11:                              ; =>This Loop Header: Depth=1
                                        ;     Child Loop BB92_13 Depth 2
                                        ;     Child Loop BB92_27 Depth 2
	;; [unrolled: 1-line block ×3, first 2 shown]
	s_ashr_i32 s29, s28, 31
	s_lshl_b64 s[12:13], s[28:29], 2
	s_add_u32 s12, s36, s12
	s_addc_u32 s13, s37, s13
	s_mov_b32 s30, s38
	s_load_dword s38, s[12:13], 0x0
	v_add_u32_e32 v2, s30, v14
	v_pk_mov_b32 v[4:5], 0, 0
	s_waitcnt lgkmcnt(0)
	s_sub_i32 s39, s38, s26
	v_cmp_gt_i32_e32 vcc, s39, v2
	s_and_saveexec_b64 s[30:31], vcc
	s_cbranch_execz .LBB92_15
; %bb.12:                               ;   in Loop: Header=BB92_11 Depth=1
	v_ashrrev_i32_e32 v3, 31, v2
	v_lshlrev_b64 v[4:5], 2, v[2:3]
	v_mov_b32_e32 v3, s19
	v_add_co_u32_e32 v6, vcc, s18, v4
	v_addc_co_u32_e32 v7, vcc, v3, v5, vcc
	v_mov_b32_e32 v3, s21
	v_add_co_u32_e32 v10, vcc, s20, v4
	v_addc_co_u32_e32 v11, vcc, v3, v5, vcc
	s_mov_b64 s[34:35], 0
	v_pk_mov_b32 v[4:5], 0, 0
.LBB92_13:                              ;   Parent Loop BB92_11 Depth=1
                                        ; =>  This Inner Loop Header: Depth=2
	global_load_dword v3, v[6:7], off
	global_load_dword v15, v[10:11], off
	v_add_u32_e32 v2, 0x100, v2
	v_cmp_le_i32_e64 s[12:13], s39, v2
	s_or_b64 s[34:35], s[12:13], s[34:35]
	s_waitcnt vmcnt(1)
	v_subrev_u32_e32 v16, s26, v3
	v_ashrrev_i32_e32 v17, 31, v16
	v_lshlrev_b64 v[16:17], 3, v[16:17]
	v_add_co_u32_e32 v16, vcc, s22, v16
	v_addc_co_u32_e32 v17, vcc, v12, v17, vcc
	global_load_dwordx2 v[16:17], v[16:17], off
	v_add_co_u32_e32 v6, vcc, 0x400, v6
	v_addc_co_u32_e32 v7, vcc, 0, v7, vcc
	v_add_co_u32_e32 v10, vcc, 0x400, v10
	s_waitcnt vmcnt(1)
	v_cvt_f64_f32_e32 v[18:19], v15
	v_addc_co_u32_e32 v11, vcc, 0, v11, vcc
	s_waitcnt vmcnt(0)
	v_fmac_f64_e32 v[4:5], v[18:19], v[16:17]
	s_andn2_b64 exec, exec, s[34:35]
	s_cbranch_execnz .LBB92_13
; %bb.14:                               ;   in Loop: Header=BB92_11 Depth=1
	s_or_b64 exec, exec, s[34:35]
.LBB92_15:                              ;   in Loop: Header=BB92_11 Depth=1
	s_or_b64 exec, exec, s[30:31]
	ds_write_b64 v1, v[4:5]
	s_waitcnt lgkmcnt(0)
	s_barrier
	s_and_saveexec_b64 s[12:13], s[0:1]
	s_cbranch_execz .LBB92_17
; %bb.16:                               ;   in Loop: Header=BB92_11 Depth=1
	ds_read2st64_b64 v[2:5], v1 offset1:4
	ds_read2st64_b64 v[16:19], v1 offset0:8 offset1:12
	s_waitcnt lgkmcnt(0)
	v_add_f64 v[4:5], v[4:5], v[16:17]
	v_add_f64 v[4:5], v[4:5], v[18:19]
	v_add_f64 v[2:3], v[2:3], v[4:5]
	ds_write_b64 v1, v[2:3]
.LBB92_17:                              ;   in Loop: Header=BB92_11 Depth=1
	s_or_b64 exec, exec, s[12:13]
	s_waitcnt lgkmcnt(0)
	s_barrier
	s_and_saveexec_b64 s[12:13], s[2:3]
	s_cbranch_execz .LBB92_19
; %bb.18:                               ;   in Loop: Header=BB92_11 Depth=1
	ds_read2st64_b64 v[2:5], v1 offset1:1
	ds_read2st64_b64 v[16:19], v1 offset0:2 offset1:3
	s_waitcnt lgkmcnt(0)
	v_add_f64 v[4:5], v[4:5], v[16:17]
	v_add_f64 v[4:5], v[4:5], v[18:19]
	;; [unrolled: 1-line block ×3, first 2 shown]
	ds_write_b64 v1, v[2:3]
.LBB92_19:                              ;   in Loop: Header=BB92_11 Depth=1
	s_or_b64 exec, exec, s[12:13]
	s_waitcnt lgkmcnt(0)
	s_barrier
	s_and_saveexec_b64 s[12:13], s[6:7]
	s_cbranch_execz .LBB92_21
; %bb.20:                               ;   in Loop: Header=BB92_11 Depth=1
	ds_read2_b64 v[2:5], v1 offset1:16
	ds_read2_b64 v[16:19], v1 offset0:32 offset1:48
	s_waitcnt lgkmcnt(0)
	v_add_f64 v[4:5], v[4:5], v[16:17]
	v_add_f64 v[4:5], v[4:5], v[18:19]
	;; [unrolled: 1-line block ×3, first 2 shown]
	ds_write_b64 v1, v[2:3]
.LBB92_21:                              ;   in Loop: Header=BB92_11 Depth=1
	s_or_b64 exec, exec, s[12:13]
	s_waitcnt lgkmcnt(0)
	s_barrier
	s_and_saveexec_b64 s[12:13], s[8:9]
	s_cbranch_execz .LBB92_23
; %bb.22:                               ;   in Loop: Header=BB92_11 Depth=1
	ds_read2_b64 v[2:5], v1 offset1:4
	ds_read2_b64 v[16:19], v1 offset0:8 offset1:12
	s_waitcnt lgkmcnt(0)
	v_add_f64 v[4:5], v[4:5], v[16:17]
	v_add_f64 v[4:5], v[4:5], v[18:19]
	;; [unrolled: 1-line block ×3, first 2 shown]
	ds_write_b64 v1, v[2:3]
.LBB92_23:                              ;   in Loop: Header=BB92_11 Depth=1
	s_or_b64 exec, exec, s[12:13]
	s_waitcnt lgkmcnt(0)
	s_barrier
	s_and_saveexec_b64 s[12:13], s[10:11]
	s_cbranch_execz .LBB92_25
; %bb.24:                               ;   in Loop: Header=BB92_11 Depth=1
	ds_read2_b64 v[2:5], v13 offset0:1 offset1:2
	ds_read_b64 v[6:7], v13 offset:24
	ds_read_b64 v[10:11], v1
	s_waitcnt lgkmcnt(2)
	v_add_f64 v[2:3], v[2:3], v[4:5]
	s_waitcnt lgkmcnt(1)
	v_add_f64 v[2:3], v[2:3], v[6:7]
	;; [unrolled: 2-line block ×3, first 2 shown]
	ds_write_b64 v1, v[2:3]
.LBB92_25:                              ;   in Loop: Header=BB92_11 Depth=1
	s_or_b64 exec, exec, s[12:13]
	s_waitcnt lgkmcnt(0)
	s_barrier
	s_and_saveexec_b64 s[12:13], s[10:11]
	s_cbranch_execz .LBB92_10
; %bb.26:                               ;   in Loop: Header=BB92_11 Depth=1
	ds_read_b64 v[2:3], v13
	v_mov_b32_e32 v6, 0
	s_mov_b64 s[30:31], exec
	v_bfrev_b32_e32 v7, 1
	s_waitcnt lgkmcnt(0)
	v_mul_f64 v[2:3], v[8:9], v[2:3]
.LBB92_27:                              ;   Parent Loop BB92_11 Depth=1
                                        ; =>  This Inner Loop Header: Depth=2
	s_ff1_i32_b64 s39, s[30:31]
	s_lshl_b64 s[40:41], 1, s39
	v_readlane_b32 s35, v3, s39
	v_readlane_b32 s34, v2, s39
	s_andn2_b64 s[30:31], s[30:31], s[40:41]
	s_cmp_lg_u64 s[30:31], 0
	v_add_f64 v[6:7], v[6:7], s[34:35]
	s_cbranch_scc1 .LBB92_27
; %bb.28:                               ;   in Loop: Header=BB92_11 Depth=1
	v_mbcnt_lo_u32_b32 v2, exec_lo, 0
	v_mbcnt_hi_u32_b32 v2, exec_hi, v2
	v_cmp_eq_u32_e32 vcc, 0, v2
	s_and_saveexec_b64 s[30:31], vcc
	s_xor_b64 s[30:31], exec, s[30:31]
	s_cbranch_execz .LBB92_10
; %bb.29:                               ;   in Loop: Header=BB92_11 Depth=1
	s_lshl_b64 s[30:31], s[28:29], 3
	s_add_u32 s30, s14, s30
	s_addc_u32 s31, s15, s31
	global_load_dwordx2 v[4:5], v13, s[30:31]
	s_mov_b64 s[34:35], 0
.LBB92_30:                              ;   Parent Loop BB92_11 Depth=1
                                        ; =>  This Inner Loop Header: Depth=2
	s_waitcnt vmcnt(0)
	v_add_f64 v[2:3], v[4:5], v[6:7]
	global_atomic_cmpswap_x2 v[2:3], v13, v[2:5], s[30:31] glc
	s_waitcnt vmcnt(0)
	v_cmp_eq_u64_e32 vcc, v[2:3], v[4:5]
	s_or_b64 s[34:35], vcc, s[34:35]
	v_pk_mov_b32 v[4:5], v[2:3], v[2:3] op_sel:[0,1]
	s_andn2_b64 exec, exec, s[34:35]
	s_cbranch_execnz .LBB92_30
; %bb.31:                               ;   in Loop: Header=BB92_11 Depth=1
	s_or_b64 exec, exec, s[34:35]
	s_branch .LBB92_10
.LBB92_32:
	s_ashr_i32 s1, s25, 31
	s_mov_b32 s0, s25
	s_lshl_b64 s[0:1], s[0:1], 2
	s_add_u32 s0, s16, s0
	s_addc_u32 s1, s17, s1
	s_load_dword s0, s[0:1], 0x0
	s_waitcnt lgkmcnt(0)
	v_add_u32_e32 v6, s33, v14
	s_sub_i32 s12, s0, s26
	v_cmp_gt_i32_e32 vcc, s12, v6
	s_and_saveexec_b64 s[6:7], vcc
	s_cbranch_execz .LBB92_42
; %bb.33:
	s_add_i32 s13, s25, -1
	s_cmp_gt_i32 s13, s24
	s_cselect_b64 s[0:1], -1, 0
	s_add_i32 s2, s25, -2
	s_cmp_lg_u32 s2, s24
	s_cselect_b64 s[2:3], -1, 0
	s_and_b64 s[0:1], s[0:1], s[2:3]
	v_cndmask_b32_e64 v2, 0, 1, s[0:1]
	s_mov_b64 s[8:9], 0
	v_cmp_ne_u32_e64 s[0:1], 1, v2
	v_mov_b32_e32 v15, s17
	v_mov_b32_e32 v16, s19
	s_branch .LBB92_35
.LBB92_34:                              ;   in Loop: Header=BB92_35 Depth=1
	s_or_b64 exec, exec, s[2:3]
	v_add_u32_e32 v6, 0x100, v6
	v_cmp_le_i32_e32 vcc, s12, v6
	s_or_b64 s[8:9], vcc, s[8:9]
	s_andn2_b64 exec, exec, s[8:9]
	s_cbranch_execz .LBB92_42
.LBB92_35:                              ; =>This Loop Header: Depth=1
                                        ;     Child Loop BB92_37 Depth 2
                                        ;     Child Loop BB92_41 Depth 2
	s_and_b64 vcc, exec, s[0:1]
	v_mov_b32_e32 v10, s24
	v_mov_b32_e32 v2, s13
	s_cbranch_vccnz .LBB92_39
; %bb.36:                               ;   in Loop: Header=BB92_35 Depth=1
	s_mov_b64 s[10:11], 0
	v_mov_b32_e32 v10, s24
	v_mov_b32_e32 v2, s13
.LBB92_37:                              ;   Parent Loop BB92_35 Depth=1
                                        ; =>  This Inner Loop Header: Depth=2
	v_add_u32_e32 v3, v2, v10
	v_lshrrev_b32_e32 v4, 31, v3
	v_add_u32_e32 v3, v3, v4
	v_ashrrev_i32_e32 v4, 1, v3
	v_ashrrev_i32_e32 v5, 31, v4
	v_lshlrev_b64 v[12:13], 2, v[4:5]
	v_mov_b32_e32 v7, s17
	v_add_co_u32_e32 v12, vcc, s16, v12
	v_addc_co_u32_e32 v13, vcc, v7, v13, vcc
	global_load_dword v3, v[12:13], off
	s_waitcnt vmcnt(0)
	v_subrev_u32_e32 v3, s26, v3
	v_cmp_gt_i32_e32 vcc, v3, v6
	v_cndmask_b32_e32 v2, v2, v4, vcc
	v_cndmask_b32_e32 v10, v4, v10, vcc
	v_add_u32_e32 v3, -1, v2
	v_cmp_ge_i32_e32 vcc, v10, v2
	v_cmp_eq_u32_e64 s[2:3], v10, v3
	s_or_b64 s[2:3], vcc, s[2:3]
	s_and_b64 s[2:3], exec, s[2:3]
	s_or_b64 s[10:11], s[2:3], s[10:11]
	s_andn2_b64 exec, exec, s[10:11]
	s_cbranch_execnz .LBB92_37
; %bb.38:                               ;   in Loop: Header=BB92_35 Depth=1
	s_or_b64 exec, exec, s[10:11]
.LBB92_39:                              ;   in Loop: Header=BB92_35 Depth=1
	v_ashrrev_i32_e32 v3, 31, v2
	v_lshlrev_b64 v[4:5], 2, v[2:3]
	v_add_co_u32_e32 v4, vcc, s16, v4
	v_addc_co_u32_e32 v5, vcc, v15, v5, vcc
	v_ashrrev_i32_e32 v7, 31, v6
	global_load_dword v3, v[4:5], off
	v_lshlrev_b64 v[4:5], 2, v[6:7]
	v_add_co_u32_e32 v12, vcc, s18, v4
	v_addc_co_u32_e32 v13, vcc, v16, v5, vcc
	global_load_dword v7, v[12:13], off
	s_waitcnt vmcnt(1)
	v_subrev_u32_e32 v3, s26, v3
	v_cmp_gt_i32_e32 vcc, v3, v6
	v_cndmask_b32_e32 v2, v2, v10, vcc
	s_waitcnt vmcnt(0)
	v_subrev_u32_e32 v10, s26, v7
	v_cmp_ne_u32_e32 vcc, v10, v2
	s_and_saveexec_b64 s[2:3], vcc
	s_cbranch_execz .LBB92_34
; %bb.40:                               ;   in Loop: Header=BB92_35 Depth=1
	v_mov_b32_e32 v3, s21
	v_add_co_u32_e32 v4, vcc, s20, v4
	v_addc_co_u32_e32 v5, vcc, v3, v5, vcc
	v_ashrrev_i32_e32 v3, 31, v2
	v_lshlrev_b64 v[2:3], 3, v[2:3]
	v_ashrrev_i32_e32 v11, 31, v10
	global_load_dword v12, v[4:5], off
	v_mov_b32_e32 v4, s23
	v_add_co_u32_e32 v2, vcc, s22, v2
	v_lshlrev_b64 v[10:11], 3, v[10:11]
	v_addc_co_u32_e32 v3, vcc, v4, v3, vcc
	v_mov_b32_e32 v7, s15
	v_add_co_u32_e32 v10, vcc, s14, v10
	global_load_dwordx2 v[2:3], v[2:3], off
	v_addc_co_u32_e32 v11, vcc, v7, v11, vcc
	global_load_dwordx2 v[4:5], v[10:11], off
	s_mov_b64 s[10:11], 0
	s_waitcnt vmcnt(2)
	v_cvt_f64_f32_e32 v[12:13], v12
	v_mul_f64 v[12:13], v[8:9], v[12:13]
	s_waitcnt vmcnt(1)
	v_mul_f64 v[12:13], v[2:3], v[12:13]
.LBB92_41:                              ;   Parent Loop BB92_35 Depth=1
                                        ; =>  This Inner Loop Header: Depth=2
	s_waitcnt vmcnt(0)
	v_add_f64 v[2:3], v[4:5], v[12:13]
	global_atomic_cmpswap_x2 v[2:3], v[10:11], v[2:5], off glc
	s_waitcnt vmcnt(0)
	v_cmp_eq_u64_e32 vcc, v[2:3], v[4:5]
	s_or_b64 s[10:11], vcc, s[10:11]
	v_pk_mov_b32 v[4:5], v[2:3], v[2:3] op_sel:[0,1]
	s_andn2_b64 exec, exec, s[10:11]
	s_cbranch_execnz .LBB92_41
	s_branch .LBB92_34
.LBB92_42:
	s_or_b64 exec, exec, s[6:7]
	s_mov_b64 s[0:1], 0
.LBB92_43:
	s_and_b64 vcc, exec, s[0:1]
	s_cbranch_vccz .LBB92_180
; %bb.44:
	v_cvt_f32_u32_e32 v2, s27
	s_ashr_i32 s1, s24, 31
	s_mov_b32 s0, s24
	s_sub_i32 s2, 0, s27
	v_rcp_iflag_f32_e32 v2, v2
	s_lshl_b64 s[0:1], s[0:1], 2
	s_add_u32 s6, s16, s0
	s_addc_u32 s7, s17, s1
	v_mul_f32_e32 v2, 0x4f7ffffe, v2
	v_cvt_u32_f32_e32 v2, v2
	s_load_dword s30, s[6:7], 0x0
	s_load_dwordx2 s[8:9], s[4:5], 0x4
	s_load_dword s12, s[4:5], 0x64
	s_waitcnt lgkmcnt(0)
	v_add_u32_e32 v6, s30, v14
	v_readfirstlane_b32 s13, v2
	s_mul_i32 s2, s2, s13
	v_add_u32_e32 v18, 0x300, v6
	s_mul_hi_u32 s28, s13, s2
	v_cmp_le_i32_e32 vcc, s8, v18
	s_and_saveexec_b64 s[0:1], vcc
	s_xor_b64 s[2:3], exec, s[0:1]
	s_cbranch_execz .LBB92_49
; %bb.45:
	s_ashr_i32 s1, s25, 31
	s_mov_b32 s0, s25
	s_lshl_b64 s[0:1], s[0:1], 2
	s_add_u32 s0, s16, s0
	s_addc_u32 s1, s17, s1
	s_load_dword s0, s[0:1], 0x0
	s_waitcnt lgkmcnt(0)
	s_sub_i32 s8, s0, s30
	v_cmp_gt_i32_e64 s[0:1], s8, v0
	s_and_saveexec_b64 s[4:5], s[0:1]
	s_cbranch_execz .LBB92_48
; %bb.46:
	s_sub_i32 s29, s30, s26
	s_mov_b64 s[10:11], 0
	v_mov_b32_e32 v2, s21
	v_mov_b32_e32 v3, v0
	;; [unrolled: 1-line block ×3, first 2 shown]
.LBB92_47:                              ; =>This Inner Loop Header: Depth=1
	v_add_u32_e32 v10, s29, v3
	v_ashrrev_i32_e32 v11, 31, v10
	v_lshlrev_b64 v[10:11], 2, v[10:11]
	v_add_co_u32_e64 v10, s[0:1], s20, v10
	v_addc_co_u32_e64 v11, s[0:1], v2, v11, s[0:1]
	global_load_dword v5, v[10:11], off
	v_add_u32_e32 v3, 0x100, v3
	v_cmp_le_i32_e64 s[0:1], s8, v3
	s_or_b64 s[10:11], s[0:1], s[10:11]
	s_waitcnt vmcnt(0)
	v_cvt_f64_f32_e32 v[10:11], v5
	v_mul_f64 v[10:11], v[8:9], v[10:11]
	ds_write_b64 v4, v[10:11]
	v_add_u32_e32 v4, 0x800, v4
	s_andn2_b64 exec, exec, s[10:11]
	s_cbranch_execnz .LBB92_47
.LBB92_48:
	s_or_b64 exec, exec, s[4:5]
                                        ; implicit-def: $vgpr8_vgpr9
.LBB92_49:
	s_or_saveexec_b64 s[2:3], s[2:3]
	s_and_b32 s31, s12, 0xffff
	s_add_i32 s13, s13, s28
	v_ashrrev_i32_e32 v7, 31, v6
	s_xor_b64 exec, exec, s[2:3]
	s_cbranch_execz .LBB92_51
; %bb.50:
	v_lshlrev_b64 v[2:3], 2, v[6:7]
	v_mov_b32_e32 v4, s21
	v_add_co_u32_e64 v2, s[0:1], s20, v2
	v_addc_co_u32_e64 v3, s[0:1], v4, v3, s[0:1]
	global_load_dword v4, v[2:3], off
	global_load_dword v5, v[2:3], off offset:1024
	global_load_dword v10, v[2:3], off offset:2048
	;; [unrolled: 1-line block ×3, first 2 shown]
	s_waitcnt vmcnt(3)
	v_cvt_f64_f32_e32 v[2:3], v4
	s_waitcnt vmcnt(2)
	v_cvt_f64_f32_e32 v[4:5], v5
	;; [unrolled: 2-line block ×4, first 2 shown]
	v_mul_f64 v[2:3], v[8:9], v[2:3]
	v_mul_f64 v[4:5], v[8:9], v[4:5]
	;; [unrolled: 1-line block ×4, first 2 shown]
	ds_write2st64_b64 v1, v[2:3], v[4:5] offset1:4
	ds_write2st64_b64 v1, v[10:11], v[8:9] offset0:8 offset1:12
.LBB92_51:
	s_or_b64 exec, exec, s[2:3]
	s_mul_hi_u32 s8, s31, s13
	v_cmp_gt_i32_e64 s[0:1], s9, v0
	s_and_saveexec_b64 s[2:3], s[0:1]
	s_cbranch_execz .LBB92_54
; %bb.52:
	v_mov_b32_e32 v2, 0x2000
	v_lshl_add_u32 v4, v0, 3, v2
	v_mov_b32_e32 v2, 0
	s_mov_b64 s[4:5], 0
	v_mov_b32_e32 v3, v2
	v_mov_b32_e32 v5, v0
.LBB92_53:                              ; =>This Inner Loop Header: Depth=1
	v_add_u32_e32 v5, 0x100, v5
	v_cmp_le_i32_e64 s[0:1], s9, v5
	ds_write_b64 v4, v[2:3]
	s_or_b64 s[4:5], s[0:1], s[4:5]
	v_add_u32_e32 v4, 0x800, v4
	s_andn2_b64 exec, exec, s[4:5]
	s_cbranch_execnz .LBB92_53
.LBB92_54:
	s_or_b64 exec, exec, s[2:3]
	s_sub_i32 s0, s25, s9
	s_cmp_ge_i32 s25, s9
	s_cselect_b32 s33, s0, 0
	s_waitcnt lgkmcnt(0)
	s_barrier
	s_and_saveexec_b64 s[0:1], vcc
	s_xor_b64 s[4:5], exec, s[0:1]
	s_cbranch_execz .LBB92_73
; %bb.55:
	s_ashr_i32 s1, s25, 31
	s_mov_b32 s0, s25
	s_lshl_b64 s[0:1], s[0:1], 2
	s_add_u32 s0, s16, s0
	s_addc_u32 s1, s17, s1
	s_load_dword s0, s[0:1], 0x0
	s_waitcnt lgkmcnt(0)
	s_sub_i32 s34, s0, s30
	v_cmp_gt_i32_e32 vcc, s34, v0
	s_and_saveexec_b64 s[10:11], vcc
	s_cbranch_execz .LBB92_72
; %bb.56:
	s_add_i32 s35, s25, -1
	s_cmp_gt_i32 s35, s24
	s_cselect_b64 s[2:3], -1, 0
	s_add_i32 s1, s25, -2
	s_cmp_lg_u32 s1, s24
	s_cselect_b64 s[20:21], -1, 0
	s_sub_i32 s36, s0, s26
	s_and_b64 s[0:1], s[2:3], s[20:21]
	v_cndmask_b32_e64 v2, 0, 1, s[0:1]
	s_mov_b32 s37, 0
	s_mov_b64 s[12:13], 0
	v_cmp_ne_u32_e64 s[0:1], 1, v2
	v_mov_b32_e32 v7, s17
	v_mov_b32_e32 v16, s19
	;; [unrolled: 1-line block ×3, first 2 shown]
	s_branch .LBB92_59
.LBB92_57:                              ;   in Loop: Header=BB92_59 Depth=1
	s_or_b64 exec, exec, s[2:3]
.LBB92_58:                              ;   in Loop: Header=BB92_59 Depth=1
	s_or_b64 exec, exec, s[20:21]
	v_ashrrev_i32_e32 v9, 31, v8
	v_lshlrev_b64 v[2:3], 3, v[8:9]
	v_mov_b32_e32 v4, s23
	v_add_co_u32_e32 v2, vcc, s22, v2
	v_addc_co_u32_e32 v3, vcc, v4, v3, vcc
	global_load_dwordx2 v[2:3], v[2:3], off
	s_addk_i32 s37, 0x100
	v_add_u32_e32 v4, s37, v0
	v_cmp_le_i32_e32 vcc, s34, v4
	s_or_b64 s[12:13], vcc, s[12:13]
	s_waitcnt vmcnt(0) lgkmcnt(0)
	v_mul_f64 v[2:3], v[2:3], v[10:11]
	ds_write_b64 v18, v[2:3]
	s_andn2_b64 exec, exec, s[12:13]
	s_cbranch_execz .LBB92_72
.LBB92_59:                              ; =>This Loop Header: Depth=1
                                        ;     Child Loop BB92_61 Depth 2
                                        ;     Child Loop BB92_68 Depth 2
	v_add_u32_e32 v2, s37, v6
	s_and_b64 vcc, exec, s[0:1]
	v_mov_b32_e32 v9, s24
	v_mov_b32_e32 v4, s35
	s_cbranch_vccnz .LBB92_63
; %bb.60:                               ;   in Loop: Header=BB92_59 Depth=1
	s_mov_b64 s[20:21], 0
	v_mov_b32_e32 v9, s24
	v_mov_b32_e32 v4, s35
.LBB92_61:                              ;   Parent Loop BB92_59 Depth=1
                                        ; =>  This Inner Loop Header: Depth=2
	v_add_u32_e32 v3, v4, v9
	v_lshrrev_b32_e32 v8, 31, v3
	v_add_u32_e32 v3, v3, v8
	v_ashrrev_i32_e32 v10, 1, v3
	v_ashrrev_i32_e32 v11, 31, v10
	v_lshlrev_b64 v[12:13], 2, v[10:11]
	v_mov_b32_e32 v5, s17
	v_add_co_u32_e32 v12, vcc, s16, v12
	v_addc_co_u32_e32 v13, vcc, v5, v13, vcc
	global_load_dword v3, v[12:13], off
	s_waitcnt vmcnt(0)
	v_subrev_u32_e32 v3, s26, v3
	v_cmp_gt_i32_e32 vcc, v3, v2
	v_cndmask_b32_e32 v4, v4, v10, vcc
	v_cndmask_b32_e32 v9, v10, v9, vcc
	v_add_u32_e32 v3, -1, v4
	v_cmp_ge_i32_e32 vcc, v9, v4
	v_cmp_eq_u32_e64 s[2:3], v9, v3
	s_or_b64 s[2:3], vcc, s[2:3]
	s_and_b64 s[2:3], exec, s[2:3]
	s_or_b64 s[20:21], s[2:3], s[20:21]
	s_andn2_b64 exec, exec, s[20:21]
	s_cbranch_execnz .LBB92_61
; %bb.62:                               ;   in Loop: Header=BB92_59 Depth=1
	s_or_b64 exec, exec, s[20:21]
.LBB92_63:                              ;   in Loop: Header=BB92_59 Depth=1
	v_ashrrev_i32_e32 v5, 31, v4
	v_lshlrev_b64 v[10:11], 2, v[4:5]
	v_add_co_u32_e32 v10, vcc, s16, v10
	v_addc_co_u32_e32 v11, vcc, v7, v11, vcc
	v_ashrrev_i32_e32 v3, 31, v2
	global_load_dword v5, v[10:11], off
	v_lshlrev_b64 v[10:11], 2, v[2:3]
	v_add_co_u32_e32 v10, vcc, s18, v10
	v_addc_co_u32_e32 v11, vcc, v16, v11, vcc
	global_load_dword v3, v[10:11], off
	v_cmp_le_i32_e32 vcc, s36, v2
	v_lshl_add_u32 v18, s37, 3, v1
                                        ; implicit-def: $vgpr10_vgpr11
	s_waitcnt vmcnt(1)
	v_subrev_u32_e32 v5, s26, v5
	v_cmp_gt_i32_e64 s[2:3], v5, v2
	v_cndmask_b32_e64 v2, v4, v9, s[2:3]
	s_waitcnt vmcnt(0)
	v_subrev_u32_e32 v8, s26, v3
	v_cmp_eq_u32_e64 s[2:3], v8, v2
	s_or_b64 s[2:3], s[2:3], vcc
	s_and_saveexec_b64 s[20:21], s[2:3]
	s_xor_b64 s[2:3], exec, s[20:21]
	s_cbranch_execz .LBB92_65
; %bb.64:                               ;   in Loop: Header=BB92_59 Depth=1
	ds_read_b64 v[10:11], v18
                                        ; implicit-def: $vgpr2
.LBB92_65:                              ;   in Loop: Header=BB92_59 Depth=1
	s_andn2_saveexec_b64 s[20:21], s[2:3]
	s_cbranch_execz .LBB92_58
; %bb.66:                               ;   in Loop: Header=BB92_59 Depth=1
	v_ashrrev_i32_e32 v3, 31, v2
	v_lshlrev_b64 v[2:3], 3, v[2:3]
	v_mov_b32_e32 v4, s23
	v_add_co_u32_e32 v2, vcc, s22, v2
	v_addc_co_u32_e32 v3, vcc, v4, v3, vcc
	global_load_dwordx2 v[2:3], v[2:3], off
	s_waitcnt lgkmcnt(0)
	ds_read_b64 v[10:11], v18
	v_cmp_gt_i32_e32 vcc, s33, v8
	v_cmp_le_i32_e64 s[2:3], s25, v8
	s_or_b64 s[2:3], vcc, s[2:3]
	s_waitcnt vmcnt(0) lgkmcnt(0)
	v_mul_f64 v[12:13], v[10:11], v[2:3]
	s_and_saveexec_b64 s[28:29], s[2:3]
	s_xor_b64 s[2:3], exec, s[28:29]
	s_cbranch_execz .LBB92_70
; %bb.67:                               ;   in Loop: Header=BB92_59 Depth=1
	v_ashrrev_i32_e32 v9, 31, v8
	v_lshlrev_b64 v[2:3], 3, v[8:9]
	v_mov_b32_e32 v4, s15
	v_add_co_u32_e32 v14, vcc, s14, v2
	v_addc_co_u32_e32 v15, vcc, v4, v3, vcc
	global_load_dwordx2 v[4:5], v[14:15], off
	s_mov_b64 s[28:29], 0
.LBB92_68:                              ;   Parent Loop BB92_59 Depth=1
                                        ; =>  This Inner Loop Header: Depth=2
	s_waitcnt vmcnt(0)
	v_add_f64 v[2:3], v[4:5], v[12:13]
	global_atomic_cmpswap_x2 v[2:3], v[14:15], v[2:5], off glc
	s_waitcnt vmcnt(0)
	v_cmp_eq_u64_e32 vcc, v[2:3], v[4:5]
	s_or_b64 s[28:29], vcc, s[28:29]
	v_pk_mov_b32 v[4:5], v[2:3], v[2:3] op_sel:[0,1]
	s_andn2_b64 exec, exec, s[28:29]
	s_cbranch_execnz .LBB92_68
; %bb.69:                               ;   in Loop: Header=BB92_59 Depth=1
	s_or_b64 exec, exec, s[28:29]
                                        ; implicit-def: $vgpr12_vgpr13
.LBB92_70:                              ;   in Loop: Header=BB92_59 Depth=1
	s_andn2_saveexec_b64 s[2:3], s[2:3]
	s_cbranch_execz .LBB92_57
; %bb.71:                               ;   in Loop: Header=BB92_59 Depth=1
	v_subrev_u32_e32 v2, s33, v8
	v_lshl_add_u32 v2, v2, 3, v17
	ds_add_f64 v2, v[12:13]
	s_branch .LBB92_57
.LBB92_72:
	s_or_b64 exec, exec, s[10:11]
                                        ; implicit-def: $vgpr18
                                        ; implicit-def: $vgpr6
.LBB92_73:
	s_andn2_saveexec_b64 s[4:5], s[4:5]
	s_cbranch_execz .LBB92_139
; %bb.74:
	s_add_i32 s28, s25, -1
	s_cmp_le_i32 s28, s24
	s_cselect_b64 s[0:1], -1, 0
	s_add_i32 s2, s25, -2
	s_cmp_eq_u32 s2, s24
	s_cselect_b64 s[2:3], -1, 0
	s_or_b64 s[2:3], s[0:1], s[2:3]
	s_and_b64 vcc, exec, s[2:3]
	v_mov_b32_e32 v4, s24
	v_mov_b32_e32 v2, s28
	s_cbranch_vccnz .LBB92_78
; %bb.75:
	s_mov_b64 s[10:11], 0
	v_mov_b32_e32 v4, s24
	v_mov_b32_e32 v2, s28
	;; [unrolled: 1-line block ×3, first 2 shown]
.LBB92_76:                              ; =>This Inner Loop Header: Depth=1
	v_add_u32_e32 v5, v2, v4
	v_lshrrev_b32_e32 v8, 31, v5
	v_add_u32_e32 v5, v5, v8
	v_ashrrev_i32_e32 v8, 1, v5
	v_ashrrev_i32_e32 v9, 31, v8
	v_lshlrev_b64 v[10:11], 2, v[8:9]
	v_add_co_u32_e32 v10, vcc, s16, v10
	v_addc_co_u32_e32 v11, vcc, v3, v11, vcc
	global_load_dword v5, v[10:11], off
	s_waitcnt vmcnt(0)
	v_subrev_u32_e32 v5, s26, v5
	v_cmp_gt_i32_e32 vcc, v5, v6
	v_cndmask_b32_e32 v2, v2, v8, vcc
	v_cndmask_b32_e32 v4, v8, v4, vcc
	v_add_u32_e32 v5, -1, v2
	v_cmp_ge_i32_e32 vcc, v4, v2
	v_cmp_eq_u32_e64 s[0:1], v4, v5
	s_or_b64 s[0:1], vcc, s[0:1]
	s_and_b64 s[0:1], exec, s[0:1]
	s_or_b64 s[10:11], s[0:1], s[10:11]
	s_andn2_b64 exec, exec, s[10:11]
	s_cbranch_execnz .LBB92_76
; %bb.77:
	s_or_b64 exec, exec, s[10:11]
.LBB92_78:
	v_ashrrev_i32_e32 v3, 31, v2
	v_lshlrev_b64 v[8:9], 2, v[2:3]
	v_mov_b32_e32 v3, s17
	v_add_co_u32_e32 v8, vcc, s16, v8
	v_addc_co_u32_e32 v9, vcc, v3, v9, vcc
	global_load_dword v3, v[8:9], off
	v_lshlrev_b64 v[8:9], 2, v[6:7]
	v_mov_b32_e32 v5, s19
	v_add_co_u32_e32 v8, vcc, s18, v8
	v_addc_co_u32_e32 v9, vcc, v5, v9, vcc
	global_load_dword v5, v[8:9], off
	s_ashr_i32 s1, s25, 31
	s_mov_b32 s0, s25
	s_xor_b64 s[2:3], s[2:3], -1
	s_lshl_b64 s[0:1], s[0:1], 2
	s_add_u32 s10, s16, s0
	s_addc_u32 s11, s17, s1
                                        ; implicit-def: $vgpr10_vgpr11
	s_waitcnt vmcnt(1)
	v_subrev_u32_e32 v3, s26, v3
	v_cmp_gt_i32_e32 vcc, v3, v6
	v_cndmask_b32_e32 v2, v2, v4, vcc
	s_waitcnt vmcnt(0)
	v_subrev_u32_e32 v12, s26, v5
	v_cmp_ne_u32_e32 vcc, v12, v2
	s_and_saveexec_b64 s[0:1], vcc
	s_xor_b64 s[12:13], exec, s[0:1]
	s_cbranch_execz .LBB92_88
; %bb.79:
	s_load_dword s0, s[10:11], 0x0
	ds_read_b64 v[10:11], v1
	s_waitcnt lgkmcnt(0)
	s_sub_i32 s0, s0, s26
	v_cmp_gt_i32_e32 vcc, s0, v6
	s_and_saveexec_b64 s[18:19], vcc
	s_cbranch_execz .LBB92_87
; %bb.80:
	v_ashrrev_i32_e32 v3, 31, v2
	v_lshlrev_b64 v[2:3], 3, v[2:3]
	v_mov_b32_e32 v4, s23
	v_add_co_u32_e32 v2, vcc, s22, v2
	v_addc_co_u32_e32 v3, vcc, v4, v3, vcc
	global_load_dwordx2 v[2:3], v[2:3], off
	v_cmp_gt_i32_e32 vcc, s33, v12
	v_cmp_le_i32_e64 s[0:1], s25, v12
	s_or_b64 s[0:1], vcc, s[0:1]
	s_waitcnt vmcnt(0)
	v_mul_f64 v[14:15], v[10:11], v[2:3]
	s_and_saveexec_b64 s[20:21], s[0:1]
	s_xor_b64 s[0:1], exec, s[20:21]
	s_cbranch_execz .LBB92_84
; %bb.81:
	v_ashrrev_i32_e32 v13, 31, v12
	v_lshlrev_b64 v[2:3], 3, v[12:13]
	v_mov_b32_e32 v4, s15
	v_add_co_u32_e32 v16, vcc, s14, v2
	v_addc_co_u32_e32 v17, vcc, v4, v3, vcc
	global_load_dwordx2 v[4:5], v[16:17], off
	s_mov_b64 s[20:21], 0
.LBB92_82:                              ; =>This Inner Loop Header: Depth=1
	s_waitcnt vmcnt(0)
	v_add_f64 v[2:3], v[4:5], v[14:15]
	global_atomic_cmpswap_x2 v[2:3], v[16:17], v[2:5], off glc
	s_waitcnt vmcnt(0)
	v_cmp_eq_u64_e32 vcc, v[2:3], v[4:5]
	s_or_b64 s[20:21], vcc, s[20:21]
	v_pk_mov_b32 v[4:5], v[2:3], v[2:3] op_sel:[0,1]
	s_andn2_b64 exec, exec, s[20:21]
	s_cbranch_execnz .LBB92_82
; %bb.83:
	s_or_b64 exec, exec, s[20:21]
                                        ; implicit-def: $vgpr14_vgpr15
.LBB92_84:
	s_andn2_saveexec_b64 s[0:1], s[0:1]
	s_cbranch_execz .LBB92_86
; %bb.85:
	v_subrev_u32_e32 v2, s33, v12
	v_mov_b32_e32 v3, 0x2000
	v_lshl_add_u32 v2, v2, 3, v3
	ds_add_f64 v2, v[14:15]
.LBB92_86:
	s_or_b64 exec, exec, s[0:1]
.LBB92_87:
	s_or_b64 exec, exec, s[18:19]
.LBB92_88:
	s_andn2_saveexec_b64 s[0:1], s[12:13]
	s_cbranch_execz .LBB92_90
; %bb.89:
	ds_read_b64 v[10:11], v1
.LBB92_90:
	s_or_b64 exec, exec, s[0:1]
	v_ashrrev_i32_e32 v13, 31, v12
	v_lshlrev_b64 v[2:3], 3, v[12:13]
	v_mov_b32_e32 v4, s23
	v_add_co_u32_e32 v2, vcc, s22, v2
	v_addc_co_u32_e32 v3, vcc, v4, v3, vcc
	global_load_dwordx2 v[2:3], v[2:3], off
	v_cndmask_b32_e64 v7, 0, 1, s[2:3]
	v_add_u32_e32 v4, 0x100, v6
	v_mov_b32_e32 v5, s24
	v_cmp_ne_u32_e64 s[0:1], 1, v7
	s_andn2_b64 vcc, exec, s[2:3]
	s_waitcnt vmcnt(0) lgkmcnt(0)
	v_mul_f64 v[2:3], v[2:3], v[10:11]
	ds_write_b64 v1, v[2:3]
	v_mov_b32_e32 v2, s28
	s_cbranch_vccnz .LBB92_94
; %bb.91:
	s_mov_b64 s[12:13], 0
	v_mov_b32_e32 v5, s24
	v_mov_b32_e32 v2, s28
	;; [unrolled: 1-line block ×3, first 2 shown]
.LBB92_92:                              ; =>This Inner Loop Header: Depth=1
	v_add_u32_e32 v7, v2, v5
	v_lshrrev_b32_e32 v10, 31, v7
	v_add_u32_e32 v7, v7, v10
	v_ashrrev_i32_e32 v10, 1, v7
	v_ashrrev_i32_e32 v11, 31, v10
	v_lshlrev_b64 v[12:13], 2, v[10:11]
	v_add_co_u32_e32 v12, vcc, s16, v12
	v_addc_co_u32_e32 v13, vcc, v3, v13, vcc
	global_load_dword v7, v[12:13], off
	s_waitcnt vmcnt(0)
	v_subrev_u32_e32 v7, s26, v7
	v_cmp_gt_i32_e32 vcc, v7, v4
	v_cndmask_b32_e32 v2, v2, v10, vcc
	v_cndmask_b32_e32 v5, v10, v5, vcc
	v_add_u32_e32 v7, -1, v2
	v_cmp_ge_i32_e32 vcc, v5, v2
	v_cmp_eq_u32_e64 s[2:3], v5, v7
	s_or_b64 s[2:3], vcc, s[2:3]
	s_and_b64 s[2:3], exec, s[2:3]
	s_or_b64 s[12:13], s[2:3], s[12:13]
	s_andn2_b64 exec, exec, s[12:13]
	s_cbranch_execnz .LBB92_92
; %bb.93:
	s_or_b64 exec, exec, s[12:13]
.LBB92_94:
	v_ashrrev_i32_e32 v3, 31, v2
	v_lshlrev_b64 v[10:11], 2, v[2:3]
	v_mov_b32_e32 v3, s17
	v_add_co_u32_e32 v10, vcc, s16, v10
	v_addc_co_u32_e32 v11, vcc, v3, v11, vcc
	global_load_dword v3, v[10:11], off
	global_load_dword v7, v[8:9], off offset:1024
                                        ; implicit-def: $vgpr10_vgpr11
	s_waitcnt vmcnt(1)
	v_subrev_u32_e32 v3, s26, v3
	v_cmp_gt_i32_e32 vcc, v3, v4
	v_cndmask_b32_e32 v2, v2, v5, vcc
	s_waitcnt vmcnt(0)
	v_subrev_u32_e32 v12, s26, v7
	v_cmp_ne_u32_e32 vcc, v12, v2
	s_and_saveexec_b64 s[2:3], vcc
	s_xor_b64 s[12:13], exec, s[2:3]
	s_cbranch_execz .LBB92_104
; %bb.95:
	s_load_dword s2, s[10:11], 0x0
	ds_read_b64 v[10:11], v1 offset:2048
	s_waitcnt lgkmcnt(0)
	s_sub_i32 s2, s2, s26
	v_cmp_gt_i32_e32 vcc, s2, v4
	s_and_saveexec_b64 s[18:19], vcc
	s_cbranch_execz .LBB92_103
; %bb.96:
	v_ashrrev_i32_e32 v3, 31, v2
	v_lshlrev_b64 v[2:3], 3, v[2:3]
	v_mov_b32_e32 v4, s23
	v_add_co_u32_e32 v2, vcc, s22, v2
	v_addc_co_u32_e32 v3, vcc, v4, v3, vcc
	global_load_dwordx2 v[2:3], v[2:3], off
	v_cmp_gt_i32_e32 vcc, s33, v12
	v_cmp_le_i32_e64 s[2:3], s25, v12
	s_or_b64 s[2:3], vcc, s[2:3]
	s_waitcnt vmcnt(0)
	v_mul_f64 v[14:15], v[10:11], v[2:3]
	s_and_saveexec_b64 s[20:21], s[2:3]
	s_xor_b64 s[2:3], exec, s[20:21]
	s_cbranch_execz .LBB92_100
; %bb.97:
	v_ashrrev_i32_e32 v13, 31, v12
	v_lshlrev_b64 v[2:3], 3, v[12:13]
	v_mov_b32_e32 v4, s15
	v_add_co_u32_e32 v16, vcc, s14, v2
	v_addc_co_u32_e32 v17, vcc, v4, v3, vcc
	global_load_dwordx2 v[4:5], v[16:17], off
	s_mov_b64 s[20:21], 0
.LBB92_98:                              ; =>This Inner Loop Header: Depth=1
	s_waitcnt vmcnt(0)
	v_add_f64 v[2:3], v[4:5], v[14:15]
	global_atomic_cmpswap_x2 v[2:3], v[16:17], v[2:5], off glc
	s_waitcnt vmcnt(0)
	v_cmp_eq_u64_e32 vcc, v[2:3], v[4:5]
	s_or_b64 s[20:21], vcc, s[20:21]
	v_pk_mov_b32 v[4:5], v[2:3], v[2:3] op_sel:[0,1]
	s_andn2_b64 exec, exec, s[20:21]
	s_cbranch_execnz .LBB92_98
; %bb.99:
	s_or_b64 exec, exec, s[20:21]
                                        ; implicit-def: $vgpr14_vgpr15
.LBB92_100:
	s_andn2_saveexec_b64 s[2:3], s[2:3]
	s_cbranch_execz .LBB92_102
; %bb.101:
	v_subrev_u32_e32 v2, s33, v12
	v_mov_b32_e32 v3, 0x2000
	v_lshl_add_u32 v2, v2, 3, v3
	ds_add_f64 v2, v[14:15]
.LBB92_102:
	s_or_b64 exec, exec, s[2:3]
.LBB92_103:
	s_or_b64 exec, exec, s[18:19]
.LBB92_104:
	s_andn2_saveexec_b64 s[2:3], s[12:13]
	s_cbranch_execz .LBB92_106
; %bb.105:
	ds_read_b64 v[10:11], v1 offset:2048
.LBB92_106:
	s_or_b64 exec, exec, s[2:3]
	v_ashrrev_i32_e32 v13, 31, v12
	v_lshlrev_b64 v[2:3], 3, v[12:13]
	v_mov_b32_e32 v4, s23
	v_add_co_u32_e32 v2, vcc, s22, v2
	v_addc_co_u32_e32 v3, vcc, v4, v3, vcc
	global_load_dwordx2 v[2:3], v[2:3], off
	v_add_u32_e32 v4, 0x200, v6
	s_and_b64 vcc, exec, s[0:1]
	v_mov_b32_e32 v5, s24
	s_waitcnt vmcnt(0) lgkmcnt(0)
	v_mul_f64 v[2:3], v[2:3], v[10:11]
	ds_write_b64 v1, v[2:3] offset:2048
	v_mov_b32_e32 v2, s28
	s_cbranch_vccnz .LBB92_110
; %bb.107:
	s_mov_b64 s[12:13], 0
	v_mov_b32_e32 v5, s24
	v_mov_b32_e32 v2, s28
	;; [unrolled: 1-line block ×3, first 2 shown]
.LBB92_108:                             ; =>This Inner Loop Header: Depth=1
	v_add_u32_e32 v6, v2, v5
	v_lshrrev_b32_e32 v7, 31, v6
	v_add_u32_e32 v6, v6, v7
	v_ashrrev_i32_e32 v6, 1, v6
	v_ashrrev_i32_e32 v7, 31, v6
	v_lshlrev_b64 v[10:11], 2, v[6:7]
	v_add_co_u32_e32 v10, vcc, s16, v10
	v_addc_co_u32_e32 v11, vcc, v3, v11, vcc
	global_load_dword v7, v[10:11], off
	s_waitcnt vmcnt(0)
	v_subrev_u32_e32 v7, s26, v7
	v_cmp_gt_i32_e32 vcc, v7, v4
	v_cndmask_b32_e32 v2, v2, v6, vcc
	v_cndmask_b32_e32 v5, v6, v5, vcc
	v_add_u32_e32 v6, -1, v2
	v_cmp_ge_i32_e32 vcc, v5, v2
	v_cmp_eq_u32_e64 s[2:3], v5, v6
	s_or_b64 s[2:3], vcc, s[2:3]
	s_and_b64 s[2:3], exec, s[2:3]
	s_or_b64 s[12:13], s[2:3], s[12:13]
	s_andn2_b64 exec, exec, s[12:13]
	s_cbranch_execnz .LBB92_108
; %bb.109:
	s_or_b64 exec, exec, s[12:13]
.LBB92_110:
	v_ashrrev_i32_e32 v3, 31, v2
	v_lshlrev_b64 v[6:7], 2, v[2:3]
	v_mov_b32_e32 v3, s17
	v_add_co_u32_e32 v6, vcc, s16, v6
	v_addc_co_u32_e32 v7, vcc, v3, v7, vcc
	global_load_dword v3, v[6:7], off
	global_load_dword v10, v[8:9], off offset:2048
                                        ; implicit-def: $vgpr6_vgpr7
	s_waitcnt vmcnt(1)
	v_subrev_u32_e32 v3, s26, v3
	v_cmp_gt_i32_e32 vcc, v3, v4
	v_cndmask_b32_e32 v2, v2, v5, vcc
	s_waitcnt vmcnt(0)
	v_subrev_u32_e32 v10, s26, v10
	v_cmp_ne_u32_e32 vcc, v10, v2
	s_and_saveexec_b64 s[2:3], vcc
	s_xor_b64 s[12:13], exec, s[2:3]
	s_cbranch_execz .LBB92_120
; %bb.111:
	s_load_dword s2, s[10:11], 0x0
	ds_read_b64 v[6:7], v1 offset:4096
	s_waitcnt lgkmcnt(0)
	s_sub_i32 s2, s2, s26
	v_cmp_gt_i32_e32 vcc, s2, v4
	s_and_saveexec_b64 s[18:19], vcc
	s_cbranch_execz .LBB92_119
; %bb.112:
	v_ashrrev_i32_e32 v3, 31, v2
	v_lshlrev_b64 v[2:3], 3, v[2:3]
	v_mov_b32_e32 v4, s23
	v_add_co_u32_e32 v2, vcc, s22, v2
	v_addc_co_u32_e32 v3, vcc, v4, v3, vcc
	global_load_dwordx2 v[2:3], v[2:3], off
	v_cmp_gt_i32_e32 vcc, s33, v10
	v_cmp_le_i32_e64 s[2:3], s25, v10
	s_or_b64 s[2:3], vcc, s[2:3]
	s_waitcnt vmcnt(0)
	v_mul_f64 v[12:13], v[6:7], v[2:3]
	s_and_saveexec_b64 s[20:21], s[2:3]
	s_xor_b64 s[2:3], exec, s[20:21]
	s_cbranch_execz .LBB92_116
; %bb.113:
	v_ashrrev_i32_e32 v11, 31, v10
	v_lshlrev_b64 v[2:3], 3, v[10:11]
	v_mov_b32_e32 v4, s15
	v_add_co_u32_e32 v14, vcc, s14, v2
	v_addc_co_u32_e32 v15, vcc, v4, v3, vcc
	global_load_dwordx2 v[4:5], v[14:15], off
	s_mov_b64 s[20:21], 0
.LBB92_114:                             ; =>This Inner Loop Header: Depth=1
	s_waitcnt vmcnt(0)
	v_add_f64 v[2:3], v[4:5], v[12:13]
	global_atomic_cmpswap_x2 v[2:3], v[14:15], v[2:5], off glc
	s_waitcnt vmcnt(0)
	v_cmp_eq_u64_e32 vcc, v[2:3], v[4:5]
	s_or_b64 s[20:21], vcc, s[20:21]
	v_pk_mov_b32 v[4:5], v[2:3], v[2:3] op_sel:[0,1]
	s_andn2_b64 exec, exec, s[20:21]
	s_cbranch_execnz .LBB92_114
; %bb.115:
	s_or_b64 exec, exec, s[20:21]
                                        ; implicit-def: $vgpr12_vgpr13
.LBB92_116:
	s_andn2_saveexec_b64 s[2:3], s[2:3]
	s_cbranch_execz .LBB92_118
; %bb.117:
	v_subrev_u32_e32 v2, s33, v10
	v_mov_b32_e32 v3, 0x2000
	v_lshl_add_u32 v2, v2, 3, v3
	ds_add_f64 v2, v[12:13]
.LBB92_118:
	s_or_b64 exec, exec, s[2:3]
.LBB92_119:
	s_or_b64 exec, exec, s[18:19]
.LBB92_120:
	s_andn2_saveexec_b64 s[2:3], s[12:13]
	s_cbranch_execz .LBB92_122
; %bb.121:
	ds_read_b64 v[6:7], v1 offset:4096
.LBB92_122:
	s_or_b64 exec, exec, s[2:3]
	v_ashrrev_i32_e32 v11, 31, v10
	v_lshlrev_b64 v[2:3], 3, v[10:11]
	v_mov_b32_e32 v4, s23
	v_add_co_u32_e32 v2, vcc, s22, v2
	v_addc_co_u32_e32 v3, vcc, v4, v3, vcc
	global_load_dwordx2 v[2:3], v[2:3], off
	s_and_b64 vcc, exec, s[0:1]
	v_mov_b32_e32 v4, s24
	s_waitcnt vmcnt(0) lgkmcnt(0)
	v_mul_f64 v[2:3], v[2:3], v[6:7]
	ds_write_b64 v1, v[2:3] offset:4096
	v_mov_b32_e32 v2, s28
	s_cbranch_vccnz .LBB92_126
; %bb.123:
	s_mov_b64 s[2:3], 0
	v_mov_b32_e32 v4, s24
	v_mov_b32_e32 v2, s28
	;; [unrolled: 1-line block ×3, first 2 shown]
.LBB92_124:                             ; =>This Inner Loop Header: Depth=1
	v_add_u32_e32 v5, v2, v4
	v_lshrrev_b32_e32 v6, 31, v5
	v_add_u32_e32 v5, v5, v6
	v_ashrrev_i32_e32 v6, 1, v5
	v_ashrrev_i32_e32 v7, 31, v6
	v_lshlrev_b64 v[10:11], 2, v[6:7]
	v_add_co_u32_e32 v10, vcc, s16, v10
	v_addc_co_u32_e32 v11, vcc, v3, v11, vcc
	global_load_dword v5, v[10:11], off
	s_waitcnt vmcnt(0)
	v_subrev_u32_e32 v5, s26, v5
	v_cmp_gt_i32_e32 vcc, v5, v18
	v_cndmask_b32_e32 v2, v2, v6, vcc
	v_cndmask_b32_e32 v4, v6, v4, vcc
	v_add_u32_e32 v5, -1, v2
	v_cmp_ge_i32_e32 vcc, v4, v2
	v_cmp_eq_u32_e64 s[0:1], v4, v5
	s_or_b64 s[0:1], vcc, s[0:1]
	s_and_b64 s[0:1], exec, s[0:1]
	s_or_b64 s[2:3], s[0:1], s[2:3]
	s_andn2_b64 exec, exec, s[2:3]
	s_cbranch_execnz .LBB92_124
; %bb.125:
	s_or_b64 exec, exec, s[2:3]
.LBB92_126:
	v_ashrrev_i32_e32 v3, 31, v2
	v_lshlrev_b64 v[6:7], 2, v[2:3]
	v_mov_b32_e32 v3, s17
	v_add_co_u32_e32 v6, vcc, s16, v6
	v_addc_co_u32_e32 v7, vcc, v3, v7, vcc
	global_load_dword v3, v[6:7], off
	global_load_dword v5, v[8:9], off offset:3072
                                        ; implicit-def: $vgpr6_vgpr7
	s_waitcnt vmcnt(1)
	v_subrev_u32_e32 v3, s26, v3
	v_cmp_gt_i32_e32 vcc, v3, v18
	v_cndmask_b32_e32 v2, v2, v4, vcc
	s_waitcnt vmcnt(0)
	v_subrev_u32_e32 v8, s26, v5
	v_cmp_ne_u32_e32 vcc, v8, v2
	s_and_saveexec_b64 s[0:1], vcc
	s_xor_b64 s[2:3], exec, s[0:1]
	s_cbranch_execz .LBB92_136
; %bb.127:
	s_load_dword s0, s[10:11], 0x0
	ds_read_b64 v[6:7], v1 offset:6144
	s_waitcnt lgkmcnt(0)
	s_sub_i32 s0, s0, s26
	v_cmp_gt_i32_e32 vcc, s0, v18
	s_and_saveexec_b64 s[10:11], vcc
	s_cbranch_execz .LBB92_135
; %bb.128:
	v_ashrrev_i32_e32 v3, 31, v2
	v_lshlrev_b64 v[2:3], 3, v[2:3]
	v_mov_b32_e32 v4, s23
	v_add_co_u32_e32 v2, vcc, s22, v2
	v_addc_co_u32_e32 v3, vcc, v4, v3, vcc
	global_load_dwordx2 v[2:3], v[2:3], off
	v_cmp_gt_i32_e32 vcc, s33, v8
	v_cmp_le_i32_e64 s[0:1], s25, v8
	s_or_b64 s[0:1], vcc, s[0:1]
	s_waitcnt vmcnt(0)
	v_mul_f64 v[10:11], v[6:7], v[2:3]
	s_and_saveexec_b64 s[12:13], s[0:1]
	s_xor_b64 s[0:1], exec, s[12:13]
	s_cbranch_execz .LBB92_132
; %bb.129:
	v_ashrrev_i32_e32 v9, 31, v8
	v_lshlrev_b64 v[2:3], 3, v[8:9]
	v_mov_b32_e32 v4, s15
	v_add_co_u32_e32 v12, vcc, s14, v2
	v_addc_co_u32_e32 v13, vcc, v4, v3, vcc
	global_load_dwordx2 v[4:5], v[12:13], off
	s_mov_b64 s[12:13], 0
.LBB92_130:                             ; =>This Inner Loop Header: Depth=1
	s_waitcnt vmcnt(0)
	v_add_f64 v[2:3], v[4:5], v[10:11]
	global_atomic_cmpswap_x2 v[2:3], v[12:13], v[2:5], off glc
	s_waitcnt vmcnt(0)
	v_cmp_eq_u64_e32 vcc, v[2:3], v[4:5]
	s_or_b64 s[12:13], vcc, s[12:13]
	v_pk_mov_b32 v[4:5], v[2:3], v[2:3] op_sel:[0,1]
	s_andn2_b64 exec, exec, s[12:13]
	s_cbranch_execnz .LBB92_130
; %bb.131:
	s_or_b64 exec, exec, s[12:13]
                                        ; implicit-def: $vgpr10_vgpr11
.LBB92_132:
	s_andn2_saveexec_b64 s[0:1], s[0:1]
	s_cbranch_execz .LBB92_134
; %bb.133:
	v_subrev_u32_e32 v2, s33, v8
	v_mov_b32_e32 v3, 0x2000
	v_lshl_add_u32 v2, v2, 3, v3
	ds_add_f64 v2, v[10:11]
.LBB92_134:
	s_or_b64 exec, exec, s[0:1]
.LBB92_135:
	s_or_b64 exec, exec, s[10:11]
.LBB92_136:
	s_andn2_saveexec_b64 s[0:1], s[2:3]
	s_cbranch_execz .LBB92_138
; %bb.137:
	ds_read_b64 v[6:7], v1 offset:6144
.LBB92_138:
	s_or_b64 exec, exec, s[0:1]
	v_ashrrev_i32_e32 v9, 31, v8
	v_lshlrev_b64 v[2:3], 3, v[8:9]
	v_mov_b32_e32 v4, s23
	v_add_co_u32_e32 v2, vcc, s22, v2
	v_addc_co_u32_e32 v3, vcc, v4, v3, vcc
	global_load_dwordx2 v[2:3], v[2:3], off
	s_waitcnt vmcnt(0) lgkmcnt(0)
	v_mul_f64 v[2:3], v[2:3], v[6:7]
	ds_write_b64 v1, v[2:3] offset:6144
.LBB92_139:
	s_or_b64 exec, exec, s[4:5]
	s_min_i32 s9, s25, s9
	s_sub_i32 s10, s9, s27
	v_cmp_gt_i32_e32 vcc, s10, v0
	s_waitcnt lgkmcnt(0)
	s_barrier
	s_and_saveexec_b64 s[0:1], vcc
	s_cbranch_execz .LBB92_144
; %bb.140:
	s_mov_b64 s[2:3], 0
	v_mov_b32_e32 v10, s15
	v_mov_b32_e32 v11, 0x2000
	v_mov_b32_e32 v12, v0
.LBB92_141:                             ; =>This Loop Header: Depth=1
                                        ;     Child Loop BB92_142 Depth 2
	v_add_u32_e32 v2, s33, v12
	v_ashrrev_i32_e32 v3, 31, v2
	v_lshlrev_b64 v[2:3], 3, v[2:3]
	v_add_co_u32_e32 v6, vcc, s14, v2
	v_addc_co_u32_e32 v7, vcc, v10, v3, vcc
	global_load_dwordx2 v[4:5], v[6:7], off
	v_lshl_add_u32 v2, v12, 3, v11
	ds_read_b64 v[8:9], v2
	s_mov_b64 s[4:5], 0
.LBB92_142:                             ;   Parent Loop BB92_141 Depth=1
                                        ; =>  This Inner Loop Header: Depth=2
	s_waitcnt vmcnt(0) lgkmcnt(0)
	v_add_f64 v[2:3], v[4:5], v[8:9]
	global_atomic_cmpswap_x2 v[2:3], v[6:7], v[2:5], off glc
	s_waitcnt vmcnt(0)
	v_cmp_eq_u64_e32 vcc, v[2:3], v[4:5]
	s_or_b64 s[4:5], vcc, s[4:5]
	v_pk_mov_b32 v[4:5], v[2:3], v[2:3] op_sel:[0,1]
	s_andn2_b64 exec, exec, s[4:5]
	s_cbranch_execnz .LBB92_142
; %bb.143:                              ;   in Loop: Header=BB92_141 Depth=1
	s_or_b64 exec, exec, s[4:5]
	v_add_u32_e32 v12, 0x100, v12
	v_cmp_le_i32_e32 vcc, s10, v12
	s_or_b64 s[2:3], vcc, s[2:3]
	s_andn2_b64 exec, exec, s[2:3]
	s_cbranch_execnz .LBB92_141
.LBB92_144:
	s_or_b64 exec, exec, s[0:1]
	s_mul_i32 s0, s8, s27
	s_sub_i32 s0, s31, s0
	s_add_i32 s1, s8, 1
	s_sub_i32 s2, s0, s27
	s_cmp_ge_u32 s0, s27
	s_cselect_b32 s1, s1, s8
	s_cselect_b32 s0, s2, s0
	s_add_i32 s2, s1, 1
	s_cmp_ge_u32 s0, s27
	s_cselect_b32 s0, s2, s1
	s_add_i32 s0, s0, -1
	s_ashr_i32 s1, s0, 1
	s_or_b32 s0, s1, s0
	s_ashr_i32 s1, s0, 2
	s_or_b32 s0, s1, s0
	;; [unrolled: 2-line block ×5, first 2 shown]
	s_add_i32 s11, s11, 1
	s_ashr_i32 s12, s11, 1
	v_add_u32_e32 v6, s24, v0
	s_cmp_gt_i32 s12, 1
	s_mov_b64 s[0:1], -1
	s_barrier
	s_cbranch_scc1 .LBB92_155
; %bb.145:
	v_cmp_gt_i32_e32 vcc, s25, v6
	s_and_saveexec_b64 s[0:1], vcc
	s_cbranch_execz .LBB92_154
; %bb.146:
	s_sub_i32 s2, s9, s25
	s_lshl_b32 s2, s2, 3
	s_add_i32 s13, s2, 0x2000
	s_lshl_b32 s2, s30, 3
	s_sub_i32 s18, 0, s2
	s_mov_b64 s[2:3], 0
	v_mov_b32_e32 v7, s17
	v_mov_b32_e32 v14, s15
	;; [unrolled: 1-line block ×3, first 2 shown]
.LBB92_147:                             ; =>This Loop Header: Depth=1
                                        ;     Child Loop BB92_149 Depth 2
                                        ;     Child Loop BB92_152 Depth 2
	v_ashrrev_i32_e32 v9, 31, v8
	v_lshlrev_b64 v[2:3], 2, v[8:9]
	v_add_co_u32_e32 v2, vcc, s16, v2
	v_addc_co_u32_e32 v3, vcc, v7, v3, vcc
	global_load_dwordx2 v[4:5], v[2:3], off
	v_pk_mov_b32 v[2:3], 0, 0
	s_waitcnt vmcnt(0)
	v_cmp_lt_i32_e32 vcc, v4, v5
	s_and_saveexec_b64 s[4:5], vcc
	s_cbranch_execz .LBB92_151
; %bb.148:                              ;   in Loop: Header=BB92_147 Depth=1
	v_subrev_u32_e32 v5, s30, v5
	v_subrev_u32_e32 v10, s30, v4
	v_lshl_add_u32 v4, v4, 3, s18
	s_mov_b64 s[8:9], 0
	v_pk_mov_b32 v[2:3], 0, 0
.LBB92_149:                             ;   Parent Loop BB92_147 Depth=1
                                        ; =>  This Inner Loop Header: Depth=2
	ds_read_b64 v[12:13], v4
	v_add_u32_e32 v10, 1, v10
	v_cmp_ge_i32_e32 vcc, v10, v5
	v_add_u32_e32 v4, 8, v4
	s_or_b64 s[8:9], vcc, s[8:9]
	s_waitcnt lgkmcnt(0)
	v_add_f64 v[2:3], v[2:3], v[12:13]
	s_andn2_b64 exec, exec, s[8:9]
	s_cbranch_execnz .LBB92_149
; %bb.150:                              ;   in Loop: Header=BB92_147 Depth=1
	s_or_b64 exec, exec, s[8:9]
.LBB92_151:                             ;   in Loop: Header=BB92_147 Depth=1
	s_or_b64 exec, exec, s[4:5]
	v_lshlrev_b64 v[4:5], 3, v[8:9]
	v_add_co_u32_e32 v10, vcc, s14, v4
	v_addc_co_u32_e32 v11, vcc, v14, v5, vcc
	global_load_dwordx2 v[4:5], v[10:11], off
	v_lshl_add_u32 v9, v8, 3, s13
	ds_read_b64 v[12:13], v9
	s_mov_b64 s[4:5], 0
	s_waitcnt lgkmcnt(0)
	v_add_f64 v[12:13], v[2:3], v[12:13]
.LBB92_152:                             ;   Parent Loop BB92_147 Depth=1
                                        ; =>  This Inner Loop Header: Depth=2
	s_waitcnt vmcnt(0)
	v_add_f64 v[2:3], v[4:5], v[12:13]
	global_atomic_cmpswap_x2 v[2:3], v[10:11], v[2:5], off glc
	s_waitcnt vmcnt(0)
	v_cmp_eq_u64_e32 vcc, v[2:3], v[4:5]
	s_or_b64 s[4:5], vcc, s[4:5]
	v_pk_mov_b32 v[4:5], v[2:3], v[2:3] op_sel:[0,1]
	s_andn2_b64 exec, exec, s[4:5]
	s_cbranch_execnz .LBB92_152
; %bb.153:                              ;   in Loop: Header=BB92_147 Depth=1
	s_or_b64 exec, exec, s[4:5]
	v_add_u32_e32 v8, s31, v8
	v_cmp_le_i32_e32 vcc, s25, v8
	s_or_b64 s[2:3], vcc, s[2:3]
	s_andn2_b64 exec, exec, s[2:3]
	s_cbranch_execnz .LBB92_147
.LBB92_154:
	s_or_b64 exec, exec, s[0:1]
	s_mov_b64 s[0:1], 0
.LBB92_155:
	s_andn2_b64 vcc, exec, s[0:1]
	s_cbranch_vccnz .LBB92_180
; %bb.156:
	v_cvt_f32_u32_e32 v2, s12
	s_sub_i32 s0, 0, s12
	v_pk_mov_b32 v[8:9], 0, 0
	v_rcp_iflag_f32_e32 v2, v2
	v_mul_f32_e32 v2, 0x4f7ffffe, v2
	v_cvt_u32_f32_e32 v2, v2
	v_mul_lo_u32 v3, s0, v2
	v_mul_hi_u32 v3, v2, v3
	v_add_u32_e32 v2, v2, v3
	v_mul_hi_u32 v2, v0, v2
	v_mul_lo_u32 v3, v2, s12
	v_sub_u32_e32 v3, v0, v3
	v_add_u32_e32 v4, 1, v2
	v_cmp_le_u32_e32 vcc, s12, v3
	v_cndmask_b32_e32 v2, v2, v4, vcc
	v_subrev_u32_e32 v4, s12, v3
	v_cndmask_b32_e32 v3, v3, v4, vcc
	v_add_u32_e32 v4, 1, v2
	v_cmp_le_u32_e32 vcc, s12, v3
	v_cndmask_b32_e32 v2, v2, v4, vcc
	v_lshlrev_b32_e32 v3, 2, v2
	global_load_dwordx2 v[4:5], v3, s[6:7]
	v_cmp_gt_i32_e32 vcc, s27, v2
	s_and_saveexec_b64 s[0:1], vcc
	s_cbranch_execz .LBB92_170
; %bb.157:
	s_abs_i32 s4, s12
	v_cvt_f32_u32_e32 v3, s4
	s_waitcnt vmcnt(0)
	v_subrev_u32_e32 v2, s30, v4
	v_subrev_u32_e32 v5, s30, v5
	v_sub_u32_e32 v7, v5, v2
	v_rcp_iflag_f32_e32 v3, v3
	s_sub_i32 s2, 0, s4
	v_sub_u32_e32 v8, 0, v7
	v_ashrrev_i32_e32 v10, 31, v7
	v_mul_f32_e32 v3, 0x4f7ffffe, v3
	v_cvt_u32_f32_e32 v3, v3
	v_max_i32_e32 v7, v7, v8
	s_ashr_i32 s5, s12, 31
	v_mul_lo_u32 v8, s2, v3
	v_mul_hi_u32 v8, v3, v8
	v_add_u32_e32 v3, v3, v8
	v_mad_u64_u32 v[8:9], s[2:3], v7, v3, 0
	v_mul_lo_u32 v8, v9, s4
	v_sub_u32_e32 v7, v7, v8
	v_add_u32_e32 v8, 1, v9
	v_cmp_le_u32_e32 vcc, s4, v7
	v_cndmask_b32_e32 v8, v9, v8, vcc
	v_subrev_u32_e32 v9, s4, v7
	v_cndmask_b32_e32 v7, v7, v9, vcc
	v_add_u32_e32 v9, 1, v8
	v_cmp_le_u32_e32 vcc, s4, v7
	v_xor_b32_e32 v3, s5, v10
	v_cndmask_b32_e32 v7, v8, v9, vcc
	v_xor_b32_e32 v7, v7, v3
	v_sub_u32_e32 v3, v7, v3
	s_add_i32 s2, s12, -1
	v_and_b32_e32 v7, s2, v0
	v_cmp_lt_i32_e32 vcc, 0, v3
	v_pk_mov_b32 v[8:9], 0, 0
	s_and_saveexec_b64 s[2:3], vcc
	s_cbranch_execz .LBB92_167
; %bb.158:
	v_cmp_lt_u32_e32 vcc, 7, v3
	v_mov_b32_e32 v10, 0
	v_pk_mov_b32 v[8:9], 0, 0
	s_and_saveexec_b64 s[4:5], vcc
	s_cbranch_execz .LBB92_162
; %bb.159:
	v_add_u32_e32 v8, v4, v7
	v_subrev_u32_e32 v8, s30, v8
	v_and_b32_e32 v10, 0x7ffffff8, v3
	v_lshlrev_b32_e32 v11, 3, v8
	s_lshl_b32 s8, s12, 6
	s_lshl_b32 s9, s12, 3
	s_mov_b32 s13, 0
	s_mov_b64 s[6:7], 0
	v_pk_mov_b32 v[8:9], 0, 0
.LBB92_160:                             ; =>This Inner Loop Header: Depth=1
	ds_read_b64 v[12:13], v11
	v_add_u32_e32 v14, s9, v11
	v_add_u32_e32 v16, s9, v14
	ds_read_b64 v[14:15], v14
	v_add_u32_e32 v18, s9, v16
	ds_read_b64 v[16:17], v16
	;; [unrolled: 2-line block ×3, first 2 shown]
	ds_read_b64 v[20:21], v22
	v_add_u32_e32 v22, s9, v22
	s_waitcnt lgkmcnt(4)
	v_add_f64 v[8:9], v[8:9], v[12:13]
	v_add_u32_e32 v23, s9, v22
	ds_read_b64 v[12:13], v22
	s_waitcnt lgkmcnt(4)
	v_add_f64 v[8:9], v[8:9], v[14:15]
	ds_read_b64 v[14:15], v23
	v_add_u32_e32 v22, s9, v23
	s_waitcnt lgkmcnt(4)
	v_add_f64 v[8:9], v[8:9], v[16:17]
	ds_read_b64 v[16:17], v22
	s_waitcnt lgkmcnt(4)
	v_add_f64 v[8:9], v[8:9], v[18:19]
	s_waitcnt lgkmcnt(3)
	v_add_f64 v[8:9], v[8:9], v[20:21]
	s_add_i32 s13, s13, 8
	s_waitcnt lgkmcnt(2)
	v_add_f64 v[8:9], v[8:9], v[12:13]
	v_cmp_eq_u32_e32 vcc, s13, v10
	s_waitcnt lgkmcnt(1)
	v_add_f64 v[8:9], v[8:9], v[14:15]
	v_add_u32_e32 v11, s8, v11
	s_or_b64 s[6:7], vcc, s[6:7]
	s_waitcnt lgkmcnt(0)
	v_add_f64 v[8:9], v[8:9], v[16:17]
	s_andn2_b64 exec, exec, s[6:7]
	s_cbranch_execnz .LBB92_160
; %bb.161:
	s_or_b64 exec, exec, s[6:7]
.LBB92_162:
	s_or_b64 exec, exec, s[4:5]
	v_and_b32_e32 v11, 7, v3
	v_cmp_ne_u32_e32 vcc, 0, v11
	s_and_saveexec_b64 s[4:5], vcc
	s_cbranch_execz .LBB92_166
; %bb.163:
	v_mul_lo_u32 v10, v10, s12
	v_add3_u32 v4, v4, v7, v10
	v_subrev_u32_e32 v4, s30, v4
	v_lshlrev_b32_e32 v4, 3, v4
	s_lshl_b32 s8, s12, 3
	s_mov_b64 s[6:7], 0
.LBB92_164:                             ; =>This Inner Loop Header: Depth=1
	ds_read_b64 v[12:13], v4
	v_add_u32_e32 v11, -1, v11
	v_cmp_eq_u32_e32 vcc, 0, v11
	v_add_u32_e32 v4, s8, v4
	s_or_b64 s[6:7], vcc, s[6:7]
	s_waitcnt lgkmcnt(0)
	v_add_f64 v[8:9], v[8:9], v[12:13]
	s_andn2_b64 exec, exec, s[6:7]
	s_cbranch_execnz .LBB92_164
; %bb.165:
	s_or_b64 exec, exec, s[6:7]
.LBB92_166:
	s_or_b64 exec, exec, s[4:5]
.LBB92_167:
	s_or_b64 exec, exec, s[2:3]
	v_mad_u64_u32 v[2:3], s[2:3], v3, s12, v[2:3]
	v_sub_u32_e32 v3, v5, v2
	v_cmp_lt_i32_e32 vcc, v7, v3
	s_and_saveexec_b64 s[2:3], vcc
	s_cbranch_execz .LBB92_169
; %bb.168:
	v_add_lshl_u32 v2, v2, v7, 3
	ds_read_b64 v[2:3], v2
	s_waitcnt lgkmcnt(0)
	v_add_f64 v[8:9], v[8:9], v[2:3]
.LBB92_169:
	s_or_b64 exec, exec, s[2:3]
.LBB92_170:
	s_or_b64 exec, exec, s[0:1]
	v_cmp_gt_i32_e32 vcc, s27, v0
	s_barrier
	ds_write_b64 v1, v[8:9]
	s_waitcnt lgkmcnt(0)
	s_barrier
	s_and_b64 exec, exec, vcc
	s_cbranch_execz .LBB92_180
; %bb.171:
	s_cmp_lt_u32 s12, 8
	v_mul_lo_u32 v1, s12, v0
	s_cbranch_scc1 .LBB92_174
; %bb.172:
	s_and_b32 s0, s12, 0x7ffffff8
	v_lshlrev_b32_e32 v2, 3, v1
	s_mov_b32 s1, 0
	s_waitcnt vmcnt(0)
	v_pk_mov_b32 v[4:5], 0, 0
.LBB92_173:                             ; =>This Inner Loop Header: Depth=1
	ds_read2_b64 v[8:11], v2 offset1:1
	ds_read2_b64 v[12:15], v2 offset0:2 offset1:3
	ds_read2_b64 v[16:19], v2 offset0:4 offset1:5
	;; [unrolled: 1-line block ×3, first 2 shown]
	s_add_i32 s1, s1, 8
	s_waitcnt lgkmcnt(3)
	v_add_f64 v[4:5], v[4:5], v[8:9]
	v_add_f64 v[4:5], v[4:5], v[10:11]
	s_waitcnt lgkmcnt(2)
	v_add_f64 v[4:5], v[4:5], v[12:13]
	v_add_f64 v[4:5], v[4:5], v[14:15]
	;; [unrolled: 3-line block ×3, first 2 shown]
	s_waitcnt lgkmcnt(0)
	v_add_f64 v[4:5], v[4:5], v[20:21]
	v_add_u32_e32 v2, 64, v2
	s_cmp_eq_u32 s0, s1
	v_add_f64 v[4:5], v[4:5], v[22:23]
	s_cbranch_scc0 .LBB92_173
	s_branch .LBB92_175
.LBB92_174:
	s_mov_b32 s0, 0
	s_waitcnt vmcnt(0)
	v_pk_mov_b32 v[4:5], 0, 0
.LBB92_175:
	s_bfe_u32 s1, s11, 0x30001
	s_cmp_eq_u32 s1, 0
	s_cbranch_scc1 .LBB92_178
; %bb.176:
	v_add_lshl_u32 v1, s0, v1, 3
.LBB92_177:                             ; =>This Inner Loop Header: Depth=1
	ds_read_b64 v[2:3], v1
	s_add_i32 s1, s1, -1
	v_add_u32_e32 v1, 8, v1
	s_cmp_lg_u32 s1, 0
	s_waitcnt lgkmcnt(0)
	v_add_f64 v[4:5], v[4:5], v[2:3]
	s_cbranch_scc1 .LBB92_177
.LBB92_178:
	v_ashrrev_i32_e32 v7, 31, v6
	v_lshlrev_b64 v[2:3], 3, v[6:7]
	v_mov_b32_e32 v1, s15
	v_add_co_u32_e32 v6, vcc, s14, v2
	v_addc_co_u32_e32 v7, vcc, v1, v3, vcc
	global_load_dwordx2 v[2:3], v[6:7], off
	s_lshl_b32 s0, s10, 3
	s_addk_i32 s0, 0x2000
	v_lshl_add_u32 v0, v0, 3, s0
	ds_read_b64 v[0:1], v0
	s_mov_b64 s[0:1], 0
	s_waitcnt lgkmcnt(0)
	v_add_f64 v[4:5], v[4:5], v[0:1]
.LBB92_179:                             ; =>This Inner Loop Header: Depth=1
	s_waitcnt vmcnt(0)
	v_add_f64 v[0:1], v[2:3], v[4:5]
	global_atomic_cmpswap_x2 v[0:1], v[6:7], v[0:3], off glc
	s_waitcnt vmcnt(0)
	v_cmp_eq_u64_e32 vcc, v[0:1], v[2:3]
	s_or_b64 s[0:1], vcc, s[0:1]
	v_pk_mov_b32 v[2:3], v[0:1], v[0:1] op_sel:[0,1]
	s_andn2_b64 exec, exec, s[0:1]
	s_cbranch_execnz .LBB92_179
.LBB92_180:
	s_endpgm
	.section	.rodata,"a",@progbits
	.p2align	6, 0x0
	.amdhsa_kernel _ZN9rocsparseL27csrmvn_symm_adaptive_kernelIiifdddEEvbT_S1_PKS1_NS_24const_host_device_scalarIT4_EES3_PKT0_PKT1_PKT2_S6_PT3_21rocsparse_index_base_b
		.amdhsa_group_segment_fixed_size 8192
		.amdhsa_private_segment_fixed_size 0
		.amdhsa_kernarg_size 344
		.amdhsa_user_sgpr_count 6
		.amdhsa_user_sgpr_private_segment_buffer 1
		.amdhsa_user_sgpr_dispatch_ptr 0
		.amdhsa_user_sgpr_queue_ptr 0
		.amdhsa_user_sgpr_kernarg_segment_ptr 1
		.amdhsa_user_sgpr_dispatch_id 0
		.amdhsa_user_sgpr_flat_scratch_init 0
		.amdhsa_user_sgpr_kernarg_preload_length 0
		.amdhsa_user_sgpr_kernarg_preload_offset 0
		.amdhsa_user_sgpr_private_segment_size 0
		.amdhsa_uses_dynamic_stack 0
		.amdhsa_system_sgpr_private_segment_wavefront_offset 0
		.amdhsa_system_sgpr_workgroup_id_x 1
		.amdhsa_system_sgpr_workgroup_id_y 0
		.amdhsa_system_sgpr_workgroup_id_z 0
		.amdhsa_system_sgpr_workgroup_info 0
		.amdhsa_system_vgpr_workitem_id 0
		.amdhsa_next_free_vgpr 24
		.amdhsa_next_free_sgpr 42
		.amdhsa_accum_offset 24
		.amdhsa_reserve_vcc 1
		.amdhsa_reserve_flat_scratch 0
		.amdhsa_float_round_mode_32 0
		.amdhsa_float_round_mode_16_64 0
		.amdhsa_float_denorm_mode_32 3
		.amdhsa_float_denorm_mode_16_64 3
		.amdhsa_dx10_clamp 1
		.amdhsa_ieee_mode 1
		.amdhsa_fp16_overflow 0
		.amdhsa_tg_split 0
		.amdhsa_exception_fp_ieee_invalid_op 0
		.amdhsa_exception_fp_denorm_src 0
		.amdhsa_exception_fp_ieee_div_zero 0
		.amdhsa_exception_fp_ieee_overflow 0
		.amdhsa_exception_fp_ieee_underflow 0
		.amdhsa_exception_fp_ieee_inexact 0
		.amdhsa_exception_int_div_zero 0
	.end_amdhsa_kernel
	.section	.text._ZN9rocsparseL27csrmvn_symm_adaptive_kernelIiifdddEEvbT_S1_PKS1_NS_24const_host_device_scalarIT4_EES3_PKT0_PKT1_PKT2_S6_PT3_21rocsparse_index_base_b,"axG",@progbits,_ZN9rocsparseL27csrmvn_symm_adaptive_kernelIiifdddEEvbT_S1_PKS1_NS_24const_host_device_scalarIT4_EES3_PKT0_PKT1_PKT2_S6_PT3_21rocsparse_index_base_b,comdat
.Lfunc_end92:
	.size	_ZN9rocsparseL27csrmvn_symm_adaptive_kernelIiifdddEEvbT_S1_PKS1_NS_24const_host_device_scalarIT4_EES3_PKT0_PKT1_PKT2_S6_PT3_21rocsparse_index_base_b, .Lfunc_end92-_ZN9rocsparseL27csrmvn_symm_adaptive_kernelIiifdddEEvbT_S1_PKS1_NS_24const_host_device_scalarIT4_EES3_PKT0_PKT1_PKT2_S6_PT3_21rocsparse_index_base_b
                                        ; -- End function
	.section	.AMDGPU.csdata,"",@progbits
; Kernel info:
; codeLenInByte = 7100
; NumSgprs: 46
; NumVgprs: 24
; NumAgprs: 0
; TotalNumVgprs: 24
; ScratchSize: 0
; MemoryBound: 0
; FloatMode: 240
; IeeeMode: 1
; LDSByteSize: 8192 bytes/workgroup (compile time only)
; SGPRBlocks: 5
; VGPRBlocks: 2
; NumSGPRsForWavesPerEU: 46
; NumVGPRsForWavesPerEU: 24
; AccumOffset: 24
; Occupancy: 8
; WaveLimiterHint : 1
; COMPUTE_PGM_RSRC2:SCRATCH_EN: 0
; COMPUTE_PGM_RSRC2:USER_SGPR: 6
; COMPUTE_PGM_RSRC2:TRAP_HANDLER: 0
; COMPUTE_PGM_RSRC2:TGID_X_EN: 1
; COMPUTE_PGM_RSRC2:TGID_Y_EN: 0
; COMPUTE_PGM_RSRC2:TGID_Z_EN: 0
; COMPUTE_PGM_RSRC2:TIDIG_COMP_CNT: 0
; COMPUTE_PGM_RSRC3_GFX90A:ACCUM_OFFSET: 5
; COMPUTE_PGM_RSRC3_GFX90A:TG_SPLIT: 0
	.section	.text._ZL33csrmvn_symm_large_adaptive_kernelIiifdddEvbT_PKS0_N9rocsparse24const_host_device_scalarIT4_EES2_PKT0_PKT1_PKT2_S6_PT3_21rocsparse_index_base_b,"axG",@progbits,_ZL33csrmvn_symm_large_adaptive_kernelIiifdddEvbT_PKS0_N9rocsparse24const_host_device_scalarIT4_EES2_PKT0_PKT1_PKT2_S6_PT3_21rocsparse_index_base_b,comdat
	.globl	_ZL33csrmvn_symm_large_adaptive_kernelIiifdddEvbT_PKS0_N9rocsparse24const_host_device_scalarIT4_EES2_PKT0_PKT1_PKT2_S6_PT3_21rocsparse_index_base_b ; -- Begin function _ZL33csrmvn_symm_large_adaptive_kernelIiifdddEvbT_PKS0_N9rocsparse24const_host_device_scalarIT4_EES2_PKT0_PKT1_PKT2_S6_PT3_21rocsparse_index_base_b
	.p2align	8
	.type	_ZL33csrmvn_symm_large_adaptive_kernelIiifdddEvbT_PKS0_N9rocsparse24const_host_device_scalarIT4_EES2_PKT0_PKT1_PKT2_S6_PT3_21rocsparse_index_base_b,@function
_ZL33csrmvn_symm_large_adaptive_kernelIiifdddEvbT_PKS0_N9rocsparse24const_host_device_scalarIT4_EES2_PKT0_PKT1_PKT2_S6_PT3_21rocsparse_index_base_b: ; @_ZL33csrmvn_symm_large_adaptive_kernelIiifdddEvbT_PKS0_N9rocsparse24const_host_device_scalarIT4_EES2_PKT0_PKT1_PKT2_S6_PT3_21rocsparse_index_base_b
; %bb.0:
	s_load_dwordx2 s[20:21], s[4:5], 0x48
	s_load_dwordx2 s[8:9], s[4:5], 0x10
	;; [unrolled: 1-line block ×3, first 2 shown]
	s_waitcnt lgkmcnt(0)
	s_bitcmp1_b32 s21, 0
	s_cselect_b64 s[10:11], -1, 0
	s_xor_b64 s[2:3], s[10:11], -1
	s_and_b64 vcc, exec, s[10:11]
	v_pk_mov_b32 v[4:5], s[8:9], s[8:9] op_sel:[0,1]
	s_cbranch_vccnz .LBB93_2
; %bb.1:
	v_pk_mov_b32 v[2:3], s[8:9], s[8:9] op_sel:[0,1]
	flat_load_dwordx2 v[4:5], v[2:3]
.LBB93_2:
	s_andn2_b64 vcc, exec, s[2:3]
	v_pk_mov_b32 v[2:3], s[0:1], s[0:1] op_sel:[0,1]
	s_cbranch_vccnz .LBB93_4
; %bb.3:
	v_pk_mov_b32 v[2:3], s[0:1], s[0:1] op_sel:[0,1]
	flat_load_dwordx2 v[2:3], v[2:3]
.LBB93_4:
	s_waitcnt vmcnt(0) lgkmcnt(0)
	v_cmp_neq_f64_e32 vcc, 0, v[4:5]
	v_cmp_neq_f64_e64 s[0:1], 1.0, v[2:3]
	s_or_b64 s[0:1], vcc, s[0:1]
	s_and_saveexec_b64 s[2:3], s[0:1]
	s_cbranch_execz .LBB93_41
; %bb.5:
	s_load_dwordx2 s[0:1], s[4:5], 0x8
	s_mov_b32 s2, 0
	s_mov_b32 s3, s2
	s_ashr_i32 s7, s6, 31
	v_pk_mov_b32 v[2:3], s[2:3], s[2:3] op_sel:[0,1]
	s_lshl_b64 s[2:3], s[6:7], 2
	s_waitcnt lgkmcnt(0)
	s_add_u32 s0, s0, s2
	v_lshlrev_b32_e32 v10, 3, v0
	s_addc_u32 s1, s1, s3
	ds_write2st64_b64 v10, v[2:3], v[2:3] offset1:4
	ds_write2st64_b64 v10, v[2:3], v[2:3] offset0:8 offset1:12
	s_waitcnt lgkmcnt(0)
	s_barrier
	s_load_dwordx2 s[22:23], s[0:1], 0x0
	s_load_dwordx8 s[12:19], s[4:5], 0x18
	s_load_dwordx2 s[24:25], s[4:5], 0x40
	s_waitcnt lgkmcnt(0)
	s_cmp_lt_i32 s22, s23
	s_cbranch_scc1 .LBB93_7
; %bb.6:
	s_ashr_i32 s1, s22, 31
	s_mov_b32 s0, s22
	s_lshl_b64 s[0:1], s[0:1], 2
	s_add_u32 s0, s12, s0
	s_addc_u32 s1, s13, s1
	s_load_dword s21, s[0:1], 0x0
	v_subrev_u32_e32 v11, s20, v0
	s_cbranch_execz .LBB93_8
	s_branch .LBB93_31
.LBB93_7:
                                        ; implicit-def: $sgpr21
	v_subrev_u32_e32 v11, s20, v0
.LBB93_8:
	s_ashr_i32 s11, s22, 31
	s_mov_b32 s10, s22
	s_lshl_b64 s[10:11], s[10:11], 2
	s_add_u32 s10, s12, s10
	s_addc_u32 s11, s13, s11
	s_waitcnt lgkmcnt(0)
	s_load_dword s21, s[10:11], 0x0
	s_movk_i32 s0, 0x100
	s_add_u32 s33, s12, 4
	v_cmp_gt_u32_e64 s[0:1], s0, v0
	v_cmp_gt_u32_e64 s[2:3], 64, v0
	;; [unrolled: 1-line block ×4, first 2 shown]
	v_cmp_eq_u32_e64 s[8:9], 0, v0
	s_addc_u32 s34, s13, 0
	v_mov_b32_e32 v12, s19
	v_mov_b32_e32 v13, 0
	s_waitcnt lgkmcnt(0)
	s_mov_b32 s35, s21
	s_mov_b32 s26, s22
	s_branch .LBB93_10
.LBB93_9:                               ;   in Loop: Header=BB93_10 Depth=1
	s_or_b64 exec, exec, s[10:11]
	s_add_i32 s26, s26, 1
	s_cmp_ge_i32 s26, s23
	s_cbranch_scc1 .LBB93_31
.LBB93_10:                              ; =>This Loop Header: Depth=1
                                        ;     Child Loop BB93_12 Depth 2
                                        ;     Child Loop BB93_26 Depth 2
	;; [unrolled: 1-line block ×3, first 2 shown]
	s_ashr_i32 s27, s26, 31
	s_lshl_b64 s[10:11], s[26:27], 2
	s_add_u32 s10, s33, s10
	s_addc_u32 s11, s34, s11
	s_mov_b32 s28, s35
	s_load_dword s35, s[10:11], 0x0
	v_add_u32_e32 v0, s28, v11
	v_pk_mov_b32 v[2:3], 0, 0
	s_waitcnt lgkmcnt(0)
	s_sub_i32 s36, s35, s20
	v_cmp_gt_i32_e32 vcc, s36, v0
	s_and_saveexec_b64 s[28:29], vcc
	s_cbranch_execz .LBB93_14
; %bb.11:                               ;   in Loop: Header=BB93_10 Depth=1
	v_ashrrev_i32_e32 v1, 31, v0
	v_lshlrev_b64 v[2:3], 2, v[0:1]
	v_mov_b32_e32 v1, s15
	v_add_co_u32_e32 v6, vcc, s14, v2
	v_addc_co_u32_e32 v7, vcc, v1, v3, vcc
	v_mov_b32_e32 v1, s17
	v_add_co_u32_e32 v8, vcc, s16, v2
	v_addc_co_u32_e32 v9, vcc, v1, v3, vcc
	s_mov_b64 s[30:31], 0
	v_pk_mov_b32 v[2:3], 0, 0
.LBB93_12:                              ;   Parent Loop BB93_10 Depth=1
                                        ; =>  This Inner Loop Header: Depth=2
	global_load_dword v1, v[6:7], off
	global_load_dword v16, v[8:9], off
	v_add_u32_e32 v0, 0x100, v0
	v_cmp_le_i32_e64 s[10:11], s36, v0
	s_or_b64 s[30:31], s[10:11], s[30:31]
	s_waitcnt vmcnt(1)
	v_subrev_u32_e32 v14, s20, v1
	v_ashrrev_i32_e32 v15, 31, v14
	v_lshlrev_b64 v[14:15], 3, v[14:15]
	v_add_co_u32_e32 v14, vcc, s18, v14
	v_addc_co_u32_e32 v15, vcc, v12, v15, vcc
	global_load_dwordx2 v[14:15], v[14:15], off
	v_add_co_u32_e32 v6, vcc, 0x400, v6
	v_addc_co_u32_e32 v7, vcc, 0, v7, vcc
	v_add_co_u32_e32 v8, vcc, 0x400, v8
	s_waitcnt vmcnt(1)
	v_cvt_f64_f32_e32 v[16:17], v16
	v_addc_co_u32_e32 v9, vcc, 0, v9, vcc
	s_waitcnt vmcnt(0)
	v_fmac_f64_e32 v[2:3], v[16:17], v[14:15]
	s_andn2_b64 exec, exec, s[30:31]
	s_cbranch_execnz .LBB93_12
; %bb.13:                               ;   in Loop: Header=BB93_10 Depth=1
	s_or_b64 exec, exec, s[30:31]
.LBB93_14:                              ;   in Loop: Header=BB93_10 Depth=1
	s_or_b64 exec, exec, s[28:29]
	ds_write_b64 v10, v[2:3]
	s_waitcnt lgkmcnt(0)
	s_barrier
	s_and_saveexec_b64 s[10:11], s[0:1]
	s_cbranch_execz .LBB93_16
; %bb.15:                               ;   in Loop: Header=BB93_10 Depth=1
	ds_read2st64_b64 v[0:3], v10 offset1:4
	ds_read2st64_b64 v[6:9], v10 offset0:8 offset1:12
	s_waitcnt lgkmcnt(0)
	v_add_f64 v[2:3], v[2:3], v[6:7]
	v_add_f64 v[2:3], v[2:3], v[8:9]
	;; [unrolled: 1-line block ×3, first 2 shown]
	ds_write_b64 v10, v[0:1]
.LBB93_16:                              ;   in Loop: Header=BB93_10 Depth=1
	s_or_b64 exec, exec, s[10:11]
	s_waitcnt lgkmcnt(0)
	s_barrier
	s_and_saveexec_b64 s[10:11], s[2:3]
	s_cbranch_execz .LBB93_18
; %bb.17:                               ;   in Loop: Header=BB93_10 Depth=1
	ds_read2st64_b64 v[0:3], v10 offset1:1
	ds_read2st64_b64 v[6:9], v10 offset0:2 offset1:3
	s_waitcnt lgkmcnt(0)
	v_add_f64 v[2:3], v[2:3], v[6:7]
	v_add_f64 v[2:3], v[2:3], v[8:9]
	;; [unrolled: 1-line block ×3, first 2 shown]
	ds_write_b64 v10, v[0:1]
.LBB93_18:                              ;   in Loop: Header=BB93_10 Depth=1
	s_or_b64 exec, exec, s[10:11]
	s_waitcnt lgkmcnt(0)
	s_barrier
	s_and_saveexec_b64 s[10:11], s[4:5]
	s_cbranch_execz .LBB93_20
; %bb.19:                               ;   in Loop: Header=BB93_10 Depth=1
	ds_read2_b64 v[0:3], v10 offset1:16
	ds_read2_b64 v[6:9], v10 offset0:32 offset1:48
	s_waitcnt lgkmcnt(0)
	v_add_f64 v[2:3], v[2:3], v[6:7]
	v_add_f64 v[2:3], v[2:3], v[8:9]
	;; [unrolled: 1-line block ×3, first 2 shown]
	ds_write_b64 v10, v[0:1]
.LBB93_20:                              ;   in Loop: Header=BB93_10 Depth=1
	s_or_b64 exec, exec, s[10:11]
	s_waitcnt lgkmcnt(0)
	s_barrier
	s_and_saveexec_b64 s[10:11], s[6:7]
	s_cbranch_execz .LBB93_22
; %bb.21:                               ;   in Loop: Header=BB93_10 Depth=1
	ds_read2_b64 v[0:3], v10 offset1:4
	ds_read2_b64 v[6:9], v10 offset0:8 offset1:12
	s_waitcnt lgkmcnt(0)
	v_add_f64 v[2:3], v[2:3], v[6:7]
	v_add_f64 v[2:3], v[2:3], v[8:9]
	;; [unrolled: 1-line block ×3, first 2 shown]
	ds_write_b64 v10, v[0:1]
.LBB93_22:                              ;   in Loop: Header=BB93_10 Depth=1
	s_or_b64 exec, exec, s[10:11]
	s_waitcnt lgkmcnt(0)
	s_barrier
	s_and_saveexec_b64 s[10:11], s[8:9]
	s_cbranch_execz .LBB93_24
; %bb.23:                               ;   in Loop: Header=BB93_10 Depth=1
	ds_read2_b64 v[0:3], v13 offset0:1 offset1:2
	ds_read_b64 v[6:7], v13 offset:24
	ds_read_b64 v[8:9], v10
	s_waitcnt lgkmcnt(2)
	v_add_f64 v[0:1], v[0:1], v[2:3]
	s_waitcnt lgkmcnt(1)
	v_add_f64 v[0:1], v[0:1], v[6:7]
	;; [unrolled: 2-line block ×3, first 2 shown]
	ds_write_b64 v10, v[0:1]
.LBB93_24:                              ;   in Loop: Header=BB93_10 Depth=1
	s_or_b64 exec, exec, s[10:11]
	s_waitcnt lgkmcnt(0)
	s_barrier
	s_and_saveexec_b64 s[10:11], s[8:9]
	s_cbranch_execz .LBB93_9
; %bb.25:                               ;   in Loop: Header=BB93_10 Depth=1
	ds_read_b64 v[0:1], v13
	v_mov_b32_e32 v6, 0
	s_mov_b64 s[28:29], exec
	v_bfrev_b32_e32 v7, 1
	s_waitcnt lgkmcnt(0)
	v_mul_f64 v[0:1], v[4:5], v[0:1]
.LBB93_26:                              ;   Parent Loop BB93_10 Depth=1
                                        ; =>  This Inner Loop Header: Depth=2
	s_ff1_i32_b64 s36, s[28:29]
	v_readlane_b32 s31, v1, s36
	v_readlane_b32 s30, v0, s36
	s_lshl_b64 s[36:37], 1, s36
	s_andn2_b64 s[28:29], s[28:29], s[36:37]
	s_cmp_lg_u64 s[28:29], 0
	v_add_f64 v[6:7], v[6:7], s[30:31]
	s_cbranch_scc1 .LBB93_26
; %bb.27:                               ;   in Loop: Header=BB93_10 Depth=1
	v_mbcnt_lo_u32_b32 v0, exec_lo, 0
	v_mbcnt_hi_u32_b32 v0, exec_hi, v0
	v_cmp_eq_u32_e32 vcc, 0, v0
	s_and_saveexec_b64 s[28:29], vcc
	s_xor_b64 s[28:29], exec, s[28:29]
	s_cbranch_execz .LBB93_9
; %bb.28:                               ;   in Loop: Header=BB93_10 Depth=1
	s_lshl_b64 s[28:29], s[26:27], 3
	s_add_u32 s28, s24, s28
	s_addc_u32 s29, s25, s29
	global_load_dwordx2 v[2:3], v13, s[28:29]
	s_mov_b64 s[30:31], 0
.LBB93_29:                              ;   Parent Loop BB93_10 Depth=1
                                        ; =>  This Inner Loop Header: Depth=2
	s_waitcnt vmcnt(0)
	v_add_f64 v[0:1], v[2:3], v[6:7]
	global_atomic_cmpswap_x2 v[0:1], v13, v[0:3], s[28:29] glc
	s_waitcnt vmcnt(0)
	v_cmp_eq_u64_e32 vcc, v[0:1], v[2:3]
	s_or_b64 s[30:31], vcc, s[30:31]
	v_pk_mov_b32 v[2:3], v[0:1], v[0:1] op_sel:[0,1]
	s_andn2_b64 exec, exec, s[30:31]
	s_cbranch_execnz .LBB93_29
; %bb.30:                               ;   in Loop: Header=BB93_10 Depth=1
	s_or_b64 exec, exec, s[30:31]
	s_branch .LBB93_9
.LBB93_31:
	s_ashr_i32 s1, s23, 31
	s_mov_b32 s0, s23
	s_lshl_b64 s[0:1], s[0:1], 2
	s_add_u32 s0, s12, s0
	s_addc_u32 s1, s13, s1
	s_load_dword s0, s[0:1], 0x0
	s_waitcnt lgkmcnt(0)
	v_add_u32_e32 v6, s21, v11
	s_sub_i32 s8, s0, s20
	v_cmp_gt_i32_e32 vcc, s8, v6
	s_and_b64 exec, exec, vcc
	s_cbranch_execz .LBB93_41
; %bb.32:
	s_add_i32 s9, s23, -1
	s_cmp_gt_i32 s9, s22
	s_cselect_b64 s[0:1], -1, 0
	s_add_i32 s2, s23, -2
	s_cmp_lg_u32 s2, s22
	s_cselect_b64 s[2:3], -1, 0
	s_and_b64 s[0:1], s[0:1], s[2:3]
	v_cndmask_b32_e64 v0, 0, 1, s[0:1]
	s_mov_b64 s[4:5], 0
	v_cmp_ne_u32_e64 s[0:1], 1, v0
	v_mov_b32_e32 v12, s13
	v_mov_b32_e32 v13, s15
	s_branch .LBB93_34
.LBB93_33:                              ;   in Loop: Header=BB93_34 Depth=1
	s_or_b64 exec, exec, s[2:3]
	v_add_u32_e32 v6, 0x100, v6
	v_cmp_le_i32_e32 vcc, s8, v6
	s_or_b64 s[4:5], vcc, s[4:5]
	s_andn2_b64 exec, exec, s[4:5]
	s_cbranch_execz .LBB93_41
.LBB93_34:                              ; =>This Loop Header: Depth=1
                                        ;     Child Loop BB93_36 Depth 2
                                        ;     Child Loop BB93_40 Depth 2
	s_and_b64 vcc, exec, s[0:1]
	v_mov_b32_e32 v8, s22
	v_mov_b32_e32 v0, s9
	s_cbranch_vccnz .LBB93_38
; %bb.35:                               ;   in Loop: Header=BB93_34 Depth=1
	s_mov_b64 s[6:7], 0
	v_mov_b32_e32 v8, s22
	v_mov_b32_e32 v0, s9
.LBB93_36:                              ;   Parent Loop BB93_34 Depth=1
                                        ; =>  This Inner Loop Header: Depth=2
	v_add_u32_e32 v1, v0, v8
	v_lshrrev_b32_e32 v2, 31, v1
	v_add_u32_e32 v1, v1, v2
	v_ashrrev_i32_e32 v2, 1, v1
	v_ashrrev_i32_e32 v3, 31, v2
	v_lshlrev_b64 v[10:11], 2, v[2:3]
	v_mov_b32_e32 v7, s13
	v_add_co_u32_e32 v10, vcc, s12, v10
	v_addc_co_u32_e32 v11, vcc, v7, v11, vcc
	global_load_dword v1, v[10:11], off
	s_waitcnt vmcnt(0)
	v_subrev_u32_e32 v1, s20, v1
	v_cmp_gt_i32_e32 vcc, v1, v6
	v_cndmask_b32_e32 v0, v0, v2, vcc
	v_cndmask_b32_e32 v8, v2, v8, vcc
	v_add_u32_e32 v1, -1, v0
	v_cmp_ge_i32_e32 vcc, v8, v0
	v_cmp_eq_u32_e64 s[2:3], v8, v1
	s_or_b64 s[2:3], vcc, s[2:3]
	s_and_b64 s[2:3], exec, s[2:3]
	s_or_b64 s[6:7], s[2:3], s[6:7]
	s_andn2_b64 exec, exec, s[6:7]
	s_cbranch_execnz .LBB93_36
; %bb.37:                               ;   in Loop: Header=BB93_34 Depth=1
	s_or_b64 exec, exec, s[6:7]
.LBB93_38:                              ;   in Loop: Header=BB93_34 Depth=1
	v_ashrrev_i32_e32 v1, 31, v0
	v_lshlrev_b64 v[2:3], 2, v[0:1]
	v_add_co_u32_e32 v2, vcc, s12, v2
	v_addc_co_u32_e32 v3, vcc, v12, v3, vcc
	v_ashrrev_i32_e32 v7, 31, v6
	global_load_dword v1, v[2:3], off
	v_lshlrev_b64 v[2:3], 2, v[6:7]
	v_add_co_u32_e32 v10, vcc, s14, v2
	v_addc_co_u32_e32 v11, vcc, v13, v3, vcc
	global_load_dword v7, v[10:11], off
	s_waitcnt vmcnt(1)
	v_subrev_u32_e32 v1, s20, v1
	v_cmp_gt_i32_e32 vcc, v1, v6
	v_cndmask_b32_e32 v0, v0, v8, vcc
	s_waitcnt vmcnt(0)
	v_subrev_u32_e32 v8, s20, v7
	v_cmp_ne_u32_e32 vcc, v8, v0
	s_and_saveexec_b64 s[2:3], vcc
	s_cbranch_execz .LBB93_33
; %bb.39:                               ;   in Loop: Header=BB93_34 Depth=1
	v_mov_b32_e32 v1, s17
	v_add_co_u32_e32 v2, vcc, s16, v2
	v_addc_co_u32_e32 v3, vcc, v1, v3, vcc
	v_ashrrev_i32_e32 v1, 31, v0
	v_lshlrev_b64 v[0:1], 3, v[0:1]
	v_ashrrev_i32_e32 v9, 31, v8
	global_load_dword v10, v[2:3], off
	v_mov_b32_e32 v2, s19
	v_add_co_u32_e32 v0, vcc, s18, v0
	v_lshlrev_b64 v[8:9], 3, v[8:9]
	v_addc_co_u32_e32 v1, vcc, v2, v1, vcc
	v_mov_b32_e32 v7, s25
	v_add_co_u32_e32 v8, vcc, s24, v8
	global_load_dwordx2 v[0:1], v[0:1], off
	v_addc_co_u32_e32 v9, vcc, v7, v9, vcc
	global_load_dwordx2 v[2:3], v[8:9], off
	s_mov_b64 s[6:7], 0
	s_waitcnt vmcnt(2)
	v_cvt_f64_f32_e32 v[10:11], v10
	v_mul_f64 v[10:11], v[4:5], v[10:11]
	s_waitcnt vmcnt(1)
	v_mul_f64 v[10:11], v[0:1], v[10:11]
.LBB93_40:                              ;   Parent Loop BB93_34 Depth=1
                                        ; =>  This Inner Loop Header: Depth=2
	s_waitcnt vmcnt(0)
	v_add_f64 v[0:1], v[2:3], v[10:11]
	global_atomic_cmpswap_x2 v[0:1], v[8:9], v[0:3], off glc
	s_waitcnt vmcnt(0)
	v_cmp_eq_u64_e32 vcc, v[0:1], v[2:3]
	s_or_b64 s[6:7], vcc, s[6:7]
	v_pk_mov_b32 v[2:3], v[0:1], v[0:1] op_sel:[0,1]
	s_andn2_b64 exec, exec, s[6:7]
	s_cbranch_execnz .LBB93_40
	s_branch .LBB93_33
.LBB93_41:
	s_endpgm
	.section	.rodata,"a",@progbits
	.p2align	6, 0x0
	.amdhsa_kernel _ZL33csrmvn_symm_large_adaptive_kernelIiifdddEvbT_PKS0_N9rocsparse24const_host_device_scalarIT4_EES2_PKT0_PKT1_PKT2_S6_PT3_21rocsparse_index_base_b
		.amdhsa_group_segment_fixed_size 8192
		.amdhsa_private_segment_fixed_size 0
		.amdhsa_kernarg_size 80
		.amdhsa_user_sgpr_count 6
		.amdhsa_user_sgpr_private_segment_buffer 1
		.amdhsa_user_sgpr_dispatch_ptr 0
		.amdhsa_user_sgpr_queue_ptr 0
		.amdhsa_user_sgpr_kernarg_segment_ptr 1
		.amdhsa_user_sgpr_dispatch_id 0
		.amdhsa_user_sgpr_flat_scratch_init 0
		.amdhsa_user_sgpr_kernarg_preload_length 0
		.amdhsa_user_sgpr_kernarg_preload_offset 0
		.amdhsa_user_sgpr_private_segment_size 0
		.amdhsa_uses_dynamic_stack 0
		.amdhsa_system_sgpr_private_segment_wavefront_offset 0
		.amdhsa_system_sgpr_workgroup_id_x 1
		.amdhsa_system_sgpr_workgroup_id_y 0
		.amdhsa_system_sgpr_workgroup_id_z 0
		.amdhsa_system_sgpr_workgroup_info 0
		.amdhsa_system_vgpr_workitem_id 0
		.amdhsa_next_free_vgpr 18
		.amdhsa_next_free_sgpr 38
		.amdhsa_accum_offset 20
		.amdhsa_reserve_vcc 1
		.amdhsa_reserve_flat_scratch 0
		.amdhsa_float_round_mode_32 0
		.amdhsa_float_round_mode_16_64 0
		.amdhsa_float_denorm_mode_32 3
		.amdhsa_float_denorm_mode_16_64 3
		.amdhsa_dx10_clamp 1
		.amdhsa_ieee_mode 1
		.amdhsa_fp16_overflow 0
		.amdhsa_tg_split 0
		.amdhsa_exception_fp_ieee_invalid_op 0
		.amdhsa_exception_fp_denorm_src 0
		.amdhsa_exception_fp_ieee_div_zero 0
		.amdhsa_exception_fp_ieee_overflow 0
		.amdhsa_exception_fp_ieee_underflow 0
		.amdhsa_exception_fp_ieee_inexact 0
		.amdhsa_exception_int_div_zero 0
	.end_amdhsa_kernel
	.section	.text._ZL33csrmvn_symm_large_adaptive_kernelIiifdddEvbT_PKS0_N9rocsparse24const_host_device_scalarIT4_EES2_PKT0_PKT1_PKT2_S6_PT3_21rocsparse_index_base_b,"axG",@progbits,_ZL33csrmvn_symm_large_adaptive_kernelIiifdddEvbT_PKS0_N9rocsparse24const_host_device_scalarIT4_EES2_PKT0_PKT1_PKT2_S6_PT3_21rocsparse_index_base_b,comdat
.Lfunc_end93:
	.size	_ZL33csrmvn_symm_large_adaptive_kernelIiifdddEvbT_PKS0_N9rocsparse24const_host_device_scalarIT4_EES2_PKT0_PKT1_PKT2_S6_PT3_21rocsparse_index_base_b, .Lfunc_end93-_ZL33csrmvn_symm_large_adaptive_kernelIiifdddEvbT_PKS0_N9rocsparse24const_host_device_scalarIT4_EES2_PKT0_PKT1_PKT2_S6_PT3_21rocsparse_index_base_b
                                        ; -- End function
	.section	.AMDGPU.csdata,"",@progbits
; Kernel info:
; codeLenInByte = 1772
; NumSgprs: 42
; NumVgprs: 18
; NumAgprs: 0
; TotalNumVgprs: 18
; ScratchSize: 0
; MemoryBound: 0
; FloatMode: 240
; IeeeMode: 1
; LDSByteSize: 8192 bytes/workgroup (compile time only)
; SGPRBlocks: 5
; VGPRBlocks: 2
; NumSGPRsForWavesPerEU: 42
; NumVGPRsForWavesPerEU: 18
; AccumOffset: 20
; Occupancy: 8
; WaveLimiterHint : 1
; COMPUTE_PGM_RSRC2:SCRATCH_EN: 0
; COMPUTE_PGM_RSRC2:USER_SGPR: 6
; COMPUTE_PGM_RSRC2:TRAP_HANDLER: 0
; COMPUTE_PGM_RSRC2:TGID_X_EN: 1
; COMPUTE_PGM_RSRC2:TGID_Y_EN: 0
; COMPUTE_PGM_RSRC2:TGID_Z_EN: 0
; COMPUTE_PGM_RSRC2:TIDIG_COMP_CNT: 0
; COMPUTE_PGM_RSRC3_GFX90A:ACCUM_OFFSET: 4
; COMPUTE_PGM_RSRC3_GFX90A:TG_SPLIT: 0
	.section	.text._ZN9rocsparseL22csrmvn_adaptive_kernelIlifdddEEvbT_PKS1_PjPKT0_NS_24const_host_device_scalarIT4_EES3_S7_PKT1_PKT2_SA_PT3_21rocsparse_index_base_b,"axG",@progbits,_ZN9rocsparseL22csrmvn_adaptive_kernelIlifdddEEvbT_PKS1_PjPKT0_NS_24const_host_device_scalarIT4_EES3_S7_PKT1_PKT2_SA_PT3_21rocsparse_index_base_b,comdat
	.globl	_ZN9rocsparseL22csrmvn_adaptive_kernelIlifdddEEvbT_PKS1_PjPKT0_NS_24const_host_device_scalarIT4_EES3_S7_PKT1_PKT2_SA_PT3_21rocsparse_index_base_b ; -- Begin function _ZN9rocsparseL22csrmvn_adaptive_kernelIlifdddEEvbT_PKS1_PjPKT0_NS_24const_host_device_scalarIT4_EES3_S7_PKT1_PKT2_SA_PT3_21rocsparse_index_base_b
	.p2align	8
	.type	_ZN9rocsparseL22csrmvn_adaptive_kernelIlifdddEEvbT_PKS1_PjPKT0_NS_24const_host_device_scalarIT4_EES3_S7_PKT1_PKT2_SA_PT3_21rocsparse_index_base_b,@function
_ZN9rocsparseL22csrmvn_adaptive_kernelIlifdddEEvbT_PKS1_PjPKT0_NS_24const_host_device_scalarIT4_EES3_S7_PKT1_PKT2_SA_PT3_21rocsparse_index_base_b: ; @_ZN9rocsparseL22csrmvn_adaptive_kernelIlifdddEEvbT_PKS1_PjPKT0_NS_24const_host_device_scalarIT4_EES3_S7_PKT1_PKT2_SA_PT3_21rocsparse_index_base_b
; %bb.0:
	s_load_dwordx2 s[44:45], s[4:5], 0x60
	s_load_dwordx2 s[8:9], s[4:5], 0x28
	;; [unrolled: 1-line block ×3, first 2 shown]
	s_waitcnt lgkmcnt(0)
	s_bitcmp1_b32 s45, 0
	s_cselect_b64 s[10:11], -1, 0
	s_xor_b64 s[2:3], s[10:11], -1
	s_and_b64 vcc, exec, s[10:11]
	v_pk_mov_b32 v[8:9], s[8:9], s[8:9] op_sel:[0,1]
	s_cbranch_vccnz .LBB94_2
; %bb.1:
	v_pk_mov_b32 v[2:3], s[8:9], s[8:9] op_sel:[0,1]
	flat_load_dwordx2 v[8:9], v[2:3]
.LBB94_2:
	s_andn2_b64 vcc, exec, s[2:3]
	v_pk_mov_b32 v[6:7], s[0:1], s[0:1] op_sel:[0,1]
	s_cbranch_vccnz .LBB94_4
; %bb.3:
	v_pk_mov_b32 v[2:3], s[0:1], s[0:1] op_sel:[0,1]
	flat_load_dwordx2 v[6:7], v[2:3]
.LBB94_4:
	s_waitcnt vmcnt(0) lgkmcnt(0)
	v_cmp_neq_f64_e32 vcc, 0, v[8:9]
	v_cmp_neq_f64_e64 s[0:1], 1.0, v[6:7]
	s_or_b64 s[0:1], vcc, s[0:1]
	s_and_saveexec_b64 s[2:3], s[0:1]
	s_cbranch_execz .LBB94_116
; %bb.5:
	s_load_dwordx2 s[0:1], s[4:5], 0x10
	s_load_dwordx2 s[8:9], s[4:5], 0x20
	s_ashr_i32 s7, s6, 31
	s_lshl_b64 s[2:3], s[6:7], 3
	s_waitcnt lgkmcnt(0)
	s_add_u32 s0, s0, s2
	s_addc_u32 s1, s1, s3
	s_load_dwordx4 s[36:39], s[0:1], 0x0
	s_load_dwordx2 s[34:35], s[4:5], 0x58
	s_load_dwordx8 s[24:31], s[4:5], 0x30
	s_lshl_b64 s[48:49], s[6:7], 2
	s_waitcnt lgkmcnt(0)
	s_sub_i32 s2, s38, s36
	s_add_u32 s0, s8, s48
	s_addc_u32 s1, s9, s49
	s_lshl_b64 s[46:47], s[36:37], 3
	s_add_u32 s40, s24, s46
	s_addc_u32 s41, s25, s47
	s_load_dword s33, s[0:1], 0x0
	s_load_dwordx2 s[42:43], s[40:41], 0x0
	s_cmp_lt_i32 s2, 2
	s_mov_b64 s[0:1], -1
	s_cbranch_scc0 .LBB94_72
; %bb.6:
	s_cmp_lg_u32 s2, 1
	s_cselect_b64 s[0:1], -1, 0
	s_waitcnt lgkmcnt(0)
	s_cmp_lg_u32 s33, 0
	s_cselect_b64 s[2:3], -1, 0
	s_or_b64 s[2:3], s[0:1], s[2:3]
	s_mov_b64 s[0:1], -1
	s_and_b64 vcc, exec, s[2:3]
	s_cbranch_vccnz .LBB94_35
; %bb.7:
	v_pk_mov_b32 v[2:3], s[36:37], s[36:37] op_sel:[0,1]
	v_cmp_le_i64_e32 vcc, s[38:39], v[2:3]
	s_cbranch_vccnz .LBB94_34
; %bb.8:
	v_subrev_co_u32_e32 v1, vcc, s44, v0
	v_subb_co_u32_e64 v16, s[0:1], 0, 0, vcc
	s_movk_i32 s0, 0x80
	s_add_u32 s7, s24, 8
	v_lshlrev_b32_e32 v17, 3, v0
	v_cmp_gt_u32_e64 s[0:1], s0, v0
	v_cmp_gt_u32_e64 s[2:3], 64, v0
	;; [unrolled: 1-line block ×7, first 2 shown]
	v_cmp_eq_u32_e64 s[18:19], 0, v0
	v_cmp_neq_f64_e64 s[20:21], 0, v[6:7]
	s_addc_u32 s45, s25, 0
	v_mov_b32_e32 v18, s31
	s_movk_i32 s62, 0x100
	v_mov_b32_e32 v19, 0
	v_pk_mov_b32 v[2:3], s[38:39], s[38:39] op_sel:[0,1]
	s_mov_b64 s[52:53], s[42:43]
	s_mov_b64 s[50:51], s[36:37]
	s_branch .LBB94_11
.LBB94_9:                               ;   in Loop: Header=BB94_11 Depth=1
	s_or_b64 exec, exec, s[56:57]
	s_add_u32 s54, s34, s54
	s_addc_u32 s55, s35, s55
	s_waitcnt lgkmcnt(0)
	global_store_dwordx2 v19, v[4:5], s[54:55]
.LBB94_10:                              ;   in Loop: Header=BB94_11 Depth=1
	s_or_b64 exec, exec, s[22:23]
	s_add_u32 s50, s50, 1
	s_addc_u32 s51, s51, 0
	v_cmp_ge_i64_e32 vcc, s[50:51], v[2:3]
	s_cbranch_vccnz .LBB94_34
.LBB94_11:                              ; =>This Loop Header: Depth=1
                                        ;     Child Loop BB94_13 Depth 2
	s_lshl_b64 s[54:55], s[50:51], 3
	s_mov_b64 s[22:23], s[52:53]
	s_add_u32 s52, s7, s54
	s_addc_u32 s53, s45, s55
	s_load_dwordx2 s[52:53], s[52:53], 0x0
	v_mov_b32_e32 v5, s23
	v_add_co_u32_e32 v4, vcc, s22, v1
	v_addc_co_u32_e32 v5, vcc, v5, v16, vcc
	s_waitcnt lgkmcnt(0)
	s_sub_u32 s56, s52, s44
	s_subb_u32 s57, s53, 0
	v_cmp_gt_i64_e32 vcc, s[56:57], v[4:5]
	v_pk_mov_b32 v[10:11], 0, 0
	s_and_saveexec_b64 s[58:59], vcc
	s_cbranch_execz .LBB94_15
; %bb.12:                               ;   in Loop: Header=BB94_11 Depth=1
	v_lshlrev_b64 v[10:11], 2, v[4:5]
	v_mov_b32_e32 v13, s29
	v_add_co_u32_e32 v12, vcc, s28, v10
	v_addc_co_u32_e32 v13, vcc, v13, v11, vcc
	v_mov_b32_e32 v15, s27
	v_add_co_u32_e32 v14, vcc, s26, v10
	v_addc_co_u32_e32 v15, vcc, v15, v11, vcc
	s_mov_b64 s[60:61], 0
	v_pk_mov_b32 v[10:11], 0, 0
.LBB94_13:                              ;   Parent Loop BB94_11 Depth=1
                                        ; =>  This Inner Loop Header: Depth=2
	global_load_dword v20, v[14:15], off
	global_load_dword v22, v[12:13], off
	s_waitcnt vmcnt(1)
	v_subrev_u32_e32 v20, s44, v20
	v_ashrrev_i32_e32 v21, 31, v20
	v_lshlrev_b64 v[20:21], 3, v[20:21]
	v_add_co_u32_e32 v20, vcc, s30, v20
	v_addc_co_u32_e32 v21, vcc, v18, v21, vcc
	global_load_dwordx2 v[20:21], v[20:21], off
	v_add_co_u32_e32 v4, vcc, s62, v4
	v_addc_co_u32_e32 v5, vcc, 0, v5, vcc
	v_add_co_u32_e32 v12, vcc, 0x400, v12
	v_addc_co_u32_e32 v13, vcc, 0, v13, vcc
	s_waitcnt vmcnt(1)
	v_cvt_f64_f32_e32 v[22:23], v22
	v_add_co_u32_e32 v14, vcc, 0x400, v14
	v_cmp_le_i64_e64 s[22:23], s[56:57], v[4:5]
	v_mul_f64 v[22:23], v[8:9], v[22:23]
	v_addc_co_u32_e32 v15, vcc, 0, v15, vcc
	s_or_b64 s[60:61], s[22:23], s[60:61]
	s_waitcnt vmcnt(0)
	v_fmac_f64_e32 v[10:11], v[22:23], v[20:21]
	s_andn2_b64 exec, exec, s[60:61]
	s_cbranch_execnz .LBB94_13
; %bb.14:                               ;   in Loop: Header=BB94_11 Depth=1
	s_or_b64 exec, exec, s[60:61]
.LBB94_15:                              ;   in Loop: Header=BB94_11 Depth=1
	s_or_b64 exec, exec, s[58:59]
	ds_write_b64 v17, v[10:11]
	s_waitcnt lgkmcnt(0)
	s_barrier
	s_and_saveexec_b64 s[22:23], s[0:1]
	s_cbranch_execz .LBB94_17
; %bb.16:                               ;   in Loop: Header=BB94_11 Depth=1
	ds_read2st64_b64 v[10:13], v17 offset1:2
	s_waitcnt lgkmcnt(0)
	v_add_f64 v[4:5], v[10:11], v[12:13]
	ds_write_b64 v17, v[4:5]
.LBB94_17:                              ;   in Loop: Header=BB94_11 Depth=1
	s_or_b64 exec, exec, s[22:23]
	s_waitcnt lgkmcnt(0)
	s_barrier
	s_and_saveexec_b64 s[22:23], s[2:3]
	s_cbranch_execz .LBB94_19
; %bb.18:                               ;   in Loop: Header=BB94_11 Depth=1
	ds_read2st64_b64 v[10:13], v17 offset1:1
	s_waitcnt lgkmcnt(0)
	v_add_f64 v[4:5], v[10:11], v[12:13]
	ds_write_b64 v17, v[4:5]
.LBB94_19:                              ;   in Loop: Header=BB94_11 Depth=1
	s_or_b64 exec, exec, s[22:23]
	s_waitcnt lgkmcnt(0)
	s_barrier
	s_and_saveexec_b64 s[22:23], s[8:9]
	s_cbranch_execz .LBB94_21
; %bb.20:                               ;   in Loop: Header=BB94_11 Depth=1
	ds_read2_b64 v[10:13], v17 offset1:32
	s_waitcnt lgkmcnt(0)
	v_add_f64 v[4:5], v[10:11], v[12:13]
	ds_write_b64 v17, v[4:5]
.LBB94_21:                              ;   in Loop: Header=BB94_11 Depth=1
	s_or_b64 exec, exec, s[22:23]
	s_waitcnt lgkmcnt(0)
	s_barrier
	s_and_saveexec_b64 s[22:23], s[10:11]
	s_cbranch_execz .LBB94_23
; %bb.22:                               ;   in Loop: Header=BB94_11 Depth=1
	ds_read2_b64 v[10:13], v17 offset1:16
	s_waitcnt lgkmcnt(0)
	v_add_f64 v[4:5], v[10:11], v[12:13]
	ds_write_b64 v17, v[4:5]
.LBB94_23:                              ;   in Loop: Header=BB94_11 Depth=1
	;; [unrolled: 11-line block ×5, first 2 shown]
	s_or_b64 exec, exec, s[22:23]
	s_waitcnt lgkmcnt(0)
	s_barrier
	s_and_saveexec_b64 s[22:23], s[18:19]
	s_cbranch_execz .LBB94_31
; %bb.30:                               ;   in Loop: Header=BB94_11 Depth=1
	ds_read_b128 v[10:13], v19
	s_waitcnt lgkmcnt(0)
	v_add_f64 v[4:5], v[10:11], v[12:13]
	ds_write_b64 v19, v[4:5]
.LBB94_31:                              ;   in Loop: Header=BB94_11 Depth=1
	s_or_b64 exec, exec, s[22:23]
	s_waitcnt lgkmcnt(0)
	s_barrier
	s_and_saveexec_b64 s[22:23], s[18:19]
	s_cbranch_execz .LBB94_10
; %bb.32:                               ;   in Loop: Header=BB94_11 Depth=1
	ds_read_b64 v[4:5], v19
	s_and_saveexec_b64 s[56:57], s[20:21]
	s_cbranch_execz .LBB94_9
; %bb.33:                               ;   in Loop: Header=BB94_11 Depth=1
	s_add_u32 s58, s34, s54
	s_addc_u32 s59, s35, s55
	global_load_dwordx2 v[10:11], v19, s[58:59]
	s_waitcnt vmcnt(0) lgkmcnt(0)
	v_fmac_f64_e32 v[4:5], v[6:7], v[10:11]
	s_branch .LBB94_9
.LBB94_34:
	s_mov_b64 s[0:1], 0
.LBB94_35:
	s_andn2_b64 vcc, exec, s[0:1]
	s_cbranch_vccnz .LBB94_71
; %bb.36:
	s_load_dwordx2 s[8:9], s[4:5], 0x18
	s_sub_i32 s6, s6, s33
	v_or_b32_e32 v1, s33, v0
	v_cmp_eq_u32_e32 vcc, 0, v1
	v_pk_mov_b32 v[2:3], 0, 0
	s_waitcnt lgkmcnt(0)
	s_add_u32 s2, s8, s48
	s_addc_u32 s3, s9, s49
	s_load_dword s16, s[2:3], 0x0
	s_and_saveexec_b64 s[0:1], vcc
	s_cbranch_execz .LBB94_40
; %bb.37:
	s_add_u32 s10, s34, s46
	s_addc_u32 s11, s35, s47
	s_load_dwordx2 s[10:11], s[10:11], 0x0
	s_mov_b64 s[12:13], exec
	v_mbcnt_lo_u32_b32 v1, s12, 0
	v_mbcnt_hi_u32_b32 v1, s13, v1
	v_add_f64 v[2:3], v[6:7], -1.0
	v_cmp_eq_u32_e32 vcc, 0, v1
	s_waitcnt vmcnt(0) expcnt(0) lgkmcnt(0)
	s_and_saveexec_b64 s[14:15], vcc
	s_cbranch_execz .LBB94_39
; %bb.38:
	s_ashr_i32 s7, s6, 31
	s_lshl_b64 s[18:19], s[6:7], 2
	s_add_u32 s18, s8, s18
	s_addc_u32 s19, s9, s19
	s_bcnt1_i32_b64 s7, s[12:13]
	s_and_b32 s7, s7, 1
	v_mov_b32_e32 v1, 0
	v_mov_b32_e32 v4, s7
	global_atomic_xor v1, v4, s[18:19]
.LBB94_39:
	s_or_b64 exec, exec, s[14:15]
	v_mul_f64 v[2:3], v[2:3], s[10:11]
.LBB94_40:
	s_or_b64 exec, exec, s[0:1]
	s_load_dwordx2 s[0:1], s[40:41], 0x8
	s_sub_u32 s11, s42, s44
	s_mul_i32 s7, s33, 0xc00
	s_subb_u32 s12, s43, 0
	s_mul_hi_i32 s10, s33, 0xc00
	s_add_u32 s7, s11, s7
	s_addc_u32 s12, s12, s10
	s_waitcnt lgkmcnt(0)
	s_sub_u32 s0, s0, s44
	v_mov_b32_e32 v1, s12
	v_add_co_u32_e32 v4, vcc, s7, v0
	s_subb_u32 s1, s1, 0
	v_addc_co_u32_e32 v5, vcc, 0, v1, vcc
	v_cmp_gt_i64_e32 vcc, s[0:1], v[4:5]
	s_and_saveexec_b64 s[10:11], vcc
	s_cbranch_execz .LBB94_44
; %bb.41:
	s_add_u32 s14, s7, 0xc00
	s_addc_u32 s15, s12, 0
	v_pk_mov_b32 v[10:11], s[0:1], s[0:1] op_sel:[0,1]
	v_cmp_lt_i64_e32 vcc, s[14:15], v[10:11]
	v_lshlrev_b64 v[12:13], 2, v[4:5]
	s_and_b64 s[12:13], vcc, exec
	v_mov_b32_e32 v1, s29
	v_add_co_u32_e32 v10, vcc, s28, v12
	v_addc_co_u32_e32 v11, vcc, v1, v13, vcc
	v_mov_b32_e32 v1, s27
	v_add_co_u32_e32 v12, vcc, s26, v12
	s_cselect_b32 s13, s15, s1
	s_cselect_b32 s12, s14, s0
	v_addc_co_u32_e32 v13, vcc, v1, v13, vcc
	s_mov_b64 s[14:15], 0
	v_mov_b32_e32 v1, s31
	s_movk_i32 s7, 0x100
.LBB94_42:                              ; =>This Inner Loop Header: Depth=1
	global_load_dword v14, v[12:13], off
	global_load_dword v16, v[10:11], off
	s_waitcnt vmcnt(1)
	v_subrev_u32_e32 v14, s44, v14
	v_ashrrev_i32_e32 v15, 31, v14
	v_lshlrev_b64 v[14:15], 3, v[14:15]
	v_add_co_u32_e32 v14, vcc, s30, v14
	v_addc_co_u32_e32 v15, vcc, v1, v15, vcc
	global_load_dwordx2 v[14:15], v[14:15], off
	v_add_co_u32_e32 v4, vcc, s7, v4
	v_addc_co_u32_e32 v5, vcc, 0, v5, vcc
	v_add_co_u32_e32 v10, vcc, 0x400, v10
	v_addc_co_u32_e32 v11, vcc, 0, v11, vcc
	s_waitcnt vmcnt(1)
	v_cvt_f64_f32_e32 v[16:17], v16
	v_add_co_u32_e32 v12, vcc, 0x400, v12
	v_cmp_le_i64_e64 s[0:1], s[12:13], v[4:5]
	v_mul_f64 v[16:17], v[8:9], v[16:17]
	v_addc_co_u32_e32 v13, vcc, 0, v13, vcc
	s_or_b64 s[14:15], s[0:1], s[14:15]
	s_waitcnt vmcnt(0)
	v_fmac_f64_e32 v[2:3], v[16:17], v[14:15]
	s_andn2_b64 exec, exec, s[14:15]
	s_cbranch_execnz .LBB94_42
; %bb.43:
	s_or_b64 exec, exec, s[14:15]
.LBB94_44:
	s_or_b64 exec, exec, s[10:11]
	s_movk_i32 s0, 0x80
	v_lshlrev_b32_e32 v1, 3, v0
	v_cmp_gt_u32_e32 vcc, s0, v0
	ds_write_b64 v1, v[2:3]
	s_waitcnt lgkmcnt(0)
	s_barrier
	s_and_saveexec_b64 s[0:1], vcc
	s_cbranch_execz .LBB94_46
; %bb.45:
	ds_read2st64_b64 v[2:5], v1 offset1:2
	s_waitcnt lgkmcnt(0)
	v_add_f64 v[2:3], v[2:3], v[4:5]
	ds_write_b64 v1, v[2:3]
.LBB94_46:
	s_or_b64 exec, exec, s[0:1]
	v_cmp_gt_u32_e32 vcc, 64, v0
	s_waitcnt lgkmcnt(0)
	s_barrier
	s_and_saveexec_b64 s[0:1], vcc
	s_cbranch_execz .LBB94_48
; %bb.47:
	ds_read2st64_b64 v[2:5], v1 offset1:1
	s_waitcnt lgkmcnt(0)
	v_add_f64 v[2:3], v[2:3], v[4:5]
	ds_write_b64 v1, v[2:3]
.LBB94_48:
	s_or_b64 exec, exec, s[0:1]
	v_cmp_gt_u32_e32 vcc, 32, v0
	s_waitcnt lgkmcnt(0)
	s_barrier
	s_and_saveexec_b64 s[0:1], vcc
	s_cbranch_execz .LBB94_50
; %bb.49:
	ds_read2_b64 v[2:5], v1 offset1:32
	s_waitcnt lgkmcnt(0)
	v_add_f64 v[2:3], v[2:3], v[4:5]
	ds_write_b64 v1, v[2:3]
.LBB94_50:
	s_or_b64 exec, exec, s[0:1]
	v_cmp_gt_u32_e32 vcc, 16, v0
	s_waitcnt lgkmcnt(0)
	s_barrier
	s_and_saveexec_b64 s[0:1], vcc
	s_cbranch_execz .LBB94_52
; %bb.51:
	ds_read2_b64 v[2:5], v1 offset1:16
	s_waitcnt lgkmcnt(0)
	v_add_f64 v[2:3], v[2:3], v[4:5]
	ds_write_b64 v1, v[2:3]
.LBB94_52:
	;; [unrolled: 12-line block ×5, first 2 shown]
	s_or_b64 exec, exec, s[0:1]
	v_cmp_eq_u32_e32 vcc, 0, v0
	s_waitcnt lgkmcnt(0)
	s_barrier
	s_and_saveexec_b64 s[0:1], vcc
	s_cbranch_execz .LBB94_60
; %bb.59:
	v_mov_b32_e32 v1, 0
	ds_read_b128 v[2:5], v1
	s_waitcnt lgkmcnt(0)
	v_add_f64 v[2:3], v[2:3], v[4:5]
	ds_write_b64 v1, v[2:3]
.LBB94_60:
	s_or_b64 exec, exec, s[0:1]
	s_waitcnt lgkmcnt(0)
	s_barrier
	s_and_saveexec_b64 s[0:1], vcc
	s_cbranch_execz .LBB94_70
; %bb.61:
	s_cmp_eq_u32 s33, 0
	s_cbranch_scc1 .LBB94_67
; %bb.62:
	s_ashr_i32 s7, s6, 31
	s_lshl_b64 s[6:7], s[6:7], 2
	s_add_u32 s6, s8, s6
	s_addc_u32 s7, s9, s7
	v_mov_b32_e32 v1, 0
	s_branch .LBB94_64
.LBB94_63:                              ;   in Loop: Header=BB94_64 Depth=1
	s_or_b64 exec, exec, s[8:9]
	s_waitcnt vmcnt(0)
	v_readfirstlane_b32 s8, v2
	s_cmp_eq_u32 s8, s16
	s_cbranch_scc0 .LBB94_66
.LBB94_64:                              ; =>This Inner Loop Header: Depth=1
	v_mbcnt_lo_u32_b32 v2, exec_lo, 0
	v_mbcnt_hi_u32_b32 v2, exec_hi, v2
	v_cmp_eq_u32_e32 vcc, 0, v2
                                        ; implicit-def: $vgpr2
	s_and_saveexec_b64 s[8:9], vcc
	s_cbranch_execz .LBB94_63
; %bb.65:                               ;   in Loop: Header=BB94_64 Depth=1
	global_load_dword v2, v1, s[6:7] glc
	s_branch .LBB94_63
.LBB94_66:
	v_mov_b32_e32 v1, 0
	global_load_dword v2, v1, s[2:3]
	s_waitcnt vmcnt(0)
	v_xor_b32_e32 v2, 1, v2
	global_store_dword v1, v2, s[2:3]
.LBB94_67:
	s_mov_b64 s[6:7], exec
	v_mbcnt_lo_u32_b32 v1, s6, 0
	v_mbcnt_hi_u32_b32 v1, s7, v1
	v_cmp_eq_u32_e32 vcc, 0, v1
	s_and_b64 s[2:3], exec, vcc
	s_mov_b64 exec, s[2:3]
	s_cbranch_execz .LBB94_70
; %bb.68:
	s_add_u32 s2, s34, s46
	s_addc_u32 s3, s35, s47
	v_mov_b32_e32 v1, 0
	global_load_dwordx2 v[4:5], v1, s[2:3]
	ds_read_b64 v[2:3], v1
	s_bcnt1_i32_b64 s6, s[6:7]
	v_cvt_f64_u32_e32 v[10:11], s6
	s_mov_b64 s[6:7], 0
	s_waitcnt lgkmcnt(0)
	v_mul_f64 v[10:11], v[2:3], v[10:11]
.LBB94_69:                              ; =>This Inner Loop Header: Depth=1
	s_waitcnt vmcnt(0)
	v_add_f64 v[2:3], v[4:5], v[10:11]
	global_atomic_cmpswap_x2 v[2:3], v1, v[2:5], s[2:3] glc
	s_waitcnt vmcnt(0)
	v_cmp_eq_u64_e32 vcc, v[2:3], v[4:5]
	s_or_b64 s[6:7], vcc, s[6:7]
	v_pk_mov_b32 v[4:5], v[2:3], v[2:3] op_sel:[0,1]
	s_andn2_b64 exec, exec, s[6:7]
	s_cbranch_execnz .LBB94_69
.LBB94_70:
	s_or_b64 exec, exec, s[0:1]
.LBB94_71:
	s_mov_b64 s[0:1], 0
.LBB94_72:
	s_andn2_b64 vcc, exec, s[0:1]
	s_cbranch_vccnz .LBB94_116
; %bb.73:
	s_load_dwordx2 s[0:1], s[4:5], 0x8
	v_subrev_co_u32_e32 v1, vcc, s44, v0
	v_subb_co_u32_e64 v3, s[2:3], 0, 0, vcc
	s_waitcnt lgkmcnt(0)
	v_mov_b32_e32 v4, s43
	v_add_co_u32_e32 v2, vcc, s42, v1
	v_addc_co_u32_e32 v3, vcc, v4, v3, vcc
	v_add_co_u32_e32 v4, vcc, 0x300, v2
	v_addc_co_u32_e32 v5, vcc, 0, v3, vcc
	v_cmp_le_i64_e32 vcc, s[0:1], v[4:5]
	s_and_saveexec_b64 s[0:1], vcc
	s_xor_b64 s[2:3], exec, s[0:1]
	s_cbranch_execz .LBB94_78
; %bb.74:
	s_lshl_b64 s[0:1], s[38:39], 3
	s_add_u32 s0, s24, s0
	s_addc_u32 s1, s25, s1
	s_load_dwordx2 s[0:1], s[0:1], 0x0
	s_waitcnt lgkmcnt(0)
	s_sub_u32 s4, s0, s44
	s_subb_u32 s5, s1, 0
	v_cmp_gt_i64_e32 vcc, s[4:5], v[2:3]
	s_and_saveexec_b64 s[6:7], vcc
	s_cbranch_execz .LBB94_77
; %bb.75:
	v_lshlrev_b64 v[10:11], 2, v[2:3]
	v_mov_b32_e32 v5, s29
	v_add_co_u32_e32 v4, vcc, s28, v10
	v_addc_co_u32_e32 v5, vcc, v5, v11, vcc
	v_mov_b32_e32 v12, s27
	v_add_co_u32_e32 v10, vcc, s26, v10
	v_lshlrev_b32_e32 v1, 3, v0
	v_addc_co_u32_e32 v11, vcc, v12, v11, vcc
	s_mov_b64 s[8:9], 0
	v_mov_b32_e32 v12, s31
	s_movk_i32 s10, 0x100
.LBB94_76:                              ; =>This Inner Loop Header: Depth=1
	global_load_dword v13, v[10:11], off
	global_load_dword v16, v[4:5], off
	s_waitcnt vmcnt(1)
	v_subrev_u32_e32 v14, s44, v13
	v_ashrrev_i32_e32 v15, 31, v14
	v_lshlrev_b64 v[14:15], 3, v[14:15]
	v_add_co_u32_e32 v14, vcc, s30, v14
	v_addc_co_u32_e32 v15, vcc, v12, v15, vcc
	global_load_dwordx2 v[14:15], v[14:15], off
	v_add_co_u32_e32 v2, vcc, s10, v2
	v_addc_co_u32_e32 v3, vcc, 0, v3, vcc
	v_add_co_u32_e32 v4, vcc, 0x400, v4
	s_waitcnt vmcnt(1)
	v_cvt_f64_f32_e32 v[16:17], v16
	v_addc_co_u32_e32 v5, vcc, 0, v5, vcc
	v_mul_f64 v[16:17], v[8:9], v[16:17]
	v_add_co_u32_e32 v10, vcc, 0x400, v10
	v_cmp_le_i64_e64 s[0:1], s[4:5], v[2:3]
	v_addc_co_u32_e32 v11, vcc, 0, v11, vcc
	s_or_b64 s[8:9], s[0:1], s[8:9]
	s_waitcnt vmcnt(0)
	v_mul_f64 v[14:15], v[16:17], v[14:15]
	ds_write_b64 v1, v[14:15]
	v_add_u32_e32 v1, 0x800, v1
	s_andn2_b64 exec, exec, s[8:9]
	s_cbranch_execnz .LBB94_76
.LBB94_77:
	s_or_b64 exec, exec, s[6:7]
                                        ; implicit-def: $vgpr2_vgpr3
                                        ; implicit-def: $vgpr8_vgpr9
.LBB94_78:
	s_or_saveexec_b64 s[0:1], s[2:3]
	v_lshlrev_b32_e32 v12, 3, v0
	s_xor_b64 exec, exec, s[0:1]
	s_cbranch_execz .LBB94_80
; %bb.79:
	v_lshlrev_b64 v[2:3], 2, v[2:3]
	v_mov_b32_e32 v1, s27
	v_add_co_u32_e32 v4, vcc, s26, v2
	v_addc_co_u32_e32 v5, vcc, v1, v3, vcc
	global_load_dword v1, v[4:5], off
	global_load_dword v10, v[4:5], off offset:1024
	global_load_dword v11, v[4:5], off offset:2048
	global_load_dword v13, v[4:5], off offset:3072
	v_mov_b32_e32 v4, s29
	v_add_co_u32_e32 v2, vcc, s28, v2
	v_addc_co_u32_e32 v3, vcc, v4, v3, vcc
	global_load_dword v24, v[2:3], off
	global_load_dword v25, v[2:3], off offset:1024
	global_load_dword v26, v[2:3], off offset:2048
	;; [unrolled: 1-line block ×3, first 2 shown]
	v_mov_b32_e32 v16, s31
	s_waitcnt vmcnt(7)
	v_subrev_u32_e32 v2, s44, v1
	v_ashrrev_i32_e32 v3, 31, v2
	s_waitcnt vmcnt(6)
	v_subrev_u32_e32 v4, s44, v10
	v_lshlrev_b64 v[2:3], 3, v[2:3]
	v_ashrrev_i32_e32 v5, 31, v4
	v_add_co_u32_e32 v2, vcc, s30, v2
	s_waitcnt vmcnt(5)
	v_subrev_u32_e32 v10, s44, v11
	v_lshlrev_b64 v[4:5], 3, v[4:5]
	v_addc_co_u32_e32 v3, vcc, v16, v3, vcc
	v_ashrrev_i32_e32 v11, 31, v10
	v_add_co_u32_e32 v4, vcc, s30, v4
	s_waitcnt vmcnt(4)
	v_subrev_u32_e32 v14, s44, v13
	v_lshlrev_b64 v[10:11], 3, v[10:11]
	v_addc_co_u32_e32 v5, vcc, v16, v5, vcc
	v_ashrrev_i32_e32 v15, 31, v14
	v_add_co_u32_e32 v10, vcc, s30, v10
	v_lshlrev_b64 v[14:15], 3, v[14:15]
	v_addc_co_u32_e32 v11, vcc, v16, v11, vcc
	v_add_co_u32_e32 v14, vcc, s30, v14
	v_addc_co_u32_e32 v15, vcc, v16, v15, vcc
	global_load_dwordx2 v[16:17], v[2:3], off
	global_load_dwordx2 v[18:19], v[4:5], off
	;; [unrolled: 1-line block ×4, first 2 shown]
	s_waitcnt vmcnt(7)
	v_cvt_f64_f32_e32 v[2:3], v24
	s_waitcnt vmcnt(6)
	v_cvt_f64_f32_e32 v[4:5], v25
	;; [unrolled: 2-line block ×4, first 2 shown]
	v_mul_f64 v[2:3], v[8:9], v[2:3]
	v_mul_f64 v[4:5], v[8:9], v[4:5]
	v_mul_f64 v[10:11], v[8:9], v[10:11]
	v_mul_f64 v[8:9], v[8:9], v[14:15]
	s_waitcnt vmcnt(3)
	v_mul_f64 v[2:3], v[2:3], v[16:17]
	s_waitcnt vmcnt(2)
	v_mul_f64 v[4:5], v[4:5], v[18:19]
	;; [unrolled: 2-line block ×4, first 2 shown]
	ds_write2st64_b64 v12, v[2:3], v[4:5] offset1:4
	ds_write2st64_b64 v12, v[10:11], v[8:9] offset0:8 offset1:12
.LBB94_80:
	s_or_b64 exec, exec, s[0:1]
	s_cmp_lt_i32 s33, 2
	s_mov_b64 s[0:1], -1
	s_waitcnt lgkmcnt(0)
	s_barrier
	s_cbranch_scc0 .LBB94_91
; %bb.81:
	v_mov_b32_e32 v1, s37
	v_add_co_u32_e32 v8, vcc, s36, v0
	v_addc_co_u32_e32 v9, vcc, 0, v1, vcc
	v_cmp_gt_i64_e32 vcc, s[38:39], v[8:9]
	s_and_saveexec_b64 s[2:3], vcc
	s_cbranch_execz .LBB94_90
; %bb.82:
	s_lshl_b32 s6, s42, 3
	s_mov_b64 s[4:5], 0
	v_cmp_neq_f64_e64 s[0:1], 0, v[6:7]
	s_sub_i32 s10, 0, s6
	v_mov_b32_e32 v1, s25
	v_mov_b32_e32 v13, s35
	s_branch .LBB94_84
.LBB94_83:                              ;   in Loop: Header=BB94_84 Depth=1
	s_or_b64 exec, exec, s[6:7]
	v_add_co_u32_e32 v2, vcc, s34, v10
	v_addc_co_u32_e32 v3, vcc, v13, v11, vcc
	v_add_co_u32_e32 v8, vcc, 0x100, v8
	v_addc_co_u32_e32 v9, vcc, 0, v9, vcc
	v_cmp_le_i64_e32 vcc, s[38:39], v[8:9]
	s_or_b64 s[4:5], vcc, s[4:5]
	global_store_dwordx2 v[2:3], v[4:5], off
	s_andn2_b64 exec, exec, s[4:5]
	s_cbranch_execz .LBB94_90
.LBB94_84:                              ; =>This Loop Header: Depth=1
                                        ;     Child Loop BB94_86 Depth 2
	v_lshlrev_b64 v[10:11], 3, v[8:9]
	v_add_co_u32_e32 v2, vcc, s24, v10
	v_addc_co_u32_e32 v3, vcc, v1, v11, vcc
	global_load_dwordx4 v[2:5], v[2:3], off
	s_waitcnt vmcnt(0)
	v_subrev_u32_e32 v3, s42, v2
	v_subrev_u32_e32 v14, s42, v4
	v_cmp_lt_i32_e32 vcc, v3, v14
	v_pk_mov_b32 v[4:5], 0, 0
	s_and_saveexec_b64 s[6:7], vcc
	s_cbranch_execz .LBB94_88
; %bb.85:                               ;   in Loop: Header=BB94_84 Depth=1
	v_lshl_add_u32 v2, v2, 3, s10
	s_mov_b64 s[8:9], 0
	v_pk_mov_b32 v[4:5], 0, 0
.LBB94_86:                              ;   Parent Loop BB94_84 Depth=1
                                        ; =>  This Inner Loop Header: Depth=2
	ds_read_b64 v[16:17], v2
	v_add_u32_e32 v3, 1, v3
	v_cmp_ge_i32_e32 vcc, v3, v14
	v_add_u32_e32 v2, 8, v2
	s_or_b64 s[8:9], vcc, s[8:9]
	s_waitcnt lgkmcnt(0)
	v_add_f64 v[4:5], v[4:5], v[16:17]
	s_andn2_b64 exec, exec, s[8:9]
	s_cbranch_execnz .LBB94_86
; %bb.87:                               ;   in Loop: Header=BB94_84 Depth=1
	s_or_b64 exec, exec, s[8:9]
.LBB94_88:                              ;   in Loop: Header=BB94_84 Depth=1
	s_or_b64 exec, exec, s[6:7]
	s_and_saveexec_b64 s[6:7], s[0:1]
	s_cbranch_execz .LBB94_83
; %bb.89:                               ;   in Loop: Header=BB94_84 Depth=1
	v_mov_b32_e32 v3, s35
	v_add_co_u32_e32 v2, vcc, s34, v10
	v_addc_co_u32_e32 v3, vcc, v3, v11, vcc
	global_load_dwordx2 v[2:3], v[2:3], off
	s_waitcnt vmcnt(0)
	v_fmac_f64_e32 v[4:5], v[6:7], v[2:3]
	s_branch .LBB94_83
.LBB94_90:
	s_or_b64 exec, exec, s[2:3]
	s_mov_b64 s[0:1], 0
.LBB94_91:
	s_andn2_b64 vcc, exec, s[0:1]
	s_cbranch_vccnz .LBB94_116
; %bb.92:
	s_flbit_i32_b32 s0, s33
	s_xor_b32 s0, s0, 31
	v_lshrrev_b32_e32 v4, s0, v0
	v_mov_b32_e32 v1, s37
	v_add_co_u32_e32 v2, vcc, s36, v4
	v_addc_co_u32_e32 v3, vcc, 0, v1, vcc
	s_add_i32 s0, s33, -1
	v_and_b32_e32 v5, s0, v0
	v_cmp_le_i64_e32 vcc, s[38:39], v[2:3]
	v_cmp_gt_i64_e64 s[0:1], s[38:39], v[2:3]
	v_pk_mov_b32 v[0:1], 0, 0
	s_and_saveexec_b64 s[2:3], s[0:1]
	s_cbranch_execz .LBB94_98
; %bb.93:
	v_lshlrev_b32_e32 v0, 3, v4
	global_load_dword v1, v0, s[40:41] offset:8
	global_load_dword v8, v0, s[40:41]
	s_waitcnt vmcnt(1)
	v_subrev_u32_e32 v4, s42, v1
	s_waitcnt vmcnt(0)
	v_subrev_u32_e32 v0, s42, v8
	v_add_u32_e32 v8, v5, v0
	v_cmp_lt_i32_e64 s[0:1], v8, v4
	v_pk_mov_b32 v[0:1], 0, 0
	s_and_saveexec_b64 s[4:5], s[0:1]
	s_cbranch_execz .LBB94_97
; %bb.94:
	v_lshlrev_b32_e32 v9, 3, v8
	s_lshl_b32 s8, s33, 3
	s_mov_b64 s[6:7], 0
	v_pk_mov_b32 v[0:1], 0, 0
.LBB94_95:                              ; =>This Inner Loop Header: Depth=1
	ds_read_b64 v[10:11], v9
	v_add_u32_e32 v8, s33, v8
	v_cmp_ge_i32_e64 s[0:1], v8, v4
	v_add_u32_e32 v9, s8, v9
	s_or_b64 s[6:7], s[0:1], s[6:7]
	s_waitcnt lgkmcnt(0)
	v_add_f64 v[0:1], v[0:1], v[10:11]
	s_andn2_b64 exec, exec, s[6:7]
	s_cbranch_execnz .LBB94_95
; %bb.96:
	s_or_b64 exec, exec, s[6:7]
.LBB94_97:
	s_or_b64 exec, exec, s[4:5]
.LBB94_98:
	s_or_b64 exec, exec, s[2:3]
	s_cmpk_lt_i32 s33, 0x81
	s_barrier
	ds_write_b64 v12, v[0:1]
	s_waitcnt lgkmcnt(0)
	s_barrier
	s_cbranch_scc1 .LBB94_100
; %bb.99:
	ds_read_b64 v[8:9], v12 offset:1024
	s_waitcnt lgkmcnt(0)
	s_barrier
	v_add_f64 v[0:1], v[0:1], v[8:9]
	ds_write_b64 v12, v[0:1]
.LBB94_100:
	s_cmpk_lt_i32 s33, 0x41
	s_waitcnt lgkmcnt(0)
	s_barrier
	s_cbranch_scc1 .LBB94_102
; %bb.101:
	ds_read_b64 v[8:9], v12 offset:512
	s_waitcnt lgkmcnt(0)
	s_barrier
	v_add_f64 v[0:1], v[0:1], v[8:9]
	ds_write_b64 v12, v[0:1]
.LBB94_102:
	s_cmp_lt_i32 s33, 33
	s_waitcnt lgkmcnt(0)
	s_barrier
	s_cbranch_scc1 .LBB94_104
; %bb.103:
	ds_read_b64 v[8:9], v12 offset:256
	s_waitcnt lgkmcnt(0)
	s_barrier
	v_add_f64 v[0:1], v[0:1], v[8:9]
	ds_write_b64 v12, v[0:1]
.LBB94_104:
	s_cmp_lt_i32 s33, 17
	;; [unrolled: 11-line block ×4, first 2 shown]
	s_waitcnt lgkmcnt(0)
	s_barrier
	s_cbranch_scc1 .LBB94_110
; %bb.109:
	ds_read_b64 v[8:9], v12 offset:32
	s_waitcnt lgkmcnt(0)
	s_barrier
	v_add_f64 v[0:1], v[0:1], v[8:9]
	ds_write_b64 v12, v[0:1]
.LBB94_110:
	s_cmp_eq_u32 s33, 2
	s_waitcnt lgkmcnt(0)
	s_barrier
	s_cbranch_scc1 .LBB94_112
; %bb.111:
	ds_read_b64 v[8:9], v12 offset:16
	s_waitcnt lgkmcnt(0)
	s_barrier
	v_add_f64 v[0:1], v[0:1], v[8:9]
	ds_write_b64 v12, v[0:1]
.LBB94_112:
	s_waitcnt lgkmcnt(0)
	s_barrier
	ds_read_b64 v[8:9], v12 offset:8
	v_cmp_eq_u32_e64 s[0:1], 0, v5
	s_xor_b64 s[2:3], vcc, -1
	s_and_b64 s[0:1], s[0:1], s[2:3]
	s_waitcnt lgkmcnt(0)
	v_add_f64 v[0:1], v[0:1], v[8:9]
	s_barrier
	ds_write_b64 v12, v[0:1]
	s_and_b64 exec, exec, s[0:1]
	s_cbranch_execz .LBB94_116
; %bb.113:
	v_cmp_neq_f64_e32 vcc, 0, v[6:7]
	v_lshlrev_b64 v[2:3], 3, v[2:3]
	s_and_saveexec_b64 s[0:1], vcc
	s_cbranch_execz .LBB94_115
; %bb.114:
	v_mov_b32_e32 v5, s35
	v_add_co_u32_e32 v4, vcc, s34, v2
	v_addc_co_u32_e32 v5, vcc, v5, v3, vcc
	global_load_dwordx2 v[4:5], v[4:5], off
	s_waitcnt vmcnt(0)
	v_fmac_f64_e32 v[0:1], v[6:7], v[4:5]
.LBB94_115:
	s_or_b64 exec, exec, s[0:1]
	v_mov_b32_e32 v4, s35
	v_add_co_u32_e32 v2, vcc, s34, v2
	v_addc_co_u32_e32 v3, vcc, v4, v3, vcc
	global_store_dwordx2 v[2:3], v[0:1], off
.LBB94_116:
	s_endpgm
	.section	.rodata,"a",@progbits
	.p2align	6, 0x0
	.amdhsa_kernel _ZN9rocsparseL22csrmvn_adaptive_kernelIlifdddEEvbT_PKS1_PjPKT0_NS_24const_host_device_scalarIT4_EES3_S7_PKT1_PKT2_SA_PT3_21rocsparse_index_base_b
		.amdhsa_group_segment_fixed_size 8192
		.amdhsa_private_segment_fixed_size 0
		.amdhsa_kernarg_size 104
		.amdhsa_user_sgpr_count 6
		.amdhsa_user_sgpr_private_segment_buffer 1
		.amdhsa_user_sgpr_dispatch_ptr 0
		.amdhsa_user_sgpr_queue_ptr 0
		.amdhsa_user_sgpr_kernarg_segment_ptr 1
		.amdhsa_user_sgpr_dispatch_id 0
		.amdhsa_user_sgpr_flat_scratch_init 0
		.amdhsa_user_sgpr_kernarg_preload_length 0
		.amdhsa_user_sgpr_kernarg_preload_offset 0
		.amdhsa_user_sgpr_private_segment_size 0
		.amdhsa_uses_dynamic_stack 0
		.amdhsa_system_sgpr_private_segment_wavefront_offset 0
		.amdhsa_system_sgpr_workgroup_id_x 1
		.amdhsa_system_sgpr_workgroup_id_y 0
		.amdhsa_system_sgpr_workgroup_id_z 0
		.amdhsa_system_sgpr_workgroup_info 0
		.amdhsa_system_vgpr_workitem_id 0
		.amdhsa_next_free_vgpr 28
		.amdhsa_next_free_sgpr 63
		.amdhsa_accum_offset 28
		.amdhsa_reserve_vcc 1
		.amdhsa_reserve_flat_scratch 0
		.amdhsa_float_round_mode_32 0
		.amdhsa_float_round_mode_16_64 0
		.amdhsa_float_denorm_mode_32 3
		.amdhsa_float_denorm_mode_16_64 3
		.amdhsa_dx10_clamp 1
		.amdhsa_ieee_mode 1
		.amdhsa_fp16_overflow 0
		.amdhsa_tg_split 0
		.amdhsa_exception_fp_ieee_invalid_op 0
		.amdhsa_exception_fp_denorm_src 0
		.amdhsa_exception_fp_ieee_div_zero 0
		.amdhsa_exception_fp_ieee_overflow 0
		.amdhsa_exception_fp_ieee_underflow 0
		.amdhsa_exception_fp_ieee_inexact 0
		.amdhsa_exception_int_div_zero 0
	.end_amdhsa_kernel
	.section	.text._ZN9rocsparseL22csrmvn_adaptive_kernelIlifdddEEvbT_PKS1_PjPKT0_NS_24const_host_device_scalarIT4_EES3_S7_PKT1_PKT2_SA_PT3_21rocsparse_index_base_b,"axG",@progbits,_ZN9rocsparseL22csrmvn_adaptive_kernelIlifdddEEvbT_PKS1_PjPKT0_NS_24const_host_device_scalarIT4_EES3_S7_PKT1_PKT2_SA_PT3_21rocsparse_index_base_b,comdat
.Lfunc_end94:
	.size	_ZN9rocsparseL22csrmvn_adaptive_kernelIlifdddEEvbT_PKS1_PjPKT0_NS_24const_host_device_scalarIT4_EES3_S7_PKT1_PKT2_SA_PT3_21rocsparse_index_base_b, .Lfunc_end94-_ZN9rocsparseL22csrmvn_adaptive_kernelIlifdddEEvbT_PKS1_PjPKT0_NS_24const_host_device_scalarIT4_EES3_S7_PKT1_PKT2_SA_PT3_21rocsparse_index_base_b
                                        ; -- End function
	.section	.AMDGPU.csdata,"",@progbits
; Kernel info:
; codeLenInByte = 4080
; NumSgprs: 67
; NumVgprs: 28
; NumAgprs: 0
; TotalNumVgprs: 28
; ScratchSize: 0
; MemoryBound: 0
; FloatMode: 240
; IeeeMode: 1
; LDSByteSize: 8192 bytes/workgroup (compile time only)
; SGPRBlocks: 8
; VGPRBlocks: 3
; NumSGPRsForWavesPerEU: 67
; NumVGPRsForWavesPerEU: 28
; AccumOffset: 28
; Occupancy: 8
; WaveLimiterHint : 1
; COMPUTE_PGM_RSRC2:SCRATCH_EN: 0
; COMPUTE_PGM_RSRC2:USER_SGPR: 6
; COMPUTE_PGM_RSRC2:TRAP_HANDLER: 0
; COMPUTE_PGM_RSRC2:TGID_X_EN: 1
; COMPUTE_PGM_RSRC2:TGID_Y_EN: 0
; COMPUTE_PGM_RSRC2:TGID_Z_EN: 0
; COMPUTE_PGM_RSRC2:TIDIG_COMP_CNT: 0
; COMPUTE_PGM_RSRC3_GFX90A:ACCUM_OFFSET: 6
; COMPUTE_PGM_RSRC3_GFX90A:TG_SPLIT: 0
	.section	.text._ZN9rocsparseL27csrmvn_symm_adaptive_kernelIlifdddEEvbT_S1_PKS1_NS_24const_host_device_scalarIT4_EES3_PKT0_PKT1_PKT2_S6_PT3_21rocsparse_index_base_b,"axG",@progbits,_ZN9rocsparseL27csrmvn_symm_adaptive_kernelIlifdddEEvbT_S1_PKS1_NS_24const_host_device_scalarIT4_EES3_PKT0_PKT1_PKT2_S6_PT3_21rocsparse_index_base_b,comdat
	.globl	_ZN9rocsparseL27csrmvn_symm_adaptive_kernelIlifdddEEvbT_S1_PKS1_NS_24const_host_device_scalarIT4_EES3_PKT0_PKT1_PKT2_S6_PT3_21rocsparse_index_base_b ; -- Begin function _ZN9rocsparseL27csrmvn_symm_adaptive_kernelIlifdddEEvbT_S1_PKS1_NS_24const_host_device_scalarIT4_EES3_PKT0_PKT1_PKT2_S6_PT3_21rocsparse_index_base_b
	.p2align	8
	.type	_ZN9rocsparseL27csrmvn_symm_adaptive_kernelIlifdddEEvbT_S1_PKS1_NS_24const_host_device_scalarIT4_EES3_PKT0_PKT1_PKT2_S6_PT3_21rocsparse_index_base_b,@function
_ZN9rocsparseL27csrmvn_symm_adaptive_kernelIlifdddEEvbT_S1_PKS1_NS_24const_host_device_scalarIT4_EES3_PKT0_PKT1_PKT2_S6_PT3_21rocsparse_index_base_b: ; @_ZN9rocsparseL27csrmvn_symm_adaptive_kernelIlifdddEEvbT_S1_PKS1_NS_24const_host_device_scalarIT4_EES3_PKT0_PKT1_PKT2_S6_PT3_21rocsparse_index_base_b
; %bb.0:
	s_load_dwordx2 s[30:31], s[4:5], 0x58
	s_load_dwordx2 s[8:9], s[4:5], 0x20
	;; [unrolled: 1-line block ×3, first 2 shown]
	s_waitcnt lgkmcnt(0)
	s_bitcmp1_b32 s31, 0
	s_cselect_b64 s[10:11], -1, 0
	s_xor_b64 s[2:3], s[10:11], -1
	s_and_b64 vcc, exec, s[10:11]
	v_pk_mov_b32 v[10:11], s[8:9], s[8:9] op_sel:[0,1]
	s_cbranch_vccnz .LBB95_2
; %bb.1:
	v_pk_mov_b32 v[2:3], s[8:9], s[8:9] op_sel:[0,1]
	flat_load_dwordx2 v[10:11], v[2:3]
.LBB95_2:
	s_andn2_b64 vcc, exec, s[2:3]
	v_pk_mov_b32 v[2:3], s[0:1], s[0:1] op_sel:[0,1]
	s_cbranch_vccnz .LBB95_4
; %bb.3:
	v_pk_mov_b32 v[2:3], s[0:1], s[0:1] op_sel:[0,1]
	flat_load_dwordx2 v[2:3], v[2:3]
.LBB95_4:
	s_waitcnt vmcnt(0) lgkmcnt(0)
	v_cmp_neq_f64_e32 vcc, 0, v[10:11]
	v_cmp_neq_f64_e64 s[0:1], 1.0, v[2:3]
	s_or_b64 s[0:1], vcc, s[0:1]
	s_and_saveexec_b64 s[2:3], s[0:1]
	s_cbranch_execz .LBB95_170
; %bb.5:
	s_load_dwordx2 s[0:1], s[4:5], 0x18
	s_mov_b32 s31, 0
	s_mov_b32 s2, s31
	;; [unrolled: 1-line block ×3, first 2 shown]
	s_ashr_i32 s7, s6, 31
	v_pk_mov_b32 v[2:3], s[2:3], s[2:3] op_sel:[0,1]
	s_lshl_b64 s[2:3], s[6:7], 3
	s_waitcnt lgkmcnt(0)
	s_add_u32 s0, s0, s2
	v_lshlrev_b32_e32 v18, 3, v0
	s_addc_u32 s1, s1, s3
	ds_write2st64_b64 v18, v[2:3], v[2:3] offset1:4
	ds_write2st64_b64 v18, v[2:3], v[2:3] offset0:8 offset1:12
	s_waitcnt lgkmcnt(0)
	s_barrier
	s_load_dwordx4 s[24:27], s[0:1], 0x0
	s_load_dwordx8 s[16:23], s[4:5], 0x28
	s_load_dwordx2 s[14:15], s[4:5], 0x50
	s_mov_b64 s[0:1], -1
	s_waitcnt lgkmcnt(0)
	s_sub_u32 s28, s26, s24
	s_subb_u32 s29, s27, s25
	v_cmp_gt_i64_e64 s[2:3], s[28:29], 2
	s_and_b64 vcc, exec, s[2:3]
	s_cbranch_vccnz .LBB95_43
; %bb.6:
	v_pk_mov_b32 v[2:3], s[24:25], s[24:25] op_sel:[0,1]
	v_cmp_gt_i64_e32 vcc, s[26:27], v[2:3]
	v_subrev_co_u32_e64 v1, s[0:1], s30, v0
	v_subb_co_u32_e64 v12, s[0:1], 0, 0, s[0:1]
	s_cbranch_vccnz .LBB95_8
; %bb.7:
	s_lshl_b64 s[0:1], s[24:25], 3
	s_add_u32 s0, s16, s0
	s_addc_u32 s1, s17, s1
	s_load_dwordx2 s[34:35], s[0:1], 0x0
	s_cbranch_execz .LBB95_9
	s_branch .LBB95_32
.LBB95_8:
                                        ; implicit-def: $sgpr34_sgpr35
.LBB95_9:
	s_lshl_b64 s[12:13], s[24:25], 3
	s_add_u32 s12, s16, s12
	s_addc_u32 s13, s17, s13
	s_waitcnt lgkmcnt(0)
	s_load_dwordx2 s[34:35], s[12:13], 0x0
	s_movk_i32 s33, 0x100
	s_add_u32 s48, s16, 8
	v_cmp_gt_u32_e64 s[0:1], s33, v0
	v_cmp_gt_u32_e64 s[2:3], 64, v0
	;; [unrolled: 1-line block ×4, first 2 shown]
	v_cmp_eq_u32_e64 s[10:11], 0, v0
	s_addc_u32 s49, s17, 0
	v_mov_b32_e32 v13, s23
	v_mov_b32_e32 v14, 0
	s_waitcnt lgkmcnt(0)
	s_mov_b64 s[38:39], s[34:35]
	s_mov_b64 s[36:37], s[24:25]
	s_branch .LBB95_11
.LBB95_10:                              ;   in Loop: Header=BB95_11 Depth=1
	s_or_b64 exec, exec, s[12:13]
	s_add_u32 s36, s36, 1
	s_addc_u32 s37, s37, 0
	v_pk_mov_b32 v[2:3], s[26:27], s[26:27] op_sel:[0,1]
	v_cmp_ge_i64_e32 vcc, s[36:37], v[2:3]
	s_cbranch_vccnz .LBB95_32
.LBB95_11:                              ; =>This Loop Header: Depth=1
                                        ;     Child Loop BB95_13 Depth 2
                                        ;     Child Loop BB95_27 Depth 2
	;; [unrolled: 1-line block ×3, first 2 shown]
	s_lshl_b64 s[40:41], s[36:37], 3
	s_mov_b64 s[12:13], s[38:39]
	s_add_u32 s38, s48, s40
	s_addc_u32 s39, s49, s41
	s_load_dwordx2 s[38:39], s[38:39], 0x0
	v_mov_b32_e32 v3, s13
	v_add_co_u32_e32 v2, vcc, s12, v1
	v_addc_co_u32_e32 v3, vcc, v3, v12, vcc
	s_waitcnt lgkmcnt(0)
	s_sub_u32 s42, s38, s30
	s_subb_u32 s43, s39, 0
	v_cmp_gt_i64_e32 vcc, s[42:43], v[2:3]
	v_pk_mov_b32 v[4:5], 0, 0
	s_and_saveexec_b64 s[44:45], vcc
	s_cbranch_execz .LBB95_15
; %bb.12:                               ;   in Loop: Header=BB95_11 Depth=1
	v_lshlrev_b64 v[4:5], 2, v[2:3]
	v_mov_b32_e32 v7, s19
	v_add_co_u32_e32 v6, vcc, s18, v4
	v_addc_co_u32_e32 v7, vcc, v7, v5, vcc
	v_mov_b32_e32 v9, s21
	v_add_co_u32_e32 v8, vcc, s20, v4
	v_addc_co_u32_e32 v9, vcc, v9, v5, vcc
	s_mov_b64 s[46:47], 0
	v_pk_mov_b32 v[4:5], 0, 0
.LBB95_13:                              ;   Parent Loop BB95_11 Depth=1
                                        ; =>  This Inner Loop Header: Depth=2
	global_load_dword v15, v[6:7], off
	global_load_dword v19, v[8:9], off
	s_waitcnt vmcnt(1)
	v_subrev_u32_e32 v16, s30, v15
	v_ashrrev_i32_e32 v17, 31, v16
	v_lshlrev_b64 v[16:17], 3, v[16:17]
	v_add_co_u32_e32 v16, vcc, s22, v16
	v_addc_co_u32_e32 v17, vcc, v13, v17, vcc
	global_load_dwordx2 v[16:17], v[16:17], off
	v_add_co_u32_e32 v2, vcc, s33, v2
	v_addc_co_u32_e32 v3, vcc, 0, v3, vcc
	v_add_co_u32_e32 v6, vcc, 0x400, v6
	v_addc_co_u32_e32 v7, vcc, 0, v7, vcc
	v_add_co_u32_e32 v8, vcc, 0x400, v8
	v_cmp_le_i64_e64 s[12:13], s[42:43], v[2:3]
	s_waitcnt vmcnt(1)
	v_cvt_f64_f32_e32 v[20:21], v19
	v_addc_co_u32_e32 v9, vcc, 0, v9, vcc
	s_or_b64 s[46:47], s[12:13], s[46:47]
	s_waitcnt vmcnt(0)
	v_fmac_f64_e32 v[4:5], v[20:21], v[16:17]
	s_andn2_b64 exec, exec, s[46:47]
	s_cbranch_execnz .LBB95_13
; %bb.14:                               ;   in Loop: Header=BB95_11 Depth=1
	s_or_b64 exec, exec, s[46:47]
.LBB95_15:                              ;   in Loop: Header=BB95_11 Depth=1
	s_or_b64 exec, exec, s[44:45]
	ds_write_b64 v18, v[4:5]
	s_waitcnt lgkmcnt(0)
	s_barrier
	s_and_saveexec_b64 s[12:13], s[0:1]
	s_cbranch_execz .LBB95_17
; %bb.16:                               ;   in Loop: Header=BB95_11 Depth=1
	ds_read2st64_b64 v[2:5], v18 offset1:4
	ds_read2st64_b64 v[6:9], v18 offset0:8 offset1:12
	s_waitcnt lgkmcnt(0)
	v_add_f64 v[4:5], v[4:5], v[6:7]
	v_add_f64 v[4:5], v[4:5], v[8:9]
	;; [unrolled: 1-line block ×3, first 2 shown]
	ds_write_b64 v18, v[2:3]
.LBB95_17:                              ;   in Loop: Header=BB95_11 Depth=1
	s_or_b64 exec, exec, s[12:13]
	s_waitcnt lgkmcnt(0)
	s_barrier
	s_and_saveexec_b64 s[12:13], s[2:3]
	s_cbranch_execz .LBB95_19
; %bb.18:                               ;   in Loop: Header=BB95_11 Depth=1
	ds_read2st64_b64 v[2:5], v18 offset1:1
	ds_read2st64_b64 v[6:9], v18 offset0:2 offset1:3
	s_waitcnt lgkmcnt(0)
	v_add_f64 v[4:5], v[4:5], v[6:7]
	v_add_f64 v[4:5], v[4:5], v[8:9]
	;; [unrolled: 1-line block ×3, first 2 shown]
	ds_write_b64 v18, v[2:3]
.LBB95_19:                              ;   in Loop: Header=BB95_11 Depth=1
	s_or_b64 exec, exec, s[12:13]
	s_waitcnt lgkmcnt(0)
	s_barrier
	s_and_saveexec_b64 s[12:13], s[6:7]
	s_cbranch_execz .LBB95_21
; %bb.20:                               ;   in Loop: Header=BB95_11 Depth=1
	ds_read2_b64 v[2:5], v18 offset1:16
	ds_read2_b64 v[6:9], v18 offset0:32 offset1:48
	s_waitcnt lgkmcnt(0)
	v_add_f64 v[4:5], v[4:5], v[6:7]
	v_add_f64 v[4:5], v[4:5], v[8:9]
	;; [unrolled: 1-line block ×3, first 2 shown]
	ds_write_b64 v18, v[2:3]
.LBB95_21:                              ;   in Loop: Header=BB95_11 Depth=1
	s_or_b64 exec, exec, s[12:13]
	s_waitcnt lgkmcnt(0)
	s_barrier
	s_and_saveexec_b64 s[12:13], s[8:9]
	s_cbranch_execz .LBB95_23
; %bb.22:                               ;   in Loop: Header=BB95_11 Depth=1
	ds_read2_b64 v[2:5], v18 offset1:4
	ds_read2_b64 v[6:9], v18 offset0:8 offset1:12
	s_waitcnt lgkmcnt(0)
	v_add_f64 v[4:5], v[4:5], v[6:7]
	v_add_f64 v[4:5], v[4:5], v[8:9]
	v_add_f64 v[2:3], v[2:3], v[4:5]
	ds_write_b64 v18, v[2:3]
.LBB95_23:                              ;   in Loop: Header=BB95_11 Depth=1
	s_or_b64 exec, exec, s[12:13]
	s_waitcnt lgkmcnt(0)
	s_barrier
	s_and_saveexec_b64 s[12:13], s[10:11]
	s_cbranch_execz .LBB95_25
; %bb.24:                               ;   in Loop: Header=BB95_11 Depth=1
	ds_read2_b64 v[2:5], v14 offset0:1 offset1:2
	ds_read_b64 v[6:7], v14 offset:24
	ds_read_b64 v[8:9], v18
	s_waitcnt lgkmcnt(2)
	v_add_f64 v[2:3], v[2:3], v[4:5]
	s_waitcnt lgkmcnt(1)
	v_add_f64 v[2:3], v[2:3], v[6:7]
	;; [unrolled: 2-line block ×3, first 2 shown]
	ds_write_b64 v18, v[2:3]
.LBB95_25:                              ;   in Loop: Header=BB95_11 Depth=1
	s_or_b64 exec, exec, s[12:13]
	s_waitcnt lgkmcnt(0)
	s_barrier
	s_and_saveexec_b64 s[12:13], s[10:11]
	s_cbranch_execz .LBB95_10
; %bb.26:                               ;   in Loop: Header=BB95_11 Depth=1
	ds_read_b64 v[2:3], v14
	v_mov_b32_e32 v6, 0
	s_mov_b64 s[42:43], exec
	v_bfrev_b32_e32 v7, 1
	s_waitcnt lgkmcnt(0)
	v_mul_f64 v[2:3], v[10:11], v[2:3]
.LBB95_27:                              ;   Parent Loop BB95_11 Depth=1
                                        ; =>  This Inner Loop Header: Depth=2
	s_ff1_i32_b64 s46, s[42:43]
	v_readlane_b32 s45, v3, s46
	v_readlane_b32 s44, v2, s46
	s_lshl_b64 s[46:47], 1, s46
	s_andn2_b64 s[42:43], s[42:43], s[46:47]
	s_cmp_lg_u64 s[42:43], 0
	v_add_f64 v[6:7], v[6:7], s[44:45]
	s_cbranch_scc1 .LBB95_27
; %bb.28:                               ;   in Loop: Header=BB95_11 Depth=1
	v_mbcnt_lo_u32_b32 v2, exec_lo, 0
	v_mbcnt_hi_u32_b32 v2, exec_hi, v2
	v_cmp_eq_u32_e32 vcc, 0, v2
	s_and_saveexec_b64 s[42:43], vcc
	s_xor_b64 s[42:43], exec, s[42:43]
	s_cbranch_execz .LBB95_10
; %bb.29:                               ;   in Loop: Header=BB95_11 Depth=1
	s_add_u32 s40, s14, s40
	s_addc_u32 s41, s15, s41
	global_load_dwordx2 v[4:5], v14, s[40:41]
	s_mov_b64 s[42:43], 0
.LBB95_30:                              ;   Parent Loop BB95_11 Depth=1
                                        ; =>  This Inner Loop Header: Depth=2
	s_waitcnt vmcnt(0)
	v_add_f64 v[2:3], v[4:5], v[6:7]
	global_atomic_cmpswap_x2 v[2:3], v14, v[2:5], s[40:41] glc
	s_waitcnt vmcnt(0)
	v_cmp_eq_u64_e32 vcc, v[2:3], v[4:5]
	s_or_b64 s[42:43], vcc, s[42:43]
	v_pk_mov_b32 v[4:5], v[2:3], v[2:3] op_sel:[0,1]
	s_andn2_b64 exec, exec, s[42:43]
	s_cbranch_execnz .LBB95_30
; %bb.31:                               ;   in Loop: Header=BB95_11 Depth=1
	s_or_b64 exec, exec, s[42:43]
	s_branch .LBB95_10
.LBB95_32:
	s_lshl_b64 s[0:1], s[26:27], 3
	s_add_u32 s0, s16, s0
	s_addc_u32 s1, s17, s1
	s_load_dwordx2 s[0:1], s[0:1], 0x0
	s_waitcnt lgkmcnt(0)
	v_mov_b32_e32 v2, s35
	v_add_co_u32_e32 v6, vcc, s34, v1
	v_addc_co_u32_e32 v7, vcc, v2, v12, vcc
	s_sub_u32 s6, s0, s30
	s_subb_u32 s7, s1, 0
	v_cmp_gt_i64_e32 vcc, s[6:7], v[6:7]
	s_and_saveexec_b64 s[8:9], vcc
	s_cbranch_execz .LBB95_42
; %bb.33:
	s_add_u32 s10, s26, -1
	s_addc_u32 s11, s27, -1
	s_add_u32 s0, s26, -2
	s_addc_u32 s1, s27, -1
	v_pk_mov_b32 v[2:3], s[24:25], s[24:25] op_sel:[0,1]
	s_cmp_lg_u64 s[0:1], s[24:25]
	v_cmp_gt_i64_e32 vcc, s[10:11], v[2:3]
	s_cselect_b64 s[0:1], -1, 0
	s_and_b64 s[0:1], vcc, s[0:1]
	v_cndmask_b32_e64 v1, 0, 1, s[0:1]
	s_mov_b64 s[12:13], 0
	v_cmp_ne_u32_e64 s[0:1], 1, v1
	v_mov_b32_e32 v1, s17
	v_mov_b32_e32 v14, s31
	;; [unrolled: 1-line block ×3, first 2 shown]
	s_branch .LBB95_35
.LBB95_34:                              ;   in Loop: Header=BB95_35 Depth=1
	s_or_b64 exec, exec, s[2:3]
	v_add_co_u32_e32 v6, vcc, 0x100, v6
	v_addc_co_u32_e32 v7, vcc, 0, v7, vcc
	v_cmp_le_i64_e32 vcc, s[6:7], v[6:7]
	s_or_b64 s[12:13], vcc, s[12:13]
	s_andn2_b64 exec, exec, s[12:13]
	s_cbranch_execz .LBB95_42
.LBB95_35:                              ; =>This Loop Header: Depth=1
                                        ;     Child Loop BB95_37 Depth 2
                                        ;     Child Loop BB95_41 Depth 2
	s_and_b64 vcc, exec, s[0:1]
	v_pk_mov_b32 v[2:3], s[24:25], s[24:25] op_sel:[0,1]
	v_pk_mov_b32 v[4:5], s[10:11], s[10:11] op_sel:[0,1]
	s_cbranch_vccnz .LBB95_39
; %bb.36:                               ;   in Loop: Header=BB95_35 Depth=1
	s_mov_b64 s[34:35], 0
	v_pk_mov_b32 v[2:3], s[24:25], s[24:25] op_sel:[0,1]
	v_pk_mov_b32 v[4:5], s[10:11], s[10:11] op_sel:[0,1]
.LBB95_37:                              ;   Parent Loop BB95_35 Depth=1
                                        ; =>  This Inner Loop Header: Depth=2
	v_add_co_u32_e32 v8, vcc, v4, v2
	v_addc_co_u32_e32 v9, vcc, v5, v3, vcc
	v_lshrrev_b32_e32 v12, 31, v9
	v_add_co_u32_e32 v8, vcc, v8, v12
	v_addc_co_u32_e32 v9, vcc, 0, v9, vcc
	v_ashrrev_i64 v[8:9], 1, v[8:9]
	v_lshlrev_b64 v[12:13], 3, v[8:9]
	v_mov_b32_e32 v16, s17
	v_add_co_u32_e32 v12, vcc, s16, v12
	v_addc_co_u32_e32 v13, vcc, v16, v13, vcc
	global_load_dwordx2 v[12:13], v[12:13], off
	v_mov_b32_e32 v16, s31
	s_waitcnt vmcnt(0)
	v_subrev_co_u32_e32 v12, vcc, s30, v12
	v_subb_co_u32_e32 v13, vcc, v13, v16, vcc
	v_cmp_gt_i64_e32 vcc, v[12:13], v[6:7]
	v_cndmask_b32_e32 v4, v4, v8, vcc
	v_cndmask_b32_e32 v5, v5, v9, vcc
	;; [unrolled: 1-line block ×3, first 2 shown]
	v_add_co_u32_e64 v8, s[2:3], -1, v4
	v_cndmask_b32_e32 v3, v9, v3, vcc
	v_addc_co_u32_e64 v9, s[2:3], -1, v5, s[2:3]
	v_cmp_ge_i64_e32 vcc, v[2:3], v[4:5]
	v_cmp_eq_u64_e64 s[2:3], v[2:3], v[8:9]
	s_or_b64 s[2:3], vcc, s[2:3]
	s_and_b64 s[2:3], exec, s[2:3]
	s_or_b64 s[34:35], s[2:3], s[34:35]
	s_andn2_b64 exec, exec, s[34:35]
	s_cbranch_execnz .LBB95_37
; %bb.38:                               ;   in Loop: Header=BB95_35 Depth=1
	s_or_b64 exec, exec, s[34:35]
.LBB95_39:                              ;   in Loop: Header=BB95_35 Depth=1
	v_lshlrev_b64 v[8:9], 3, v[4:5]
	v_add_co_u32_e32 v8, vcc, s16, v8
	v_addc_co_u32_e32 v9, vcc, v1, v9, vcc
	global_load_dwordx2 v[12:13], v[8:9], off
	v_lshlrev_b64 v[8:9], 2, v[6:7]
	v_add_co_u32_e32 v16, vcc, s18, v8
	v_addc_co_u32_e32 v17, vcc, v15, v9, vcc
	global_load_dword v19, v[16:17], off
	s_waitcnt vmcnt(1)
	v_subrev_co_u32_e32 v16, vcc, s30, v12
	v_subb_co_u32_e32 v17, vcc, v13, v14, vcc
	v_cmp_gt_i64_e32 vcc, v[16:17], v[6:7]
	v_cndmask_b32_e32 v3, v5, v3, vcc
	s_waitcnt vmcnt(0)
	v_subrev_u32_e32 v12, s30, v19
	v_cndmask_b32_e32 v2, v4, v2, vcc
	v_ashrrev_i32_e32 v13, 31, v12
	v_cmp_ne_u64_e32 vcc, v[2:3], v[12:13]
	s_and_saveexec_b64 s[2:3], vcc
	s_cbranch_execz .LBB95_34
; %bb.40:                               ;   in Loop: Header=BB95_35 Depth=1
	v_lshlrev_b64 v[4:5], 3, v[12:13]
	v_mov_b32_e32 v13, s21
	v_add_co_u32_e32 v8, vcc, s20, v8
	v_addc_co_u32_e32 v9, vcc, v13, v9, vcc
	v_lshlrev_b64 v[2:3], 3, v[2:3]
	global_load_dword v13, v[8:9], off
	v_mov_b32_e32 v8, s23
	v_add_co_u32_e32 v2, vcc, s22, v2
	v_addc_co_u32_e32 v3, vcc, v8, v3, vcc
	v_mov_b32_e32 v12, s15
	v_add_co_u32_e32 v8, vcc, s14, v4
	global_load_dwordx2 v[2:3], v[2:3], off
	v_addc_co_u32_e32 v9, vcc, v12, v5, vcc
	global_load_dwordx2 v[4:5], v[8:9], off
	s_mov_b64 s[34:35], 0
	s_waitcnt vmcnt(2)
	v_cvt_f64_f32_e32 v[12:13], v13
	v_mul_f64 v[12:13], v[10:11], v[12:13]
	s_waitcnt vmcnt(1)
	v_mul_f64 v[12:13], v[2:3], v[12:13]
.LBB95_41:                              ;   Parent Loop BB95_35 Depth=1
                                        ; =>  This Inner Loop Header: Depth=2
	s_waitcnt vmcnt(0)
	v_add_f64 v[2:3], v[4:5], v[12:13]
	global_atomic_cmpswap_x2 v[2:3], v[8:9], v[2:5], off glc
	s_waitcnt vmcnt(0)
	v_cmp_eq_u64_e32 vcc, v[2:3], v[4:5]
	s_or_b64 s[34:35], vcc, s[34:35]
	v_pk_mov_b32 v[4:5], v[2:3], v[2:3] op_sel:[0,1]
	s_andn2_b64 exec, exec, s[34:35]
	s_cbranch_execnz .LBB95_41
	s_branch .LBB95_34
.LBB95_42:
	s_or_b64 exec, exec, s[8:9]
	s_mov_b64 s[0:1], 0
.LBB95_43:
	s_and_b64 vcc, exec, s[0:1]
	s_cbranch_vccz .LBB95_170
; %bb.44:
	s_load_dword s0, s[4:5], 0x6c
	s_mov_b32 s31, 0
	v_pk_mov_b32 v[2:3], s[28:29], s[28:29] op_sel:[0,1]
	s_mov_b32 s13, s31
	s_mov_b64 s[34:35], 0
	s_waitcnt lgkmcnt(0)
	s_and_b32 s12, s0, 0xffff
	v_cmp_lt_u64_e32 vcc, s[12:13], v[2:3]
	s_cbranch_vccnz .LBB95_46
; %bb.45:
	v_cvt_f32_u32_e32 v1, s28
	s_sub_i32 s0, 0, s28
	v_rcp_iflag_f32_e32 v1, v1
	v_mul_f32_e32 v1, 0x4f7ffffe, v1
	v_cvt_u32_f32_e32 v1, v1
	v_readfirstlane_b32 s1, v1
	s_mul_i32 s0, s0, s1
	s_mul_hi_u32 s0, s1, s0
	s_add_i32 s1, s1, s0
	s_mul_hi_u32 s0, s12, s1
	s_mul_i32 s2, s0, s28
	s_sub_i32 s2, s12, s2
	s_add_i32 s1, s0, 1
	s_sub_i32 s3, s2, s28
	s_cmp_ge_u32 s2, s28
	s_cselect_b32 s0, s1, s0
	s_cselect_b32 s2, s3, s2
	s_add_i32 s1, s0, 1
	s_cmp_ge_u32 s2, s28
	s_cselect_b32 s34, s1, s0
.LBB95_46:
	s_lshl_b64 s[0:1], s[24:25], 3
	s_add_u32 s10, s16, s0
	s_addc_u32 s11, s17, s1
	s_load_dwordx2 s[8:9], s[10:11], 0x0
	v_subrev_co_u32_e32 v2, vcc, s30, v0
	s_load_dwordx4 s[4:7], s[4:5], 0x8
	v_subb_co_u32_e64 v3, s[0:1], 0, 0, vcc
	s_waitcnt lgkmcnt(0)
	v_mov_b32_e32 v4, s9
	v_add_co_u32_e32 v6, vcc, s8, v2
	v_addc_co_u32_e32 v7, vcc, v4, v3, vcc
	v_add_co_u32_e32 v8, vcc, 0x300, v6
	v_addc_co_u32_e32 v9, vcc, 0, v7, vcc
	v_mov_b32_e32 v1, 0
	v_cmp_le_i64_e64 s[0:1], s[4:5], v[8:9]
	s_and_saveexec_b64 s[2:3], s[0:1]
	s_xor_b64 s[2:3], exec, s[2:3]
	s_cbranch_execnz .LBB95_49
; %bb.47:
	s_or_saveexec_b64 s[2:3], s[2:3]
	v_lshlrev_b64 v[2:3], 2, v[6:7]
	s_xor_b64 exec, exec, s[2:3]
	s_cbranch_execnz .LBB95_53
.LBB95_48:
	s_or_b64 exec, exec, s[2:3]
	v_cmp_gt_i64_e32 vcc, s[6:7], v[0:1]
	s_and_saveexec_b64 s[2:3], vcc
	s_cbranch_execnz .LBB95_54
	s_branch .LBB95_56
.LBB95_49:
	s_lshl_b64 s[4:5], s[26:27], 3
	s_add_u32 s4, s16, s4
	s_addc_u32 s5, s17, s5
	s_load_dwordx2 s[4:5], s[4:5], 0x0
	s_waitcnt lgkmcnt(0)
	s_sub_u32 s4, s4, s8
	s_subb_u32 s5, s5, s9
	v_cmp_gt_i64_e32 vcc, s[4:5], v[0:1]
	s_and_saveexec_b64 s[36:37], vcc
	s_cbranch_execz .LBB95_52
; %bb.50:
	v_lshlrev_b64 v[2:3], 2, v[6:7]
	v_mov_b32_e32 v4, s21
	v_add_co_u32_e32 v2, vcc, s20, v2
	v_addc_co_u32_e32 v3, vcc, v4, v3, vcc
	s_mov_b64 s[38:39], 0
	v_mov_b32_e32 v12, v18
	v_pk_mov_b32 v[4:5], v[0:1], v[0:1] op_sel:[0,1]
.LBB95_51:                              ; =>This Inner Loop Header: Depth=1
	global_load_dword v13, v[2:3], off
	v_add_co_u32_e32 v2, vcc, 0x400, v2
	v_addc_co_u32_e32 v3, vcc, 0, v3, vcc
	v_add_co_u32_e32 v4, vcc, 0x100, v4
	v_addc_co_u32_e32 v5, vcc, 0, v5, vcc
	v_cmp_le_i64_e32 vcc, s[4:5], v[4:5]
	s_or_b64 s[38:39], vcc, s[38:39]
	s_waitcnt vmcnt(0)
	v_cvt_f64_f32_e32 v[14:15], v13
	v_mul_f64 v[14:15], v[10:11], v[14:15]
	ds_write_b64 v12, v[14:15]
	v_add_u32_e32 v12, 0x800, v12
	s_andn2_b64 exec, exec, s[38:39]
	s_cbranch_execnz .LBB95_51
.LBB95_52:
	s_or_b64 exec, exec, s[36:37]
                                        ; implicit-def: $vgpr10_vgpr11
	s_or_saveexec_b64 s[2:3], s[2:3]
	v_lshlrev_b64 v[2:3], 2, v[6:7]
	s_xor_b64 exec, exec, s[2:3]
	s_cbranch_execz .LBB95_48
.LBB95_53:
	v_mov_b32_e32 v5, s21
	v_add_co_u32_e32 v4, vcc, s20, v2
	v_addc_co_u32_e32 v5, vcc, v5, v3, vcc
	global_load_dword v12, v[4:5], off
	global_load_dword v13, v[4:5], off offset:1024
	global_load_dword v14, v[4:5], off offset:2048
	;; [unrolled: 1-line block ×3, first 2 shown]
	s_waitcnt vmcnt(3)
	v_cvt_f64_f32_e32 v[4:5], v12
	s_waitcnt vmcnt(2)
	v_cvt_f64_f32_e32 v[12:13], v13
	;; [unrolled: 2-line block ×4, first 2 shown]
	v_mul_f64 v[4:5], v[10:11], v[4:5]
	v_mul_f64 v[12:13], v[10:11], v[12:13]
	;; [unrolled: 1-line block ×4, first 2 shown]
	ds_write2st64_b64 v18, v[4:5], v[12:13] offset1:4
	ds_write2st64_b64 v18, v[14:15], v[10:11] offset0:8 offset1:12
	s_or_b64 exec, exec, s[2:3]
	v_cmp_gt_i64_e32 vcc, s[6:7], v[0:1]
	s_and_saveexec_b64 s[2:3], vcc
	s_cbranch_execz .LBB95_56
.LBB95_54:
	v_mov_b32_e32 v4, 0x2000
	v_lshl_add_u32 v12, v0, 3, v4
	v_mov_b32_e32 v4, 0
	s_mov_b64 s[4:5], 0
	v_mov_b32_e32 v5, v4
	v_pk_mov_b32 v[10:11], v[0:1], v[0:1] op_sel:[0,1]
.LBB95_55:                              ; =>This Inner Loop Header: Depth=1
	v_add_co_u32_e32 v10, vcc, 0x100, v10
	v_addc_co_u32_e32 v11, vcc, 0, v11, vcc
	v_cmp_le_i64_e32 vcc, s[6:7], v[10:11]
	ds_write_b64 v12, v[4:5]
	s_or_b64 s[4:5], vcc, s[4:5]
	v_add_u32_e32 v12, 0x800, v12
	s_andn2_b64 exec, exec, s[4:5]
	s_cbranch_execnz .LBB95_55
.LBB95_56:
	s_or_b64 exec, exec, s[2:3]
	s_sub_u32 s4, s26, s6
	v_pk_mov_b32 v[4:5], s[6:7], s[6:7] op_sel:[0,1]
	s_subb_u32 s5, s27, s7
	v_cmp_ge_i64_e32 vcc, s[26:27], v[4:5]
	s_and_b64 s[2:3], vcc, exec
	s_cselect_b32 s5, s5, 0
	s_cselect_b32 s4, s4, 0
	s_waitcnt lgkmcnt(0)
	s_barrier
	s_and_saveexec_b64 s[2:3], s[0:1]
	s_xor_b64 s[20:21], exec, s[2:3]
	s_cbranch_execz .LBB95_75
; %bb.57:
	s_lshl_b64 s[0:1], s[26:27], 3
	s_add_u32 s0, s16, s0
	s_addc_u32 s1, s17, s1
	s_load_dwordx2 s[0:1], s[0:1], 0x0
	s_waitcnt lgkmcnt(0)
	s_sub_u32 s36, s0, s8
	s_subb_u32 s37, s1, s9
	v_cmp_gt_i64_e32 vcc, s[36:37], v[0:1]
	s_and_saveexec_b64 s[38:39], vcc
	s_cbranch_execz .LBB95_74
; %bb.58:
	s_add_u32 s40, s26, -1
	s_addc_u32 s41, s27, -1
	s_add_u32 s2, s26, -2
	s_addc_u32 s3, s27, -1
	v_pk_mov_b32 v[2:3], s[24:25], s[24:25] op_sel:[0,1]
	s_cmp_lg_u64 s[2:3], s[24:25]
	v_cmp_gt_i64_e32 vcc, s[40:41], v[2:3]
	s_cselect_b64 s[2:3], -1, 0
	s_and_b64 s[2:3], vcc, s[2:3]
	s_sub_u32 s42, s0, s30
	v_cndmask_b32_e64 v2, 0, 1, s[2:3]
	s_subb_u32 s43, s1, 0
	s_mov_b64 s[44:45], 0
	v_cmp_ne_u32_e64 s[0:1], 1, v2
	v_mov_b32_e32 v16, s17
	v_mov_b32_e32 v17, s31
	;; [unrolled: 1-line block ×4, first 2 shown]
	s_mov_b64 s[46:47], 0
	s_branch .LBB95_61
.LBB95_59:                              ;   in Loop: Header=BB95_61 Depth=1
	s_or_b64 exec, exec, s[2:3]
.LBB95_60:                              ;   in Loop: Header=BB95_61 Depth=1
	s_or_b64 exec, exec, s[48:49]
	v_lshlrev_b64 v[2:3], 3, v[8:9]
	v_mov_b32_e32 v4, s23
	v_add_co_u32_e32 v2, vcc, s22, v2
	v_addc_co_u32_e32 v3, vcc, v4, v3, vcc
	global_load_dwordx2 v[2:3], v[2:3], off
	s_add_u32 s46, s46, 0x100
	s_addc_u32 s47, s47, 0
	v_mov_b32_e32 v5, s47
	v_add_co_u32_e32 v4, vcc, s46, v0
	v_addc_co_u32_e32 v5, vcc, 0, v5, vcc
	v_cmp_le_i64_e32 vcc, s[36:37], v[4:5]
	v_lshlrev_b32_e32 v8, 3, v21
	s_or_b64 s[44:45], vcc, s[44:45]
	s_waitcnt vmcnt(0) lgkmcnt(0)
	v_mul_f64 v[2:3], v[2:3], v[10:11]
	ds_write_b64 v8, v[2:3]
	s_andn2_b64 exec, exec, s[44:45]
	s_cbranch_execz .LBB95_74
.LBB95_61:                              ; =>This Loop Header: Depth=1
                                        ;     Child Loop BB95_63 Depth 2
                                        ;     Child Loop BB95_70 Depth 2
	v_mov_b32_e32 v3, s47
	v_add_co_u32_e32 v2, vcc, s46, v6
	v_addc_co_u32_e32 v3, vcc, v3, v7, vcc
	s_and_b64 vcc, exec, s[0:1]
	v_pk_mov_b32 v[4:5], s[24:25], s[24:25] op_sel:[0,1]
	v_pk_mov_b32 v[10:11], s[40:41], s[40:41] op_sel:[0,1]
	s_cbranch_vccnz .LBB95_65
; %bb.62:                               ;   in Loop: Header=BB95_61 Depth=1
	s_mov_b64 s[48:49], 0
	v_pk_mov_b32 v[4:5], s[24:25], s[24:25] op_sel:[0,1]
	v_pk_mov_b32 v[10:11], s[40:41], s[40:41] op_sel:[0,1]
.LBB95_63:                              ;   Parent Loop BB95_61 Depth=1
                                        ; =>  This Inner Loop Header: Depth=2
	v_add_co_u32_e32 v8, vcc, v10, v4
	v_addc_co_u32_e32 v9, vcc, v11, v5, vcc
	v_lshrrev_b32_e32 v12, 31, v9
	v_add_co_u32_e32 v8, vcc, v8, v12
	v_addc_co_u32_e32 v9, vcc, 0, v9, vcc
	v_ashrrev_i64 v[8:9], 1, v[8:9]
	v_lshlrev_b64 v[12:13], 3, v[8:9]
	v_mov_b32_e32 v14, s17
	v_add_co_u32_e32 v12, vcc, s16, v12
	v_addc_co_u32_e32 v13, vcc, v14, v13, vcc
	global_load_dwordx2 v[12:13], v[12:13], off
	v_mov_b32_e32 v14, s31
	s_waitcnt vmcnt(0)
	v_subrev_co_u32_e32 v12, vcc, s30, v12
	v_subb_co_u32_e32 v13, vcc, v13, v14, vcc
	v_cmp_gt_i64_e32 vcc, v[12:13], v[2:3]
	v_cndmask_b32_e32 v10, v10, v8, vcc
	v_cndmask_b32_e32 v11, v11, v9, vcc
	;; [unrolled: 1-line block ×3, first 2 shown]
	v_add_co_u32_e64 v8, s[2:3], -1, v10
	v_cndmask_b32_e32 v5, v9, v5, vcc
	v_addc_co_u32_e64 v9, s[2:3], -1, v11, s[2:3]
	v_cmp_ge_i64_e32 vcc, v[4:5], v[10:11]
	v_cmp_eq_u64_e64 s[2:3], v[4:5], v[8:9]
	s_or_b64 s[2:3], vcc, s[2:3]
	s_and_b64 s[2:3], exec, s[2:3]
	s_or_b64 s[48:49], s[2:3], s[48:49]
	s_andn2_b64 exec, exec, s[48:49]
	s_cbranch_execnz .LBB95_63
; %bb.64:                               ;   in Loop: Header=BB95_61 Depth=1
	s_or_b64 exec, exec, s[48:49]
.LBB95_65:                              ;   in Loop: Header=BB95_61 Depth=1
	v_lshlrev_b64 v[8:9], 3, v[10:11]
	v_add_co_u32_e32 v8, vcc, s16, v8
	v_addc_co_u32_e32 v9, vcc, v16, v9, vcc
	v_lshlrev_b64 v[12:13], 2, v[2:3]
	global_load_dwordx2 v[8:9], v[8:9], off
	v_add_co_u32_e32 v12, vcc, s18, v12
	v_addc_co_u32_e32 v13, vcc, v19, v13, vcc
	global_load_dword v14, v[12:13], off
	v_add_co_u32_e32 v21, vcc, s46, v0
	v_cmp_le_i64_e32 vcc, s[42:43], v[2:3]
	s_waitcnt vmcnt(1)
	v_subrev_co_u32_e64 v12, s[2:3], s30, v8
	v_subb_co_u32_e64 v13, s[2:3], v9, v17, s[2:3]
	v_cmp_gt_i64_e64 s[2:3], v[12:13], v[2:3]
	s_waitcnt vmcnt(0)
	v_subrev_u32_e32 v8, s30, v14
	v_cndmask_b32_e64 v3, v11, v5, s[2:3]
	v_ashrrev_i32_e32 v9, 31, v8
	v_cndmask_b32_e64 v2, v10, v4, s[2:3]
	v_cmp_eq_u64_e64 s[2:3], v[2:3], v[8:9]
	s_or_b64 s[2:3], s[2:3], vcc
	v_lshlrev_b32_e32 v14, 3, v21
                                        ; implicit-def: $vgpr10_vgpr11
	s_and_saveexec_b64 s[48:49], s[2:3]
	s_xor_b64 s[2:3], exec, s[48:49]
	s_cbranch_execz .LBB95_67
; %bb.66:                               ;   in Loop: Header=BB95_61 Depth=1
	ds_read_b64 v[10:11], v14
                                        ; implicit-def: $vgpr14
                                        ; implicit-def: $vgpr2_vgpr3
.LBB95_67:                              ;   in Loop: Header=BB95_61 Depth=1
	s_andn2_saveexec_b64 s[48:49], s[2:3]
	s_cbranch_execz .LBB95_60
; %bb.68:                               ;   in Loop: Header=BB95_61 Depth=1
	v_cmp_gt_i64_e32 vcc, s[4:5], v[8:9]
	v_cmp_le_i64_e64 s[2:3], s[26:27], v[8:9]
	s_or_b64 s[2:3], vcc, s[2:3]
	v_lshlrev_b64 v[2:3], 3, v[2:3]
                                        ; implicit-def: $vgpr10_vgpr11
	s_and_saveexec_b64 s[50:51], s[2:3]
	s_xor_b64 s[2:3], exec, s[50:51]
	s_cbranch_execz .LBB95_72
; %bb.69:                               ;   in Loop: Header=BB95_61 Depth=1
	s_waitcnt lgkmcnt(0)
	v_mov_b32_e32 v11, s23
	v_add_co_u32_e32 v2, vcc, s22, v2
	v_lshlrev_b64 v[4:5], 3, v[8:9]
	v_addc_co_u32_e32 v3, vcc, v11, v3, vcc
	v_mov_b32_e32 v10, s15
	v_add_co_u32_e32 v12, vcc, s14, v4
	global_load_dwordx2 v[2:3], v[2:3], off
	v_addc_co_u32_e32 v13, vcc, v10, v5, vcc
	global_load_dwordx2 v[4:5], v[12:13], off
	ds_read_b64 v[10:11], v14
	s_mov_b64 s[50:51], 0
	s_waitcnt vmcnt(1) lgkmcnt(0)
	v_mul_f64 v[14:15], v[10:11], v[2:3]
.LBB95_70:                              ;   Parent Loop BB95_61 Depth=1
                                        ; =>  This Inner Loop Header: Depth=2
	s_waitcnt vmcnt(0)
	v_add_f64 v[2:3], v[4:5], v[14:15]
	global_atomic_cmpswap_x2 v[2:3], v[12:13], v[2:5], off glc
	s_waitcnt vmcnt(0)
	v_cmp_eq_u64_e32 vcc, v[2:3], v[4:5]
	s_or_b64 s[50:51], vcc, s[50:51]
	v_pk_mov_b32 v[4:5], v[2:3], v[2:3] op_sel:[0,1]
	s_andn2_b64 exec, exec, s[50:51]
	s_cbranch_execnz .LBB95_70
; %bb.71:                               ;   in Loop: Header=BB95_61 Depth=1
	s_or_b64 exec, exec, s[50:51]
                                        ; implicit-def: $vgpr14
                                        ; implicit-def: $vgpr2_vgpr3
.LBB95_72:                              ;   in Loop: Header=BB95_61 Depth=1
	s_andn2_saveexec_b64 s[2:3], s[2:3]
	s_cbranch_execz .LBB95_59
; %bb.73:                               ;   in Loop: Header=BB95_61 Depth=1
	v_mov_b32_e32 v4, s23
	v_add_co_u32_e32 v2, vcc, s22, v2
	v_addc_co_u32_e32 v3, vcc, v4, v3, vcc
	global_load_dwordx2 v[2:3], v[2:3], off
	s_waitcnt lgkmcnt(0)
	ds_read_b64 v[10:11], v14
	v_subrev_u32_e32 v4, s4, v8
	v_lshl_add_u32 v4, v4, 3, v20
	s_waitcnt vmcnt(0) lgkmcnt(0)
	v_mul_f64 v[2:3], v[10:11], v[2:3]
	ds_add_f64 v4, v[2:3]
	s_branch .LBB95_59
.LBB95_74:
	s_or_b64 exec, exec, s[38:39]
                                        ; implicit-def: $vgpr8_vgpr9
                                        ; implicit-def: $vgpr6
                                        ; implicit-def: $vgpr2_vgpr3
.LBB95_75:
	s_andn2_saveexec_b64 s[20:21], s[20:21]
	s_cbranch_execz .LBB95_125
; %bb.76:
	s_add_u32 s36, s26, -1
	s_addc_u32 s37, s27, -1
	s_add_u32 s0, s26, -2
	s_addc_u32 s1, s27, -1
	v_pk_mov_b32 v[4:5], s[24:25], s[24:25] op_sel:[0,1]
	s_cmp_eq_u64 s[0:1], s[24:25]
	v_cmp_le_i64_e32 vcc, s[36:37], v[4:5]
	s_cselect_b64 s[0:1], -1, 0
	s_or_b64 s[2:3], vcc, s[0:1]
	s_and_b64 vcc, exec, s[2:3]
	v_pk_mov_b32 v[14:15], s[36:37], s[36:37] op_sel:[0,1]
	s_cbranch_vccnz .LBB95_80
; %bb.77:
	s_mov_b64 s[38:39], 0
	v_pk_mov_b32 v[4:5], s[24:25], s[24:25] op_sel:[0,1]
	v_pk_mov_b32 v[14:15], s[36:37], s[36:37] op_sel:[0,1]
	v_mov_b32_e32 v10, s17
	v_mov_b32_e32 v11, s31
.LBB95_78:                              ; =>This Inner Loop Header: Depth=1
	v_add_co_u32_e32 v12, vcc, v14, v4
	v_addc_co_u32_e32 v13, vcc, v15, v5, vcc
	v_lshrrev_b32_e32 v16, 31, v13
	v_add_co_u32_e32 v12, vcc, v12, v16
	v_addc_co_u32_e32 v13, vcc, 0, v13, vcc
	v_ashrrev_i64 v[12:13], 1, v[12:13]
	v_lshlrev_b64 v[16:17], 3, v[12:13]
	v_add_co_u32_e32 v16, vcc, s16, v16
	v_addc_co_u32_e32 v17, vcc, v10, v17, vcc
	global_load_dwordx2 v[16:17], v[16:17], off
	s_waitcnt vmcnt(0)
	v_subrev_co_u32_e32 v16, vcc, s30, v16
	v_subb_co_u32_e32 v17, vcc, v17, v11, vcc
	v_cmp_gt_i64_e32 vcc, v[16:17], v[6:7]
	v_cndmask_b32_e32 v14, v14, v12, vcc
	v_cndmask_b32_e32 v15, v15, v13, vcc
	;; [unrolled: 1-line block ×3, first 2 shown]
	v_add_co_u32_e64 v12, s[0:1], -1, v14
	v_cndmask_b32_e32 v5, v13, v5, vcc
	v_addc_co_u32_e64 v13, s[0:1], -1, v15, s[0:1]
	v_cmp_ge_i64_e32 vcc, v[4:5], v[14:15]
	v_cmp_eq_u64_e64 s[0:1], v[4:5], v[12:13]
	s_or_b64 s[0:1], vcc, s[0:1]
	s_and_b64 s[0:1], exec, s[0:1]
	s_or_b64 s[38:39], s[0:1], s[38:39]
	s_andn2_b64 exec, exec, s[38:39]
	s_cbranch_execnz .LBB95_78
; %bb.79:
	s_or_b64 exec, exec, s[38:39]
.LBB95_80:
	v_lshlrev_b64 v[10:11], 3, v[14:15]
	v_mov_b32_e32 v12, s17
	v_add_co_u32_e32 v10, vcc, s16, v10
	v_addc_co_u32_e32 v11, vcc, v12, v11, vcc
	global_load_dwordx2 v[12:13], v[10:11], off
	v_mov_b32_e32 v11, s19
	v_add_co_u32_e32 v10, vcc, s18, v2
	v_addc_co_u32_e32 v11, vcc, v11, v3, vcc
	global_load_dword v16, v[10:11], off
	v_mov_b32_e32 v3, s31
	s_xor_b64 s[2:3], s[2:3], -1
	s_lshl_b64 s[0:1], s[26:27], 3
	s_add_u32 s18, s16, s0
	s_addc_u32 s19, s17, s1
	s_waitcnt vmcnt(1)
	v_subrev_co_u32_e32 v2, vcc, s30, v12
	v_subb_co_u32_e32 v3, vcc, v13, v3, vcc
	v_cmp_gt_i64_e32 vcc, v[2:3], v[6:7]
	v_cndmask_b32_e32 v3, v15, v5, vcc
	s_waitcnt vmcnt(0)
	v_subrev_u32_e32 v12, s30, v16
	v_cndmask_b32_e32 v2, v14, v4, vcc
	v_ashrrev_i32_e32 v13, 31, v12
	v_cmp_ne_u64_e32 vcc, v[2:3], v[12:13]
	s_and_saveexec_b64 s[38:39], vcc
	s_cbranch_execz .LBB95_88
; %bb.81:
	s_load_dwordx2 s[0:1], s[18:19], 0x0
	s_waitcnt lgkmcnt(0)
	s_sub_u32 s0, s0, s30
	s_subb_u32 s1, s1, 0
	v_cmp_gt_i64_e32 vcc, s[0:1], v[6:7]
	s_and_b64 exec, exec, vcc
	s_cbranch_execz .LBB95_88
; %bb.82:
	v_cmp_gt_i64_e32 vcc, s[4:5], v[12:13]
	v_cmp_le_i64_e64 s[0:1], s[26:27], v[12:13]
	s_or_b64 s[0:1], vcc, s[0:1]
	v_lshlrev_b64 v[2:3], 3, v[2:3]
	s_and_saveexec_b64 s[40:41], s[0:1]
	s_xor_b64 s[0:1], exec, s[40:41]
	s_cbranch_execz .LBB95_86
; %bb.83:
	v_mov_b32_e32 v14, s23
	v_add_co_u32_e32 v2, vcc, s22, v2
	v_lshlrev_b64 v[4:5], 3, v[12:13]
	v_addc_co_u32_e32 v3, vcc, v14, v3, vcc
	v_mov_b32_e32 v15, s15
	v_add_co_u32_e32 v14, vcc, s14, v4
	global_load_dwordx2 v[2:3], v[2:3], off
	v_addc_co_u32_e32 v15, vcc, v15, v5, vcc
	global_load_dwordx2 v[4:5], v[14:15], off
	ds_read_b64 v[16:17], v18
	s_mov_b64 s[40:41], 0
	s_waitcnt vmcnt(1) lgkmcnt(0)
	v_mul_f64 v[16:17], v[16:17], v[2:3]
.LBB95_84:                              ; =>This Inner Loop Header: Depth=1
	s_waitcnt vmcnt(0)
	v_add_f64 v[2:3], v[4:5], v[16:17]
	global_atomic_cmpswap_x2 v[2:3], v[14:15], v[2:5], off glc
	s_waitcnt vmcnt(0)
	v_cmp_eq_u64_e32 vcc, v[2:3], v[4:5]
	s_or_b64 s[40:41], vcc, s[40:41]
	v_pk_mov_b32 v[4:5], v[2:3], v[2:3] op_sel:[0,1]
	s_andn2_b64 exec, exec, s[40:41]
	s_cbranch_execnz .LBB95_84
; %bb.85:
	s_or_b64 exec, exec, s[40:41]
                                        ; implicit-def: $vgpr2_vgpr3
.LBB95_86:
	s_andn2_saveexec_b64 s[0:1], s[0:1]
	s_cbranch_execz .LBB95_88
; %bb.87:
	v_mov_b32_e32 v4, s23
	v_add_co_u32_e32 v2, vcc, s22, v2
	v_addc_co_u32_e32 v3, vcc, v4, v3, vcc
	global_load_dwordx2 v[2:3], v[2:3], off
	ds_read_b64 v[4:5], v18
	v_subrev_u32_e32 v14, s4, v12
	v_mov_b32_e32 v15, 0x2000
	v_lshl_add_u32 v14, v14, 3, v15
	s_waitcnt vmcnt(0) lgkmcnt(0)
	v_mul_f64 v[2:3], v[4:5], v[2:3]
	ds_add_f64 v14, v[2:3]
.LBB95_88:
	s_or_b64 exec, exec, s[38:39]
	v_lshlrev_b64 v[2:3], 3, v[12:13]
	v_mov_b32_e32 v4, s23
	v_add_co_u32_e32 v2, vcc, s22, v2
	v_addc_co_u32_e32 v3, vcc, v4, v3, vcc
	global_load_dwordx2 v[12:13], v[2:3], off
	ds_read_b64 v[14:15], v18
	v_add_co_u32_e32 v2, vcc, 0x100, v6
	v_cndmask_b32_e64 v16, 0, 1, s[2:3]
	v_addc_co_u32_e32 v3, vcc, 0, v7, vcc
	v_pk_mov_b32 v[4:5], s[24:25], s[24:25] op_sel:[0,1]
	v_cmp_ne_u32_e64 s[0:1], 1, v16
	s_andn2_b64 vcc, exec, s[2:3]
	s_waitcnt vmcnt(0) lgkmcnt(0)
	v_mul_f64 v[12:13], v[12:13], v[14:15]
	v_pk_mov_b32 v[14:15], s[36:37], s[36:37] op_sel:[0,1]
	ds_write_b64 v18, v[12:13]
	s_cbranch_vccnz .LBB95_92
; %bb.89:
	s_mov_b64 s[38:39], 0
	v_pk_mov_b32 v[4:5], s[24:25], s[24:25] op_sel:[0,1]
	v_pk_mov_b32 v[14:15], s[36:37], s[36:37] op_sel:[0,1]
	v_mov_b32_e32 v12, s17
	v_mov_b32_e32 v13, s31
.LBB95_90:                              ; =>This Inner Loop Header: Depth=1
	v_add_co_u32_e32 v16, vcc, v14, v4
	v_addc_co_u32_e32 v17, vcc, v15, v5, vcc
	v_lshrrev_b32_e32 v19, 31, v17
	v_add_co_u32_e32 v16, vcc, v16, v19
	v_addc_co_u32_e32 v17, vcc, 0, v17, vcc
	v_ashrrev_i64 v[16:17], 1, v[16:17]
	v_lshlrev_b64 v[20:21], 3, v[16:17]
	v_add_co_u32_e32 v20, vcc, s16, v20
	v_addc_co_u32_e32 v21, vcc, v12, v21, vcc
	global_load_dwordx2 v[20:21], v[20:21], off
	s_waitcnt vmcnt(0)
	v_subrev_co_u32_e32 v20, vcc, s30, v20
	v_subb_co_u32_e32 v21, vcc, v21, v13, vcc
	v_cmp_gt_i64_e32 vcc, v[20:21], v[2:3]
	v_cndmask_b32_e32 v14, v14, v16, vcc
	v_cndmask_b32_e32 v15, v15, v17, vcc
	;; [unrolled: 1-line block ×3, first 2 shown]
	v_add_co_u32_e64 v16, s[2:3], -1, v14
	v_cndmask_b32_e32 v5, v17, v5, vcc
	v_addc_co_u32_e64 v17, s[2:3], -1, v15, s[2:3]
	v_cmp_ge_i64_e32 vcc, v[4:5], v[14:15]
	v_cmp_eq_u64_e64 s[2:3], v[4:5], v[16:17]
	s_or_b64 s[2:3], vcc, s[2:3]
	s_and_b64 s[2:3], exec, s[2:3]
	s_or_b64 s[38:39], s[2:3], s[38:39]
	s_andn2_b64 exec, exec, s[38:39]
	s_cbranch_execnz .LBB95_90
; %bb.91:
	s_or_b64 exec, exec, s[38:39]
.LBB95_92:
	v_lshlrev_b64 v[12:13], 3, v[14:15]
	v_mov_b32_e32 v16, s17
	v_add_co_u32_e32 v12, vcc, s16, v12
	v_addc_co_u32_e32 v13, vcc, v16, v13, vcc
	global_load_dwordx2 v[16:17], v[12:13], off
	global_load_dword v19, v[10:11], off offset:1024
	v_mov_b32_e32 v13, s31
	s_waitcnt vmcnt(1)
	v_subrev_co_u32_e32 v16, vcc, s30, v16
	v_subb_co_u32_e32 v17, vcc, v17, v13, vcc
	s_waitcnt vmcnt(0)
	v_subrev_u32_e32 v12, s30, v19
	v_cmp_gt_i64_e32 vcc, v[16:17], v[2:3]
	v_cndmask_b32_e32 v5, v15, v5, vcc
	v_cndmask_b32_e32 v4, v14, v4, vcc
	v_ashrrev_i32_e32 v13, 31, v12
	v_cmp_ne_u64_e32 vcc, v[4:5], v[12:13]
	s_and_saveexec_b64 s[38:39], vcc
	s_cbranch_execz .LBB95_100
; %bb.93:
	s_load_dwordx2 s[2:3], s[18:19], 0x0
	s_waitcnt lgkmcnt(0)
	s_sub_u32 s2, s2, s30
	s_subb_u32 s3, s3, 0
	v_cmp_gt_i64_e32 vcc, s[2:3], v[2:3]
	s_and_b64 exec, exec, vcc
	s_cbranch_execz .LBB95_100
; %bb.94:
	v_cmp_gt_i64_e32 vcc, s[4:5], v[12:13]
	v_cmp_le_i64_e64 s[2:3], s[26:27], v[12:13]
	s_or_b64 s[2:3], vcc, s[2:3]
	v_lshlrev_b64 v[2:3], 3, v[4:5]
	s_and_saveexec_b64 s[40:41], s[2:3]
	s_xor_b64 s[2:3], exec, s[40:41]
	s_cbranch_execz .LBB95_98
; %bb.95:
	v_mov_b32_e32 v14, s23
	v_add_co_u32_e32 v2, vcc, s22, v2
	v_lshlrev_b64 v[4:5], 3, v[12:13]
	v_addc_co_u32_e32 v3, vcc, v14, v3, vcc
	v_mov_b32_e32 v15, s15
	v_add_co_u32_e32 v14, vcc, s14, v4
	global_load_dwordx2 v[2:3], v[2:3], off
	v_addc_co_u32_e32 v15, vcc, v15, v5, vcc
	global_load_dwordx2 v[4:5], v[14:15], off
	ds_read_b64 v[16:17], v18 offset:2048
	s_mov_b64 s[40:41], 0
	s_waitcnt vmcnt(1) lgkmcnt(0)
	v_mul_f64 v[16:17], v[16:17], v[2:3]
.LBB95_96:                              ; =>This Inner Loop Header: Depth=1
	s_waitcnt vmcnt(0)
	v_add_f64 v[2:3], v[4:5], v[16:17]
	global_atomic_cmpswap_x2 v[2:3], v[14:15], v[2:5], off glc
	s_waitcnt vmcnt(0)
	v_cmp_eq_u64_e32 vcc, v[2:3], v[4:5]
	s_or_b64 s[40:41], vcc, s[40:41]
	v_pk_mov_b32 v[4:5], v[2:3], v[2:3] op_sel:[0,1]
	s_andn2_b64 exec, exec, s[40:41]
	s_cbranch_execnz .LBB95_96
; %bb.97:
	s_or_b64 exec, exec, s[40:41]
                                        ; implicit-def: $vgpr2_vgpr3
.LBB95_98:
	s_andn2_saveexec_b64 s[2:3], s[2:3]
	s_cbranch_execz .LBB95_100
; %bb.99:
	v_mov_b32_e32 v4, s23
	v_add_co_u32_e32 v2, vcc, s22, v2
	v_addc_co_u32_e32 v3, vcc, v4, v3, vcc
	global_load_dwordx2 v[2:3], v[2:3], off
	ds_read_b64 v[4:5], v18 offset:2048
	v_subrev_u32_e32 v14, s4, v12
	v_mov_b32_e32 v15, 0x2000
	v_lshl_add_u32 v14, v14, 3, v15
	s_waitcnt vmcnt(0) lgkmcnt(0)
	v_mul_f64 v[2:3], v[4:5], v[2:3]
	ds_add_f64 v14, v[2:3]
.LBB95_100:
	s_or_b64 exec, exec, s[38:39]
	v_lshlrev_b64 v[2:3], 3, v[12:13]
	v_mov_b32_e32 v4, s23
	v_add_co_u32_e32 v2, vcc, s22, v2
	v_addc_co_u32_e32 v3, vcc, v4, v3, vcc
	global_load_dwordx2 v[12:13], v[2:3], off
	ds_read_b64 v[14:15], v18 offset:2048
	v_add_co_u32_e32 v2, vcc, 0x200, v6
	v_addc_co_u32_e32 v3, vcc, 0, v7, vcc
	v_pk_mov_b32 v[4:5], s[24:25], s[24:25] op_sel:[0,1]
	s_and_b64 vcc, exec, s[0:1]
	s_waitcnt vmcnt(0) lgkmcnt(0)
	v_mul_f64 v[6:7], v[12:13], v[14:15]
	v_pk_mov_b32 v[12:13], s[36:37], s[36:37] op_sel:[0,1]
	ds_write_b64 v18, v[6:7] offset:2048
	s_cbranch_vccnz .LBB95_104
; %bb.101:
	s_mov_b64 s[38:39], 0
	v_pk_mov_b32 v[4:5], s[24:25], s[24:25] op_sel:[0,1]
	v_pk_mov_b32 v[12:13], s[36:37], s[36:37] op_sel:[0,1]
	v_mov_b32_e32 v6, s17
	v_mov_b32_e32 v7, s31
.LBB95_102:                             ; =>This Inner Loop Header: Depth=1
	v_add_co_u32_e32 v14, vcc, v12, v4
	v_addc_co_u32_e32 v15, vcc, v13, v5, vcc
	v_lshrrev_b32_e32 v16, 31, v15
	v_add_co_u32_e32 v14, vcc, v14, v16
	v_addc_co_u32_e32 v15, vcc, 0, v15, vcc
	v_ashrrev_i64 v[14:15], 1, v[14:15]
	v_lshlrev_b64 v[16:17], 3, v[14:15]
	v_add_co_u32_e32 v16, vcc, s16, v16
	v_addc_co_u32_e32 v17, vcc, v6, v17, vcc
	global_load_dwordx2 v[16:17], v[16:17], off
	s_waitcnt vmcnt(0)
	v_subrev_co_u32_e32 v16, vcc, s30, v16
	v_subb_co_u32_e32 v17, vcc, v17, v7, vcc
	v_cmp_gt_i64_e32 vcc, v[16:17], v[2:3]
	v_cndmask_b32_e32 v12, v12, v14, vcc
	v_cndmask_b32_e32 v13, v13, v15, vcc
	;; [unrolled: 1-line block ×3, first 2 shown]
	v_add_co_u32_e64 v14, s[2:3], -1, v12
	v_cndmask_b32_e32 v5, v15, v5, vcc
	v_addc_co_u32_e64 v15, s[2:3], -1, v13, s[2:3]
	v_cmp_ge_i64_e32 vcc, v[4:5], v[12:13]
	v_cmp_eq_u64_e64 s[2:3], v[4:5], v[14:15]
	s_or_b64 s[2:3], vcc, s[2:3]
	s_and_b64 s[2:3], exec, s[2:3]
	s_or_b64 s[38:39], s[2:3], s[38:39]
	s_andn2_b64 exec, exec, s[38:39]
	s_cbranch_execnz .LBB95_102
; %bb.103:
	s_or_b64 exec, exec, s[38:39]
.LBB95_104:
	v_lshlrev_b64 v[6:7], 3, v[12:13]
	v_mov_b32_e32 v14, s17
	v_add_co_u32_e32 v6, vcc, s16, v6
	v_addc_co_u32_e32 v7, vcc, v14, v7, vcc
	global_load_dwordx2 v[14:15], v[6:7], off
	global_load_dword v16, v[10:11], off offset:2048
	v_mov_b32_e32 v7, s31
	s_waitcnt vmcnt(1)
	v_subrev_co_u32_e32 v14, vcc, s30, v14
	v_subb_co_u32_e32 v15, vcc, v15, v7, vcc
	s_waitcnt vmcnt(0)
	v_subrev_u32_e32 v6, s30, v16
	v_cmp_gt_i64_e32 vcc, v[14:15], v[2:3]
	v_cndmask_b32_e32 v5, v13, v5, vcc
	v_cndmask_b32_e32 v4, v12, v4, vcc
	v_ashrrev_i32_e32 v7, 31, v6
	v_cmp_ne_u64_e32 vcc, v[4:5], v[6:7]
	s_and_saveexec_b64 s[38:39], vcc
	s_cbranch_execz .LBB95_112
; %bb.105:
	s_load_dwordx2 s[2:3], s[18:19], 0x0
	s_waitcnt lgkmcnt(0)
	s_sub_u32 s2, s2, s30
	s_subb_u32 s3, s3, 0
	v_cmp_gt_i64_e32 vcc, s[2:3], v[2:3]
	s_and_b64 exec, exec, vcc
	s_cbranch_execz .LBB95_112
; %bb.106:
	v_cmp_gt_i64_e32 vcc, s[4:5], v[6:7]
	v_cmp_le_i64_e64 s[2:3], s[26:27], v[6:7]
	s_or_b64 s[2:3], vcc, s[2:3]
	v_lshlrev_b64 v[2:3], 3, v[4:5]
	s_and_saveexec_b64 s[40:41], s[2:3]
	s_xor_b64 s[2:3], exec, s[40:41]
	s_cbranch_execz .LBB95_110
; %bb.107:
	v_mov_b32_e32 v12, s23
	v_add_co_u32_e32 v2, vcc, s22, v2
	v_lshlrev_b64 v[4:5], 3, v[6:7]
	v_addc_co_u32_e32 v3, vcc, v12, v3, vcc
	v_mov_b32_e32 v13, s15
	v_add_co_u32_e32 v12, vcc, s14, v4
	global_load_dwordx2 v[2:3], v[2:3], off
	v_addc_co_u32_e32 v13, vcc, v13, v5, vcc
	global_load_dwordx2 v[4:5], v[12:13], off
	ds_read_b64 v[14:15], v18 offset:4096
	s_mov_b64 s[40:41], 0
	s_waitcnt vmcnt(1) lgkmcnt(0)
	v_mul_f64 v[14:15], v[14:15], v[2:3]
.LBB95_108:                             ; =>This Inner Loop Header: Depth=1
	s_waitcnt vmcnt(0)
	v_add_f64 v[2:3], v[4:5], v[14:15]
	global_atomic_cmpswap_x2 v[2:3], v[12:13], v[2:5], off glc
	s_waitcnt vmcnt(0)
	v_cmp_eq_u64_e32 vcc, v[2:3], v[4:5]
	s_or_b64 s[40:41], vcc, s[40:41]
	v_pk_mov_b32 v[4:5], v[2:3], v[2:3] op_sel:[0,1]
	s_andn2_b64 exec, exec, s[40:41]
	s_cbranch_execnz .LBB95_108
; %bb.109:
	s_or_b64 exec, exec, s[40:41]
                                        ; implicit-def: $vgpr2_vgpr3
.LBB95_110:
	s_andn2_saveexec_b64 s[2:3], s[2:3]
	s_cbranch_execz .LBB95_112
; %bb.111:
	v_mov_b32_e32 v4, s23
	v_add_co_u32_e32 v2, vcc, s22, v2
	v_addc_co_u32_e32 v3, vcc, v4, v3, vcc
	global_load_dwordx2 v[2:3], v[2:3], off
	ds_read_b64 v[4:5], v18 offset:4096
	v_subrev_u32_e32 v12, s4, v6
	v_mov_b32_e32 v13, 0x2000
	v_lshl_add_u32 v12, v12, 3, v13
	s_waitcnt vmcnt(0) lgkmcnt(0)
	v_mul_f64 v[2:3], v[4:5], v[2:3]
	ds_add_f64 v12, v[2:3]
.LBB95_112:
	s_or_b64 exec, exec, s[38:39]
	v_lshlrev_b64 v[2:3], 3, v[6:7]
	v_mov_b32_e32 v4, s23
	v_add_co_u32_e32 v2, vcc, s22, v2
	v_addc_co_u32_e32 v3, vcc, v4, v3, vcc
	global_load_dwordx2 v[4:5], v[2:3], off
	ds_read_b64 v[6:7], v18 offset:4096
	s_and_b64 vcc, exec, s[0:1]
	v_pk_mov_b32 v[2:3], s[24:25], s[24:25] op_sel:[0,1]
	s_waitcnt vmcnt(0) lgkmcnt(0)
	v_mul_f64 v[4:5], v[4:5], v[6:7]
	ds_write_b64 v18, v[4:5] offset:4096
	v_pk_mov_b32 v[4:5], s[36:37], s[36:37] op_sel:[0,1]
	s_cbranch_vccnz .LBB95_116
; %bb.113:
	s_mov_b64 s[2:3], 0
	v_pk_mov_b32 v[2:3], s[24:25], s[24:25] op_sel:[0,1]
	v_pk_mov_b32 v[4:5], s[36:37], s[36:37] op_sel:[0,1]
	v_mov_b32_e32 v6, s17
	v_mov_b32_e32 v7, s31
.LBB95_114:                             ; =>This Inner Loop Header: Depth=1
	v_add_co_u32_e32 v12, vcc, v4, v2
	v_addc_co_u32_e32 v13, vcc, v5, v3, vcc
	v_lshrrev_b32_e32 v14, 31, v13
	v_add_co_u32_e32 v12, vcc, v12, v14
	v_addc_co_u32_e32 v13, vcc, 0, v13, vcc
	v_ashrrev_i64 v[12:13], 1, v[12:13]
	v_lshlrev_b64 v[14:15], 3, v[12:13]
	v_add_co_u32_e32 v14, vcc, s16, v14
	v_addc_co_u32_e32 v15, vcc, v6, v15, vcc
	global_load_dwordx2 v[14:15], v[14:15], off
	s_waitcnt vmcnt(0)
	v_subrev_co_u32_e32 v14, vcc, s30, v14
	v_subb_co_u32_e32 v15, vcc, v15, v7, vcc
	v_cmp_gt_i64_e32 vcc, v[14:15], v[8:9]
	v_cndmask_b32_e32 v4, v4, v12, vcc
	v_cndmask_b32_e32 v5, v5, v13, vcc
	;; [unrolled: 1-line block ×3, first 2 shown]
	v_add_co_u32_e64 v12, s[0:1], -1, v4
	v_cndmask_b32_e32 v3, v13, v3, vcc
	v_addc_co_u32_e64 v13, s[0:1], -1, v5, s[0:1]
	v_cmp_ge_i64_e32 vcc, v[2:3], v[4:5]
	v_cmp_eq_u64_e64 s[0:1], v[2:3], v[12:13]
	s_or_b64 s[0:1], vcc, s[0:1]
	s_and_b64 s[0:1], exec, s[0:1]
	s_or_b64 s[2:3], s[0:1], s[2:3]
	s_andn2_b64 exec, exec, s[2:3]
	s_cbranch_execnz .LBB95_114
; %bb.115:
	s_or_b64 exec, exec, s[2:3]
.LBB95_116:
	v_lshlrev_b64 v[6:7], 3, v[4:5]
	v_mov_b32_e32 v12, s17
	v_add_co_u32_e32 v6, vcc, s16, v6
	v_addc_co_u32_e32 v7, vcc, v12, v7, vcc
	global_load_dword v13, v[10:11], off offset:3072
	s_nop 0
	global_load_dwordx2 v[10:11], v[6:7], off
	v_mov_b32_e32 v7, s31
	s_waitcnt vmcnt(1)
	v_subrev_u32_e32 v6, s30, v13
	s_waitcnt vmcnt(0)
	v_subrev_co_u32_e32 v10, vcc, s30, v10
	v_subb_co_u32_e32 v11, vcc, v11, v7, vcc
	v_cmp_gt_i64_e32 vcc, v[10:11], v[8:9]
	v_cndmask_b32_e32 v3, v5, v3, vcc
	v_cndmask_b32_e32 v2, v4, v2, vcc
	v_ashrrev_i32_e32 v7, 31, v6
	v_cmp_ne_u64_e32 vcc, v[2:3], v[6:7]
	s_and_saveexec_b64 s[2:3], vcc
	s_cbranch_execz .LBB95_124
; %bb.117:
	s_load_dwordx2 s[0:1], s[18:19], 0x0
	s_waitcnt lgkmcnt(0)
	s_sub_u32 s0, s0, s30
	s_subb_u32 s1, s1, 0
	v_cmp_gt_i64_e32 vcc, s[0:1], v[8:9]
	s_and_b64 exec, exec, vcc
	s_cbranch_execz .LBB95_124
; %bb.118:
	v_cmp_gt_i64_e32 vcc, s[4:5], v[6:7]
	v_cmp_le_i64_e64 s[0:1], s[26:27], v[6:7]
	s_or_b64 s[0:1], vcc, s[0:1]
	v_lshlrev_b64 v[2:3], 3, v[2:3]
	s_and_saveexec_b64 s[18:19], s[0:1]
	s_xor_b64 s[0:1], exec, s[18:19]
	s_cbranch_execz .LBB95_122
; %bb.119:
	v_mov_b32_e32 v8, s23
	v_add_co_u32_e32 v2, vcc, s22, v2
	v_lshlrev_b64 v[4:5], 3, v[6:7]
	v_addc_co_u32_e32 v3, vcc, v8, v3, vcc
	v_mov_b32_e32 v9, s15
	v_add_co_u32_e32 v8, vcc, s14, v4
	global_load_dwordx2 v[2:3], v[2:3], off
	v_addc_co_u32_e32 v9, vcc, v9, v5, vcc
	global_load_dwordx2 v[4:5], v[8:9], off
	ds_read_b64 v[10:11], v18 offset:6144
	s_mov_b64 s[18:19], 0
	s_waitcnt vmcnt(1) lgkmcnt(0)
	v_mul_f64 v[10:11], v[10:11], v[2:3]
.LBB95_120:                             ; =>This Inner Loop Header: Depth=1
	s_waitcnt vmcnt(0)
	v_add_f64 v[2:3], v[4:5], v[10:11]
	global_atomic_cmpswap_x2 v[2:3], v[8:9], v[2:5], off glc
	s_waitcnt vmcnt(0)
	v_cmp_eq_u64_e32 vcc, v[2:3], v[4:5]
	s_or_b64 s[18:19], vcc, s[18:19]
	v_pk_mov_b32 v[4:5], v[2:3], v[2:3] op_sel:[0,1]
	s_andn2_b64 exec, exec, s[18:19]
	s_cbranch_execnz .LBB95_120
; %bb.121:
	s_or_b64 exec, exec, s[18:19]
                                        ; implicit-def: $vgpr2_vgpr3
.LBB95_122:
	s_andn2_saveexec_b64 s[0:1], s[0:1]
	s_cbranch_execz .LBB95_124
; %bb.123:
	v_mov_b32_e32 v4, s23
	v_add_co_u32_e32 v2, vcc, s22, v2
	v_addc_co_u32_e32 v3, vcc, v4, v3, vcc
	global_load_dwordx2 v[2:3], v[2:3], off
	ds_read_b64 v[4:5], v18 offset:6144
	v_subrev_u32_e32 v8, s4, v6
	v_mov_b32_e32 v9, 0x2000
	v_lshl_add_u32 v8, v8, 3, v9
	s_waitcnt vmcnt(0) lgkmcnt(0)
	v_mul_f64 v[2:3], v[4:5], v[2:3]
	ds_add_f64 v8, v[2:3]
.LBB95_124:
	s_or_b64 exec, exec, s[2:3]
	v_lshlrev_b64 v[2:3], 3, v[6:7]
	v_mov_b32_e32 v4, s23
	v_add_co_u32_e32 v2, vcc, s22, v2
	v_addc_co_u32_e32 v3, vcc, v4, v3, vcc
	global_load_dwordx2 v[2:3], v[2:3], off
	ds_read_b64 v[4:5], v18 offset:6144
	s_waitcnt vmcnt(0) lgkmcnt(0)
	v_mul_f64 v[2:3], v[2:3], v[4:5]
	ds_write_b64 v18, v[2:3] offset:6144
.LBB95_125:
	s_or_b64 exec, exec, s[20:21]
	v_pk_mov_b32 v[2:3], s[6:7], s[6:7] op_sel:[0,1]
	v_cmp_lt_i64_e32 vcc, s[26:27], v[2:3]
	s_and_b64 s[0:1], vcc, exec
	s_cselect_b32 s18, s26, s6
	s_cselect_b32 s0, s27, s7
	s_sub_u32 s2, s18, s28
	s_subb_u32 s3, s0, s29
	v_cmp_gt_i64_e32 vcc, s[2:3], v[0:1]
	s_waitcnt lgkmcnt(0)
	s_barrier
	s_and_saveexec_b64 s[0:1], vcc
	s_cbranch_execz .LBB95_130
; %bb.126:
	s_lshl_b64 s[4:5], s[4:5], 3
	s_add_u32 s19, s14, s4
	s_addc_u32 s6, s15, s5
	s_mov_b64 s[4:5], 0
	v_mov_b32_e32 v12, s6
	v_mov_b32_e32 v13, 0x2000
	v_pk_mov_b32 v[6:7], v[0:1], v[0:1] op_sel:[0,1]
.LBB95_127:                             ; =>This Loop Header: Depth=1
                                        ;     Child Loop BB95_128 Depth 2
	v_lshlrev_b64 v[2:3], 3, v[6:7]
	v_add_co_u32_e32 v8, vcc, s19, v2
	v_addc_co_u32_e32 v9, vcc, v12, v3, vcc
	global_load_dwordx2 v[4:5], v[8:9], off
	v_lshl_add_u32 v2, v6, 3, v13
	ds_read_b64 v[10:11], v2
	s_mov_b64 s[6:7], 0
.LBB95_128:                             ;   Parent Loop BB95_127 Depth=1
                                        ; =>  This Inner Loop Header: Depth=2
	s_waitcnt vmcnt(0) lgkmcnt(0)
	v_add_f64 v[2:3], v[4:5], v[10:11]
	global_atomic_cmpswap_x2 v[2:3], v[8:9], v[2:5], off glc
	s_waitcnt vmcnt(0)
	v_cmp_eq_u64_e32 vcc, v[2:3], v[4:5]
	s_or_b64 s[6:7], vcc, s[6:7]
	v_pk_mov_b32 v[4:5], v[2:3], v[2:3] op_sel:[0,1]
	s_andn2_b64 exec, exec, s[6:7]
	s_cbranch_execnz .LBB95_128
; %bb.129:                              ;   in Loop: Header=BB95_127 Depth=1
	s_or_b64 exec, exec, s[6:7]
	v_add_co_u32_e32 v6, vcc, 0x100, v6
	v_addc_co_u32_e32 v7, vcc, 0, v7, vcc
	v_cmp_le_i64_e32 vcc, s[2:3], v[6:7]
	s_or_b64 s[4:5], vcc, s[4:5]
	s_andn2_b64 exec, exec, s[4:5]
	s_cbranch_execnz .LBB95_127
.LBB95_130:
	s_or_b64 exec, exec, s[0:1]
	s_add_i32 s0, s34, -1
	s_ashr_i32 s1, s0, 1
	s_or_b32 s0, s1, s0
	s_ashr_i32 s1, s0, 2
	s_or_b32 s0, s1, s0
	;; [unrolled: 2-line block ×5, first 2 shown]
	s_add_i32 s3, s3, 1
	s_ashr_i32 s20, s3, 1
	v_mov_b32_e32 v2, s25
	v_add_co_u32_e32 v6, vcc, s24, v0
	v_addc_co_u32_e32 v7, vcc, 0, v2, vcc
	s_cmp_gt_i32 s20, 1
	s_mov_b64 s[0:1], -1
	s_barrier
	s_cbranch_scc1 .LBB95_141
; %bb.131:
	v_cmp_gt_i64_e32 vcc, s[26:27], v[6:7]
	s_and_saveexec_b64 s[0:1], vcc
	s_cbranch_execz .LBB95_140
; %bb.132:
	s_sub_i32 s4, s18, s26
	s_lshl_b32 s4, s4, 3
	s_add_i32 s21, s4, 0x2000
	s_lshl_b32 s4, s8, 3
	s_sub_i32 s22, 0, s4
	s_mov_b64 s[4:5], 0
	v_mov_b32_e32 v16, s17
	v_mov_b32_e32 v17, s15
	;; [unrolled: 1-line block ×3, first 2 shown]
	v_pk_mov_b32 v[8:9], v[6:7], v[6:7] op_sel:[0,1]
.LBB95_133:                             ; =>This Loop Header: Depth=1
                                        ;     Child Loop BB95_135 Depth 2
                                        ;     Child Loop BB95_138 Depth 2
	v_lshlrev_b64 v[10:11], 3, v[8:9]
	v_add_co_u32_e32 v2, vcc, s16, v10
	v_addc_co_u32_e32 v3, vcc, v16, v11, vcc
	global_load_dwordx4 v[2:5], v[2:3], off
	v_pk_mov_b32 v[12:13], 0, 0
	s_waitcnt vmcnt(0)
	v_cmp_lt_i64_e32 vcc, v[2:3], v[4:5]
	s_and_saveexec_b64 s[6:7], vcc
	s_cbranch_execz .LBB95_137
; %bb.134:                              ;   in Loop: Header=BB95_133 Depth=1
	v_mov_b32_e32 v12, s9
	v_subrev_co_u32_e32 v4, vcc, s8, v4
	v_subb_co_u32_e32 v5, vcc, v5, v12, vcc
	v_subrev_co_u32_e32 v14, vcc, s8, v2
	v_subb_co_u32_e32 v15, vcc, v3, v12, vcc
	v_lshl_add_u32 v2, v2, 3, s22
	s_mov_b64 s[18:19], 0
	v_pk_mov_b32 v[12:13], 0, 0
.LBB95_135:                             ;   Parent Loop BB95_133 Depth=1
                                        ; =>  This Inner Loop Header: Depth=2
	ds_read_b64 v[20:21], v2
	v_add_co_u32_e32 v14, vcc, 1, v14
	v_addc_co_u32_e32 v15, vcc, 0, v15, vcc
	v_cmp_ge_i64_e32 vcc, v[14:15], v[4:5]
	v_add_u32_e32 v2, 8, v2
	s_or_b64 s[18:19], vcc, s[18:19]
	s_waitcnt lgkmcnt(0)
	v_add_f64 v[12:13], v[12:13], v[20:21]
	s_andn2_b64 exec, exec, s[18:19]
	s_cbranch_execnz .LBB95_135
; %bb.136:                              ;   in Loop: Header=BB95_133 Depth=1
	s_or_b64 exec, exec, s[18:19]
.LBB95_137:                             ;   in Loop: Header=BB95_133 Depth=1
	s_or_b64 exec, exec, s[6:7]
	v_add_co_u32_e32 v10, vcc, s14, v10
	v_addc_co_u32_e32 v11, vcc, v17, v11, vcc
	global_load_dwordx2 v[4:5], v[10:11], off
	v_lshl_add_u32 v2, v8, 3, s21
	ds_read_b64 v[2:3], v2
	s_mov_b64 s[6:7], 0
	s_waitcnt lgkmcnt(0)
	v_add_f64 v[12:13], v[12:13], v[2:3]
.LBB95_138:                             ;   Parent Loop BB95_133 Depth=1
                                        ; =>  This Inner Loop Header: Depth=2
	s_waitcnt vmcnt(0)
	v_add_f64 v[2:3], v[4:5], v[12:13]
	global_atomic_cmpswap_x2 v[2:3], v[10:11], v[2:5], off glc
	s_waitcnt vmcnt(0)
	v_cmp_eq_u64_e32 vcc, v[2:3], v[4:5]
	s_or_b64 s[6:7], vcc, s[6:7]
	v_pk_mov_b32 v[4:5], v[2:3], v[2:3] op_sel:[0,1]
	s_andn2_b64 exec, exec, s[6:7]
	s_cbranch_execnz .LBB95_138
; %bb.139:                              ;   in Loop: Header=BB95_133 Depth=1
	s_or_b64 exec, exec, s[6:7]
	v_add_co_u32_e32 v8, vcc, s12, v8
	v_addc_co_u32_e32 v9, vcc, v9, v19, vcc
	v_cmp_le_i64_e32 vcc, s[26:27], v[8:9]
	s_or_b64 s[4:5], vcc, s[4:5]
	s_andn2_b64 exec, exec, s[4:5]
	s_cbranch_execnz .LBB95_133
.LBB95_140:
	s_or_b64 exec, exec, s[0:1]
	s_mov_b64 s[0:1], 0
.LBB95_141:
	s_andn2_b64 vcc, exec, s[0:1]
	s_cbranch_vccnz .LBB95_170
; %bb.142:
	v_cvt_f32_u32_e32 v14, s20
	s_sub_i32 s6, 0, s20
	v_mov_b32_e32 v11, 0
	v_mov_b32_e32 v4, s11
	v_rcp_iflag_f32_e32 v2, v14
	v_mov_b32_e32 v12, s9
	v_mul_f32_e32 v2, 0x4f7ffffe, v2
	v_cvt_u32_f32_e32 v2, v2
	v_mul_lo_u32 v3, s6, v2
	v_mul_hi_u32 v3, v2, v3
	v_add_u32_e32 v2, v2, v3
	v_mul_hi_u32 v2, v0, v2
	v_mul_lo_u32 v3, v2, s20
	v_sub_u32_e32 v3, v0, v3
	v_add_u32_e32 v5, 1, v2
	v_cmp_le_u32_e32 vcc, s20, v3
	v_cndmask_b32_e32 v2, v2, v5, vcc
	v_subrev_u32_e32 v5, s20, v3
	v_cndmask_b32_e32 v3, v3, v5, vcc
	v_add_u32_e32 v5, 1, v2
	v_cmp_le_u32_e32 vcc, s20, v3
	v_cndmask_b32_e32 v10, v2, v5, vcc
	v_lshlrev_b64 v[2:3], 3, v[10:11]
	v_add_co_u32_e32 v2, vcc, s10, v2
	v_addc_co_u32_e32 v3, vcc, v4, v3, vcc
	global_load_dwordx4 v[2:5], v[2:3], off
	s_waitcnt vmcnt(0)
	v_subrev_co_u32_e32 v8, vcc, s8, v2
	v_subb_co_u32_e32 v9, vcc, v3, v12, vcc
	v_subrev_co_u32_e32 v19, vcc, s8, v4
	v_subb_co_u32_e32 v20, vcc, v5, v12, vcc
	v_sub_co_u32_e32 v3, vcc, v19, v8
	v_subb_co_u32_e32 v13, vcc, v20, v9, vcc
	v_mov_b32_e32 v12, v11
	v_cmp_ne_u64_e32 vcc, 0, v[12:13]
                                        ; implicit-def: $vgpr4_vgpr5
	s_and_saveexec_b64 s[0:1], vcc
	s_xor_b64 s[4:5], exec, s[0:1]
	s_cbranch_execz .LBB95_144
; %bb.143:
	v_cvt_f32_ubyte0_e32 v4, 0
	v_madmk_f32 v4, v4, 0x4f800000, v14
	v_rcp_f32_e32 v4, v4
	s_sub_u32 s0, 0, s20
	s_subb_u32 s1, 0, 0
	v_mul_f32_e32 v4, 0x5f7ffffc, v4
	v_mul_f32_e32 v5, 0x2f800000, v4
	v_trunc_f32_e32 v5, v5
	v_madmk_f32 v4, v5, 0xcf800000, v4
	v_cvt_u32_f32_e32 v5, v5
	v_cvt_u32_f32_e32 v4, v4
	v_mul_lo_u32 v12, s0, v5
	v_mul_hi_u32 v15, s0, v4
	v_mul_lo_u32 v14, s1, v4
	v_add_u32_e32 v12, v15, v12
	v_add_u32_e32 v12, v12, v14
	v_mul_lo_u32 v16, s0, v4
	v_mul_lo_u32 v15, v4, v12
	v_mul_hi_u32 v17, v4, v16
	v_mul_hi_u32 v14, v4, v12
	v_add_co_u32_e32 v15, vcc, v17, v15
	v_addc_co_u32_e32 v14, vcc, 0, v14, vcc
	v_mul_hi_u32 v21, v5, v16
	v_mul_lo_u32 v16, v5, v16
	v_add_co_u32_e32 v15, vcc, v15, v16
	v_mul_hi_u32 v17, v5, v12
	v_addc_co_u32_e32 v14, vcc, v14, v21, vcc
	v_addc_co_u32_e32 v15, vcc, 0, v17, vcc
	v_mul_lo_u32 v12, v5, v12
	v_add_co_u32_e32 v12, vcc, v14, v12
	v_addc_co_u32_e32 v14, vcc, 0, v15, vcc
	v_add_co_u32_e32 v4, vcc, v4, v12
	v_addc_co_u32_e32 v5, vcc, v5, v14, vcc
	v_mul_lo_u32 v12, s0, v5
	v_mul_hi_u32 v14, s0, v4
	v_add_u32_e32 v12, v14, v12
	v_mul_lo_u32 v14, s1, v4
	v_add_u32_e32 v12, v12, v14
	v_mul_lo_u32 v15, s0, v4
	v_mul_hi_u32 v16, v5, v15
	v_mul_lo_u32 v17, v5, v15
	v_mul_lo_u32 v22, v4, v12
	v_mul_hi_u32 v15, v4, v15
	v_mul_hi_u32 v21, v4, v12
	v_add_co_u32_e32 v15, vcc, v15, v22
	v_addc_co_u32_e32 v21, vcc, 0, v21, vcc
	v_add_co_u32_e32 v15, vcc, v15, v17
	v_mul_hi_u32 v14, v5, v12
	v_addc_co_u32_e32 v15, vcc, v21, v16, vcc
	v_addc_co_u32_e32 v14, vcc, 0, v14, vcc
	v_mul_lo_u32 v12, v5, v12
	v_add_co_u32_e32 v12, vcc, v15, v12
	v_addc_co_u32_e32 v14, vcc, 0, v14, vcc
	v_add_co_u32_e32 v12, vcc, v4, v12
	v_addc_co_u32_e32 v14, vcc, v5, v14, vcc
	v_ashrrev_i32_e32 v15, 31, v13
	v_add_co_u32_e32 v3, vcc, v3, v15
	v_addc_co_u32_e32 v4, vcc, v13, v15, vcc
	v_xor_b32_e32 v3, v3, v15
	v_xor_b32_e32 v16, v4, v15
	v_mad_u64_u32 v[4:5], s[0:1], v3, v14, 0
	v_mul_hi_u32 v13, v3, v12
	v_add_co_u32_e32 v17, vcc, v13, v4
	v_addc_co_u32_e32 v21, vcc, 0, v5, vcc
	v_mad_u64_u32 v[12:13], s[0:1], v16, v12, 0
	v_add_co_u32_e32 v12, vcc, v17, v12
	v_mad_u64_u32 v[4:5], s[0:1], v16, v14, 0
	v_addc_co_u32_e32 v12, vcc, v21, v13, vcc
	v_addc_co_u32_e32 v5, vcc, 0, v5, vcc
	v_add_co_u32_e32 v14, vcc, v12, v4
	v_addc_co_u32_e32 v17, vcc, 0, v5, vcc
	v_mad_u64_u32 v[4:5], s[0:1], s20, v14, 0
	v_mov_b32_e32 v12, v5
	v_mad_u64_u32 v[12:13], s[0:1], s20, v17, v[12:13]
	v_sub_co_u32_e32 v3, vcc, v3, v4
	v_subb_co_u32_e32 v4, vcc, v16, v12, vcc
	v_subrev_co_u32_e32 v5, vcc, s20, v3
	v_subbrev_co_u32_e32 v12, vcc, 0, v4, vcc
	v_cmp_le_u32_e32 vcc, s20, v5
	v_cndmask_b32_e64 v5, 0, -1, vcc
	v_cmp_eq_u32_e32 vcc, 0, v12
	v_cndmask_b32_e32 v5, -1, v5, vcc
	v_add_co_u32_e32 v12, vcc, 2, v14
	v_addc_co_u32_e32 v13, vcc, 0, v17, vcc
	v_add_co_u32_e32 v16, vcc, 1, v14
	v_cmp_le_u32_e64 s[0:1], s20, v3
	v_addc_co_u32_e32 v21, vcc, 0, v17, vcc
	v_cndmask_b32_e64 v3, 0, -1, s[0:1]
	v_cmp_eq_u32_e64 s[0:1], 0, v4
	v_cmp_ne_u32_e32 vcc, 0, v5
	v_cndmask_b32_e64 v3, -1, v3, s[0:1]
	v_cmp_ne_u32_e64 s[0:1], 0, v3
	v_cndmask_b32_e32 v4, v16, v12, vcc
	v_cndmask_b32_e32 v5, v21, v13, vcc
	v_cndmask_b32_e64 v4, v14, v4, s[0:1]
	v_cndmask_b32_e64 v3, v17, v5, s[0:1]
	v_xor_b32_e32 v4, v4, v15
	v_xor_b32_e32 v3, v3, v15
	v_sub_co_u32_e32 v4, vcc, v4, v15
	v_subb_co_u32_e32 v5, vcc, v3, v15, vcc
                                        ; implicit-def: $vgpr3
.LBB95_144:
	s_andn2_saveexec_b64 s[0:1], s[4:5]
	s_cbranch_execz .LBB95_146
; %bb.145:
	v_cvt_f32_u32_e32 v4, s20
	v_rcp_iflag_f32_e32 v4, v4
	v_mul_f32_e32 v4, 0x4f7ffffe, v4
	v_cvt_u32_f32_e32 v4, v4
	v_mul_lo_u32 v5, s6, v4
	v_mul_hi_u32 v5, v4, v5
	v_add_u32_e32 v4, v4, v5
	v_mul_hi_u32 v4, v3, v4
	v_mul_lo_u32 v5, v4, s20
	v_sub_u32_e32 v3, v3, v5
	v_add_u32_e32 v12, 1, v4
	v_subrev_u32_e32 v5, s20, v3
	v_cmp_le_u32_e32 vcc, s20, v3
	v_cndmask_b32_e32 v3, v3, v5, vcc
	v_cndmask_b32_e32 v4, v4, v12, vcc
	v_add_u32_e32 v5, 1, v4
	v_cmp_le_u32_e32 vcc, s20, v3
	v_cndmask_b32_e32 v4, v4, v5, vcc
	v_mov_b32_e32 v5, 0
.LBB95_146:
	s_or_b64 exec, exec, s[0:1]
	v_cmp_gt_i64_e32 vcc, s[28:29], v[10:11]
	v_pk_mov_b32 v[12:13], 0, 0
	s_and_saveexec_b64 s[0:1], vcc
	s_cbranch_execz .LBB95_160
; %bb.147:
	s_add_i32 s4, s20, -1
	v_and_b32_e32 v10, s4, v0
	v_cmp_lt_i64_e32 vcc, 0, v[4:5]
	v_pk_mov_b32 v[12:13], 0, 0
	s_and_saveexec_b64 s[4:5], vcc
	s_cbranch_execz .LBB95_157
; %bb.148:
	v_cmp_lt_u64_e32 vcc, 3, v[4:5]
	v_pk_mov_b32 v[14:15], 0, 0
	v_pk_mov_b32 v[12:13], 0, 0
	s_and_saveexec_b64 s[6:7], vcc
	s_cbranch_execz .LBB95_152
; %bb.149:
	s_lshl_b32 s10, s8, 3
	s_lshl_b32 s11, s20, 4
	;; [unrolled: 1-line block ×3, first 2 shown]
	v_lshlrev_b32_e32 v3, 3, v2
	s_sub_i32 s17, s11, s10
	s_mul_i32 s11, s20, 24
	v_and_b32_e32 v15, 0x7fffffff, v5
	v_and_b32_e32 v14, -4, v4
	s_sub_i32 s9, s9, s10
	v_lshl_add_u32 v3, v10, 3, v3
	s_lshl_b32 s16, s20, 5
	s_sub_i32 s18, s11, s10
	s_sub_i32 s19, 0, s10
	s_mov_b64 s[10:11], 0
	v_pk_mov_b32 v[12:13], 0, 0
	s_mov_b64 s[12:13], 0
.LBB95_150:                             ; =>This Inner Loop Header: Depth=1
	v_add_u32_e32 v11, s19, v3
	v_add_u32_e32 v24, s17, v3
	;; [unrolled: 1-line block ×4, first 2 shown]
	ds_read_b64 v[16:17], v11
	ds_read_b64 v[22:23], v21
	;; [unrolled: 1-line block ×4, first 2 shown]
	s_add_u32 s12, s12, 4
	s_waitcnt lgkmcnt(3)
	v_add_f64 v[12:13], v[12:13], v[16:17]
	s_addc_u32 s13, s13, 0
	s_waitcnt lgkmcnt(2)
	v_add_f64 v[12:13], v[12:13], v[22:23]
	v_cmp_eq_u64_e32 vcc, s[12:13], v[14:15]
	s_waitcnt lgkmcnt(1)
	v_add_f64 v[12:13], v[12:13], v[24:25]
	v_add_u32_e32 v3, s16, v3
	s_or_b64 s[10:11], vcc, s[10:11]
	s_waitcnt lgkmcnt(0)
	v_add_f64 v[12:13], v[12:13], v[26:27]
	s_andn2_b64 exec, exec, s[10:11]
	s_cbranch_execnz .LBB95_150
; %bb.151:
	s_or_b64 exec, exec, s[10:11]
.LBB95_152:
	s_or_b64 exec, exec, s[6:7]
	v_and_b32_e32 v16, 3, v4
	v_mov_b32_e32 v17, 0
	s_mov_b64 s[10:11], 0
	v_cmp_ne_u64_e32 vcc, 0, v[16:17]
	s_and_saveexec_b64 s[6:7], vcc
	s_cbranch_execz .LBB95_156
; %bb.153:
	v_mul_lo_u32 v3, s20, v14
	v_add3_u32 v2, v10, v3, v2
	v_subrev_u32_e32 v2, s8, v2
	v_lshlrev_b32_e32 v2, 3, v2
	s_lshl_b32 s8, s20, 3
.LBB95_154:                             ; =>This Inner Loop Header: Depth=1
	ds_read_b64 v[14:15], v2
	v_add_co_u32_e32 v16, vcc, -1, v16
	v_addc_co_u32_e32 v17, vcc, -1, v17, vcc
	v_cmp_eq_u64_e32 vcc, 0, v[16:17]
	v_add_u32_e32 v2, s8, v2
	s_or_b64 s[10:11], vcc, s[10:11]
	s_waitcnt lgkmcnt(0)
	v_add_f64 v[12:13], v[12:13], v[14:15]
	s_andn2_b64 exec, exec, s[10:11]
	s_cbranch_execnz .LBB95_154
; %bb.155:
	s_or_b64 exec, exec, s[10:11]
.LBB95_156:
	s_or_b64 exec, exec, s[6:7]
.LBB95_157:
	s_or_b64 exec, exec, s[4:5]
	v_mad_u64_u32 v[2:3], s[4:5], v4, s20, v[8:9]
	v_mov_b32_e32 v4, v3
	v_mad_u64_u32 v[4:5], s[4:5], v5, s20, v[4:5]
	v_mov_b32_e32 v3, v4
	v_sub_co_u32_e32 v4, vcc, v19, v2
	v_mov_b32_e32 v11, 0
	v_subb_co_u32_e32 v5, vcc, v20, v3, vcc
	v_cmp_gt_i64_e32 vcc, v[4:5], v[10:11]
	s_and_saveexec_b64 s[4:5], vcc
	s_cbranch_execz .LBB95_159
; %bb.158:
	v_add_lshl_u32 v2, v10, v2, 3
	ds_read_b64 v[2:3], v2
	s_waitcnt lgkmcnt(0)
	v_add_f64 v[12:13], v[12:13], v[2:3]
.LBB95_159:
	s_or_b64 exec, exec, s[4:5]
.LBB95_160:
	s_or_b64 exec, exec, s[0:1]
	v_cmp_gt_i64_e32 vcc, s[28:29], v[0:1]
	s_barrier
	ds_write_b64 v18, v[12:13]
	s_waitcnt lgkmcnt(0)
	s_barrier
	s_and_b64 exec, exec, vcc
	s_cbranch_execz .LBB95_170
; %bb.161:
	s_cmp_lt_u32 s20, 8
	v_mul_lo_u32 v1, s20, v0
	s_cbranch_scc1 .LBB95_164
; %bb.162:
	s_and_b32 s0, s20, 0x7ffffff8
	v_lshlrev_b32_e32 v2, 3, v1
	s_mov_b32 s1, 0
	v_pk_mov_b32 v[4:5], 0, 0
.LBB95_163:                             ; =>This Inner Loop Header: Depth=1
	ds_read2_b64 v[8:11], v2 offset1:1
	ds_read2_b64 v[12:15], v2 offset0:2 offset1:3
	ds_read2_b64 v[16:19], v2 offset0:4 offset1:5
	;; [unrolled: 1-line block ×3, first 2 shown]
	s_add_i32 s1, s1, 8
	s_waitcnt lgkmcnt(3)
	v_add_f64 v[4:5], v[4:5], v[8:9]
	v_add_f64 v[4:5], v[4:5], v[10:11]
	s_waitcnt lgkmcnt(2)
	v_add_f64 v[4:5], v[4:5], v[12:13]
	v_add_f64 v[4:5], v[4:5], v[14:15]
	;; [unrolled: 3-line block ×3, first 2 shown]
	s_waitcnt lgkmcnt(0)
	v_add_f64 v[4:5], v[4:5], v[20:21]
	v_add_u32_e32 v2, 64, v2
	s_cmp_eq_u32 s0, s1
	v_add_f64 v[4:5], v[4:5], v[22:23]
	s_cbranch_scc0 .LBB95_163
	s_branch .LBB95_165
.LBB95_164:
	s_mov_b32 s0, 0
	v_pk_mov_b32 v[4:5], 0, 0
.LBB95_165:
	s_bfe_u32 s1, s3, 0x30001
	s_cmp_eq_u32 s1, 0
	s_cbranch_scc1 .LBB95_168
; %bb.166:
	v_add_lshl_u32 v1, s0, v1, 3
.LBB95_167:                             ; =>This Inner Loop Header: Depth=1
	ds_read_b64 v[2:3], v1
	s_add_i32 s1, s1, -1
	v_add_u32_e32 v1, 8, v1
	s_cmp_lg_u32 s1, 0
	s_waitcnt lgkmcnt(0)
	v_add_f64 v[4:5], v[4:5], v[2:3]
	s_cbranch_scc1 .LBB95_167
.LBB95_168:
	v_lshlrev_b64 v[2:3], 3, v[6:7]
	v_mov_b32_e32 v1, s15
	v_add_co_u32_e32 v6, vcc, s14, v2
	v_addc_co_u32_e32 v7, vcc, v1, v3, vcc
	global_load_dwordx2 v[2:3], v[6:7], off
	s_lshl_b32 s0, s2, 3
	s_addk_i32 s0, 0x2000
	v_lshl_add_u32 v0, v0, 3, s0
	ds_read_b64 v[0:1], v0
	s_mov_b64 s[0:1], 0
	s_waitcnt lgkmcnt(0)
	v_add_f64 v[4:5], v[4:5], v[0:1]
.LBB95_169:                             ; =>This Inner Loop Header: Depth=1
	s_waitcnt vmcnt(0)
	v_add_f64 v[0:1], v[2:3], v[4:5]
	global_atomic_cmpswap_x2 v[0:1], v[6:7], v[0:3], off glc
	s_waitcnt vmcnt(0)
	v_cmp_eq_u64_e32 vcc, v[0:1], v[2:3]
	s_or_b64 s[0:1], vcc, s[0:1]
	v_pk_mov_b32 v[2:3], v[0:1], v[0:1] op_sel:[0,1]
	s_andn2_b64 exec, exec, s[0:1]
	s_cbranch_execnz .LBB95_169
.LBB95_170:
	s_endpgm
	.section	.rodata,"a",@progbits
	.p2align	6, 0x0
	.amdhsa_kernel _ZN9rocsparseL27csrmvn_symm_adaptive_kernelIlifdddEEvbT_S1_PKS1_NS_24const_host_device_scalarIT4_EES3_PKT0_PKT1_PKT2_S6_PT3_21rocsparse_index_base_b
		.amdhsa_group_segment_fixed_size 8192
		.amdhsa_private_segment_fixed_size 0
		.amdhsa_kernarg_size 352
		.amdhsa_user_sgpr_count 6
		.amdhsa_user_sgpr_private_segment_buffer 1
		.amdhsa_user_sgpr_dispatch_ptr 0
		.amdhsa_user_sgpr_queue_ptr 0
		.amdhsa_user_sgpr_kernarg_segment_ptr 1
		.amdhsa_user_sgpr_dispatch_id 0
		.amdhsa_user_sgpr_flat_scratch_init 0
		.amdhsa_user_sgpr_kernarg_preload_length 0
		.amdhsa_user_sgpr_kernarg_preload_offset 0
		.amdhsa_user_sgpr_private_segment_size 0
		.amdhsa_uses_dynamic_stack 0
		.amdhsa_system_sgpr_private_segment_wavefront_offset 0
		.amdhsa_system_sgpr_workgroup_id_x 1
		.amdhsa_system_sgpr_workgroup_id_y 0
		.amdhsa_system_sgpr_workgroup_id_z 0
		.amdhsa_system_sgpr_workgroup_info 0
		.amdhsa_system_vgpr_workitem_id 0
		.amdhsa_next_free_vgpr 28
		.amdhsa_next_free_sgpr 52
		.amdhsa_accum_offset 28
		.amdhsa_reserve_vcc 1
		.amdhsa_reserve_flat_scratch 0
		.amdhsa_float_round_mode_32 0
		.amdhsa_float_round_mode_16_64 0
		.amdhsa_float_denorm_mode_32 3
		.amdhsa_float_denorm_mode_16_64 3
		.amdhsa_dx10_clamp 1
		.amdhsa_ieee_mode 1
		.amdhsa_fp16_overflow 0
		.amdhsa_tg_split 0
		.amdhsa_exception_fp_ieee_invalid_op 0
		.amdhsa_exception_fp_denorm_src 0
		.amdhsa_exception_fp_ieee_div_zero 0
		.amdhsa_exception_fp_ieee_overflow 0
		.amdhsa_exception_fp_ieee_underflow 0
		.amdhsa_exception_fp_ieee_inexact 0
		.amdhsa_exception_int_div_zero 0
	.end_amdhsa_kernel
	.section	.text._ZN9rocsparseL27csrmvn_symm_adaptive_kernelIlifdddEEvbT_S1_PKS1_NS_24const_host_device_scalarIT4_EES3_PKT0_PKT1_PKT2_S6_PT3_21rocsparse_index_base_b,"axG",@progbits,_ZN9rocsparseL27csrmvn_symm_adaptive_kernelIlifdddEEvbT_S1_PKS1_NS_24const_host_device_scalarIT4_EES3_PKT0_PKT1_PKT2_S6_PT3_21rocsparse_index_base_b,comdat
.Lfunc_end95:
	.size	_ZN9rocsparseL27csrmvn_symm_adaptive_kernelIlifdddEEvbT_S1_PKS1_NS_24const_host_device_scalarIT4_EES3_PKT0_PKT1_PKT2_S6_PT3_21rocsparse_index_base_b, .Lfunc_end95-_ZN9rocsparseL27csrmvn_symm_adaptive_kernelIlifdddEEvbT_S1_PKS1_NS_24const_host_device_scalarIT4_EES3_PKT0_PKT1_PKT2_S6_PT3_21rocsparse_index_base_b
                                        ; -- End function
	.section	.AMDGPU.csdata,"",@progbits
; Kernel info:
; codeLenInByte = 8368
; NumSgprs: 56
; NumVgprs: 28
; NumAgprs: 0
; TotalNumVgprs: 28
; ScratchSize: 0
; MemoryBound: 0
; FloatMode: 240
; IeeeMode: 1
; LDSByteSize: 8192 bytes/workgroup (compile time only)
; SGPRBlocks: 6
; VGPRBlocks: 3
; NumSGPRsForWavesPerEU: 56
; NumVGPRsForWavesPerEU: 28
; AccumOffset: 28
; Occupancy: 8
; WaveLimiterHint : 1
; COMPUTE_PGM_RSRC2:SCRATCH_EN: 0
; COMPUTE_PGM_RSRC2:USER_SGPR: 6
; COMPUTE_PGM_RSRC2:TRAP_HANDLER: 0
; COMPUTE_PGM_RSRC2:TGID_X_EN: 1
; COMPUTE_PGM_RSRC2:TGID_Y_EN: 0
; COMPUTE_PGM_RSRC2:TGID_Z_EN: 0
; COMPUTE_PGM_RSRC2:TIDIG_COMP_CNT: 0
; COMPUTE_PGM_RSRC3_GFX90A:ACCUM_OFFSET: 6
; COMPUTE_PGM_RSRC3_GFX90A:TG_SPLIT: 0
	.section	.text._ZL33csrmvn_symm_large_adaptive_kernelIlifdddEvbT_PKS0_N9rocsparse24const_host_device_scalarIT4_EES2_PKT0_PKT1_PKT2_S6_PT3_21rocsparse_index_base_b,"axG",@progbits,_ZL33csrmvn_symm_large_adaptive_kernelIlifdddEvbT_PKS0_N9rocsparse24const_host_device_scalarIT4_EES2_PKT0_PKT1_PKT2_S6_PT3_21rocsparse_index_base_b,comdat
	.globl	_ZL33csrmvn_symm_large_adaptive_kernelIlifdddEvbT_PKS0_N9rocsparse24const_host_device_scalarIT4_EES2_PKT0_PKT1_PKT2_S6_PT3_21rocsparse_index_base_b ; -- Begin function _ZL33csrmvn_symm_large_adaptive_kernelIlifdddEvbT_PKS0_N9rocsparse24const_host_device_scalarIT4_EES2_PKT0_PKT1_PKT2_S6_PT3_21rocsparse_index_base_b
	.p2align	8
	.type	_ZL33csrmvn_symm_large_adaptive_kernelIlifdddEvbT_PKS0_N9rocsparse24const_host_device_scalarIT4_EES2_PKT0_PKT1_PKT2_S6_PT3_21rocsparse_index_base_b,@function
_ZL33csrmvn_symm_large_adaptive_kernelIlifdddEvbT_PKS0_N9rocsparse24const_host_device_scalarIT4_EES2_PKT0_PKT1_PKT2_S6_PT3_21rocsparse_index_base_b: ; @_ZL33csrmvn_symm_large_adaptive_kernelIlifdddEvbT_PKS0_N9rocsparse24const_host_device_scalarIT4_EES2_PKT0_PKT1_PKT2_S6_PT3_21rocsparse_index_base_b
; %bb.0:
	s_load_dwordx2 s[24:25], s[4:5], 0x50
	s_load_dwordx2 s[8:9], s[4:5], 0x18
	;; [unrolled: 1-line block ×3, first 2 shown]
	s_waitcnt lgkmcnt(0)
	s_bitcmp1_b32 s25, 0
	s_cselect_b64 s[10:11], -1, 0
	s_xor_b64 s[2:3], s[10:11], -1
	s_and_b64 vcc, exec, s[10:11]
	v_pk_mov_b32 v[4:5], s[8:9], s[8:9] op_sel:[0,1]
	s_cbranch_vccnz .LBB96_2
; %bb.1:
	v_pk_mov_b32 v[2:3], s[8:9], s[8:9] op_sel:[0,1]
	flat_load_dwordx2 v[4:5], v[2:3]
.LBB96_2:
	s_andn2_b64 vcc, exec, s[2:3]
	v_pk_mov_b32 v[2:3], s[0:1], s[0:1] op_sel:[0,1]
	s_cbranch_vccnz .LBB96_4
; %bb.3:
	v_pk_mov_b32 v[2:3], s[0:1], s[0:1] op_sel:[0,1]
	flat_load_dwordx2 v[2:3], v[2:3]
.LBB96_4:
	s_waitcnt vmcnt(0) lgkmcnt(0)
	v_cmp_neq_f64_e32 vcc, 0, v[4:5]
	v_cmp_neq_f64_e64 s[0:1], 1.0, v[2:3]
	s_or_b64 s[0:1], vcc, s[0:1]
	s_and_saveexec_b64 s[2:3], s[0:1]
	s_cbranch_execz .LBB96_41
; %bb.5:
	s_load_dwordx2 s[0:1], s[4:5], 0x10
	s_ashr_i32 s7, s6, 31
	s_mov_b32 s2, 0
	s_lshl_b64 s[6:7], s[6:7], 3
	s_mov_b32 s3, s2
	s_waitcnt lgkmcnt(0)
	s_add_u32 s0, s0, s6
	v_lshlrev_b32_e32 v10, 3, v0
	v_pk_mov_b32 v[2:3], s[2:3], s[2:3] op_sel:[0,1]
	s_addc_u32 s1, s1, s7
	ds_write2st64_b64 v10, v[2:3], v[2:3] offset1:4
	ds_write2st64_b64 v10, v[2:3], v[2:3] offset0:8 offset1:12
	s_waitcnt lgkmcnt(0)
	s_barrier
	s_load_dwordx4 s[20:23], s[0:1], 0x0
	s_load_dwordx8 s[12:19], s[4:5], 0x20
	s_load_dwordx2 s[26:27], s[4:5], 0x48
	v_subrev_co_u32_e64 v11, s[0:1], s24, v0
	s_waitcnt lgkmcnt(0)
	v_pk_mov_b32 v[2:3], s[22:23], s[22:23] op_sel:[0,1]
	v_cmp_lt_i64_e32 vcc, s[20:21], v[2:3]
	s_mov_b32 s25, s2
	v_subb_co_u32_e64 v12, s[0:1], 0, 0, s[0:1]
	s_cbranch_vccnz .LBB96_7
; %bb.6:
	s_lshl_b64 s[0:1], s[20:21], 3
	s_add_u32 s0, s12, s0
	s_addc_u32 s1, s13, s1
	s_load_dwordx2 s[28:29], s[0:1], 0x0
	s_cbranch_execz .LBB96_8
	s_branch .LBB96_31
.LBB96_7:
                                        ; implicit-def: $sgpr28_sgpr29
.LBB96_8:
	s_lshl_b64 s[10:11], s[20:21], 3
	s_add_u32 s10, s12, s10
	s_addc_u32 s11, s13, s11
	s_waitcnt lgkmcnt(0)
	s_load_dwordx2 s[28:29], s[10:11], 0x0
	s_movk_i32 s33, 0x100
	s_add_u32 s44, s12, 8
	v_cmp_gt_u32_e64 s[0:1], s33, v0
	v_cmp_gt_u32_e64 s[2:3], 64, v0
	;; [unrolled: 1-line block ×4, first 2 shown]
	v_cmp_eq_u32_e64 s[8:9], 0, v0
	s_addc_u32 s45, s13, 0
	v_mov_b32_e32 v13, s19
	v_mov_b32_e32 v14, 0
	s_waitcnt lgkmcnt(0)
	s_mov_b64 s[34:35], s[28:29]
	s_mov_b64 s[30:31], s[20:21]
	s_branch .LBB96_10
.LBB96_9:                               ;   in Loop: Header=BB96_10 Depth=1
	s_or_b64 exec, exec, s[10:11]
	s_add_u32 s30, s30, 1
	s_addc_u32 s31, s31, 0
	v_pk_mov_b32 v[0:1], s[22:23], s[22:23] op_sel:[0,1]
	v_cmp_ge_i64_e32 vcc, s[30:31], v[0:1]
	s_cbranch_vccnz .LBB96_31
.LBB96_10:                              ; =>This Loop Header: Depth=1
                                        ;     Child Loop BB96_12 Depth 2
                                        ;     Child Loop BB96_26 Depth 2
	;; [unrolled: 1-line block ×3, first 2 shown]
	s_lshl_b64 s[36:37], s[30:31], 3
	s_mov_b64 s[10:11], s[34:35]
	s_add_u32 s34, s44, s36
	s_addc_u32 s35, s45, s37
	s_load_dwordx2 s[34:35], s[34:35], 0x0
	v_mov_b32_e32 v1, s11
	v_add_co_u32_e32 v0, vcc, s10, v11
	v_addc_co_u32_e32 v1, vcc, v1, v12, vcc
	s_waitcnt lgkmcnt(0)
	s_sub_u32 s38, s34, s24
	s_subb_u32 s39, s35, 0
	v_cmp_gt_i64_e32 vcc, s[38:39], v[0:1]
	v_pk_mov_b32 v[2:3], 0, 0
	s_and_saveexec_b64 s[40:41], vcc
	s_cbranch_execz .LBB96_14
; %bb.11:                               ;   in Loop: Header=BB96_10 Depth=1
	v_lshlrev_b64 v[2:3], 2, v[0:1]
	v_mov_b32_e32 v7, s15
	v_add_co_u32_e32 v6, vcc, s14, v2
	v_addc_co_u32_e32 v7, vcc, v7, v3, vcc
	v_mov_b32_e32 v9, s17
	v_add_co_u32_e32 v8, vcc, s16, v2
	v_addc_co_u32_e32 v9, vcc, v9, v3, vcc
	s_mov_b64 s[42:43], 0
	v_pk_mov_b32 v[2:3], 0, 0
.LBB96_12:                              ;   Parent Loop BB96_10 Depth=1
                                        ; =>  This Inner Loop Header: Depth=2
	global_load_dword v15, v[6:7], off
	global_load_dword v18, v[8:9], off
	s_waitcnt vmcnt(1)
	v_subrev_u32_e32 v16, s24, v15
	v_ashrrev_i32_e32 v17, 31, v16
	v_lshlrev_b64 v[16:17], 3, v[16:17]
	v_add_co_u32_e32 v16, vcc, s18, v16
	v_addc_co_u32_e32 v17, vcc, v13, v17, vcc
	global_load_dwordx2 v[16:17], v[16:17], off
	v_add_co_u32_e32 v0, vcc, s33, v0
	v_addc_co_u32_e32 v1, vcc, 0, v1, vcc
	v_add_co_u32_e32 v6, vcc, 0x400, v6
	v_addc_co_u32_e32 v7, vcc, 0, v7, vcc
	v_add_co_u32_e32 v8, vcc, 0x400, v8
	v_cmp_le_i64_e64 s[10:11], s[38:39], v[0:1]
	s_waitcnt vmcnt(1)
	v_cvt_f64_f32_e32 v[18:19], v18
	v_addc_co_u32_e32 v9, vcc, 0, v9, vcc
	s_or_b64 s[42:43], s[10:11], s[42:43]
	s_waitcnt vmcnt(0)
	v_fmac_f64_e32 v[2:3], v[18:19], v[16:17]
	s_andn2_b64 exec, exec, s[42:43]
	s_cbranch_execnz .LBB96_12
; %bb.13:                               ;   in Loop: Header=BB96_10 Depth=1
	s_or_b64 exec, exec, s[42:43]
.LBB96_14:                              ;   in Loop: Header=BB96_10 Depth=1
	s_or_b64 exec, exec, s[40:41]
	ds_write_b64 v10, v[2:3]
	s_waitcnt lgkmcnt(0)
	s_barrier
	s_and_saveexec_b64 s[10:11], s[0:1]
	s_cbranch_execz .LBB96_16
; %bb.15:                               ;   in Loop: Header=BB96_10 Depth=1
	ds_read2st64_b64 v[0:3], v10 offset1:4
	ds_read2st64_b64 v[6:9], v10 offset0:8 offset1:12
	s_waitcnt lgkmcnt(0)
	v_add_f64 v[2:3], v[2:3], v[6:7]
	v_add_f64 v[2:3], v[2:3], v[8:9]
	;; [unrolled: 1-line block ×3, first 2 shown]
	ds_write_b64 v10, v[0:1]
.LBB96_16:                              ;   in Loop: Header=BB96_10 Depth=1
	s_or_b64 exec, exec, s[10:11]
	s_waitcnt lgkmcnt(0)
	s_barrier
	s_and_saveexec_b64 s[10:11], s[2:3]
	s_cbranch_execz .LBB96_18
; %bb.17:                               ;   in Loop: Header=BB96_10 Depth=1
	ds_read2st64_b64 v[0:3], v10 offset1:1
	ds_read2st64_b64 v[6:9], v10 offset0:2 offset1:3
	s_waitcnt lgkmcnt(0)
	v_add_f64 v[2:3], v[2:3], v[6:7]
	v_add_f64 v[2:3], v[2:3], v[8:9]
	;; [unrolled: 1-line block ×3, first 2 shown]
	ds_write_b64 v10, v[0:1]
.LBB96_18:                              ;   in Loop: Header=BB96_10 Depth=1
	s_or_b64 exec, exec, s[10:11]
	s_waitcnt lgkmcnt(0)
	s_barrier
	s_and_saveexec_b64 s[10:11], s[4:5]
	s_cbranch_execz .LBB96_20
; %bb.19:                               ;   in Loop: Header=BB96_10 Depth=1
	ds_read2_b64 v[0:3], v10 offset1:16
	ds_read2_b64 v[6:9], v10 offset0:32 offset1:48
	s_waitcnt lgkmcnt(0)
	v_add_f64 v[2:3], v[2:3], v[6:7]
	v_add_f64 v[2:3], v[2:3], v[8:9]
	;; [unrolled: 1-line block ×3, first 2 shown]
	ds_write_b64 v10, v[0:1]
.LBB96_20:                              ;   in Loop: Header=BB96_10 Depth=1
	s_or_b64 exec, exec, s[10:11]
	s_waitcnt lgkmcnt(0)
	s_barrier
	s_and_saveexec_b64 s[10:11], s[6:7]
	s_cbranch_execz .LBB96_22
; %bb.21:                               ;   in Loop: Header=BB96_10 Depth=1
	ds_read2_b64 v[0:3], v10 offset1:4
	ds_read2_b64 v[6:9], v10 offset0:8 offset1:12
	s_waitcnt lgkmcnt(0)
	v_add_f64 v[2:3], v[2:3], v[6:7]
	v_add_f64 v[2:3], v[2:3], v[8:9]
	;; [unrolled: 1-line block ×3, first 2 shown]
	ds_write_b64 v10, v[0:1]
.LBB96_22:                              ;   in Loop: Header=BB96_10 Depth=1
	s_or_b64 exec, exec, s[10:11]
	s_waitcnt lgkmcnt(0)
	s_barrier
	s_and_saveexec_b64 s[10:11], s[8:9]
	s_cbranch_execz .LBB96_24
; %bb.23:                               ;   in Loop: Header=BB96_10 Depth=1
	ds_read2_b64 v[0:3], v14 offset0:1 offset1:2
	ds_read_b64 v[6:7], v14 offset:24
	ds_read_b64 v[8:9], v10
	s_waitcnt lgkmcnt(2)
	v_add_f64 v[0:1], v[0:1], v[2:3]
	s_waitcnt lgkmcnt(1)
	v_add_f64 v[0:1], v[0:1], v[6:7]
	;; [unrolled: 2-line block ×3, first 2 shown]
	ds_write_b64 v10, v[0:1]
.LBB96_24:                              ;   in Loop: Header=BB96_10 Depth=1
	s_or_b64 exec, exec, s[10:11]
	s_waitcnt lgkmcnt(0)
	s_barrier
	s_and_saveexec_b64 s[10:11], s[8:9]
	s_cbranch_execz .LBB96_9
; %bb.25:                               ;   in Loop: Header=BB96_10 Depth=1
	ds_read_b64 v[0:1], v14
	v_mov_b32_e32 v6, 0
	s_mov_b64 s[38:39], exec
	v_bfrev_b32_e32 v7, 1
	s_waitcnt lgkmcnt(0)
	v_mul_f64 v[0:1], v[4:5], v[0:1]
.LBB96_26:                              ;   Parent Loop BB96_10 Depth=1
                                        ; =>  This Inner Loop Header: Depth=2
	s_ff1_i32_b64 s42, s[38:39]
	v_readlane_b32 s41, v1, s42
	v_readlane_b32 s40, v0, s42
	s_lshl_b64 s[42:43], 1, s42
	s_andn2_b64 s[38:39], s[38:39], s[42:43]
	s_cmp_lg_u64 s[38:39], 0
	v_add_f64 v[6:7], v[6:7], s[40:41]
	s_cbranch_scc1 .LBB96_26
; %bb.27:                               ;   in Loop: Header=BB96_10 Depth=1
	v_mbcnt_lo_u32_b32 v0, exec_lo, 0
	v_mbcnt_hi_u32_b32 v0, exec_hi, v0
	v_cmp_eq_u32_e32 vcc, 0, v0
	s_and_saveexec_b64 s[38:39], vcc
	s_xor_b64 s[38:39], exec, s[38:39]
	s_cbranch_execz .LBB96_9
; %bb.28:                               ;   in Loop: Header=BB96_10 Depth=1
	s_add_u32 s36, s26, s36
	s_addc_u32 s37, s27, s37
	global_load_dwordx2 v[2:3], v14, s[36:37]
	s_mov_b64 s[38:39], 0
.LBB96_29:                              ;   Parent Loop BB96_10 Depth=1
                                        ; =>  This Inner Loop Header: Depth=2
	s_waitcnt vmcnt(0)
	v_add_f64 v[0:1], v[2:3], v[6:7]
	global_atomic_cmpswap_x2 v[0:1], v14, v[0:3], s[36:37] glc
	s_waitcnt vmcnt(0)
	v_cmp_eq_u64_e32 vcc, v[0:1], v[2:3]
	s_or_b64 s[38:39], vcc, s[38:39]
	v_pk_mov_b32 v[2:3], v[0:1], v[0:1] op_sel:[0,1]
	s_andn2_b64 exec, exec, s[38:39]
	s_cbranch_execnz .LBB96_29
; %bb.30:                               ;   in Loop: Header=BB96_10 Depth=1
	s_or_b64 exec, exec, s[38:39]
	s_branch .LBB96_9
.LBB96_31:
	s_lshl_b64 s[0:1], s[22:23], 3
	s_add_u32 s0, s12, s0
	s_addc_u32 s1, s13, s1
	s_load_dwordx2 s[0:1], s[0:1], 0x0
	s_waitcnt lgkmcnt(0)
	v_mov_b32_e32 v0, s29
	v_add_co_u32_e32 v6, vcc, s28, v11
	v_addc_co_u32_e32 v7, vcc, v0, v12, vcc
	s_sub_u32 s4, s0, s24
	s_subb_u32 s5, s1, 0
	v_cmp_gt_i64_e32 vcc, s[4:5], v[6:7]
	s_and_b64 exec, exec, vcc
	s_cbranch_execz .LBB96_41
; %bb.32:
	s_add_u32 s6, s22, -1
	s_addc_u32 s7, s23, -1
	s_add_u32 s0, s22, -2
	s_addc_u32 s1, s23, -1
	v_pk_mov_b32 v[0:1], s[20:21], s[20:21] op_sel:[0,1]
	s_cmp_lg_u64 s[0:1], s[20:21]
	v_cmp_gt_i64_e32 vcc, s[6:7], v[0:1]
	s_cselect_b64 s[0:1], -1, 0
	s_and_b64 s[0:1], vcc, s[0:1]
	v_cndmask_b32_e64 v0, 0, 1, s[0:1]
	s_mov_b64 s[8:9], 0
	v_cmp_ne_u32_e64 s[0:1], 1, v0
	v_mov_b32_e32 v12, s13
	v_mov_b32_e32 v13, s25
	;; [unrolled: 1-line block ×3, first 2 shown]
	s_branch .LBB96_34
.LBB96_33:                              ;   in Loop: Header=BB96_34 Depth=1
	s_or_b64 exec, exec, s[2:3]
	v_add_co_u32_e32 v6, vcc, 0x100, v6
	v_addc_co_u32_e32 v7, vcc, 0, v7, vcc
	v_cmp_le_i64_e32 vcc, s[4:5], v[6:7]
	s_or_b64 s[8:9], vcc, s[8:9]
	s_andn2_b64 exec, exec, s[8:9]
	s_cbranch_execz .LBB96_41
.LBB96_34:                              ; =>This Loop Header: Depth=1
                                        ;     Child Loop BB96_36 Depth 2
                                        ;     Child Loop BB96_40 Depth 2
	s_and_b64 vcc, exec, s[0:1]
	v_pk_mov_b32 v[0:1], s[20:21], s[20:21] op_sel:[0,1]
	v_pk_mov_b32 v[2:3], s[6:7], s[6:7] op_sel:[0,1]
	s_cbranch_vccnz .LBB96_38
; %bb.35:                               ;   in Loop: Header=BB96_34 Depth=1
	s_mov_b64 s[10:11], 0
	v_pk_mov_b32 v[0:1], s[20:21], s[20:21] op_sel:[0,1]
	v_pk_mov_b32 v[2:3], s[6:7], s[6:7] op_sel:[0,1]
.LBB96_36:                              ;   Parent Loop BB96_34 Depth=1
                                        ; =>  This Inner Loop Header: Depth=2
	v_add_co_u32_e32 v8, vcc, v2, v0
	v_addc_co_u32_e32 v9, vcc, v3, v1, vcc
	v_lshrrev_b32_e32 v10, 31, v9
	v_add_co_u32_e32 v8, vcc, v8, v10
	v_addc_co_u32_e32 v9, vcc, 0, v9, vcc
	v_ashrrev_i64 v[8:9], 1, v[8:9]
	v_lshlrev_b64 v[10:11], 3, v[8:9]
	v_mov_b32_e32 v15, s13
	v_add_co_u32_e32 v10, vcc, s12, v10
	v_addc_co_u32_e32 v11, vcc, v15, v11, vcc
	global_load_dwordx2 v[10:11], v[10:11], off
	v_mov_b32_e32 v15, s25
	s_waitcnt vmcnt(0)
	v_subrev_co_u32_e32 v10, vcc, s24, v10
	v_subb_co_u32_e32 v11, vcc, v11, v15, vcc
	v_cmp_gt_i64_e32 vcc, v[10:11], v[6:7]
	v_cndmask_b32_e32 v2, v2, v8, vcc
	v_cndmask_b32_e32 v3, v3, v9, vcc
	;; [unrolled: 1-line block ×3, first 2 shown]
	v_add_co_u32_e64 v8, s[2:3], -1, v2
	v_cndmask_b32_e32 v1, v9, v1, vcc
	v_addc_co_u32_e64 v9, s[2:3], -1, v3, s[2:3]
	v_cmp_ge_i64_e32 vcc, v[0:1], v[2:3]
	v_cmp_eq_u64_e64 s[2:3], v[0:1], v[8:9]
	s_or_b64 s[2:3], vcc, s[2:3]
	s_and_b64 s[2:3], exec, s[2:3]
	s_or_b64 s[10:11], s[2:3], s[10:11]
	s_andn2_b64 exec, exec, s[10:11]
	s_cbranch_execnz .LBB96_36
; %bb.37:                               ;   in Loop: Header=BB96_34 Depth=1
	s_or_b64 exec, exec, s[10:11]
.LBB96_38:                              ;   in Loop: Header=BB96_34 Depth=1
	v_lshlrev_b64 v[8:9], 3, v[2:3]
	v_add_co_u32_e32 v8, vcc, s12, v8
	v_addc_co_u32_e32 v9, vcc, v12, v9, vcc
	global_load_dwordx2 v[10:11], v[8:9], off
	v_lshlrev_b64 v[8:9], 2, v[6:7]
	v_add_co_u32_e32 v16, vcc, s14, v8
	v_addc_co_u32_e32 v17, vcc, v14, v9, vcc
	global_load_dword v15, v[16:17], off
	s_waitcnt vmcnt(1)
	v_subrev_co_u32_e32 v16, vcc, s24, v10
	v_subb_co_u32_e32 v17, vcc, v11, v13, vcc
	v_cmp_gt_i64_e32 vcc, v[16:17], v[6:7]
	v_cndmask_b32_e32 v1, v3, v1, vcc
	s_waitcnt vmcnt(0)
	v_subrev_u32_e32 v10, s24, v15
	v_cndmask_b32_e32 v0, v2, v0, vcc
	v_ashrrev_i32_e32 v11, 31, v10
	v_cmp_ne_u64_e32 vcc, v[0:1], v[10:11]
	s_and_saveexec_b64 s[2:3], vcc
	s_cbranch_execz .LBB96_33
; %bb.39:                               ;   in Loop: Header=BB96_34 Depth=1
	v_lshlrev_b64 v[2:3], 3, v[10:11]
	v_mov_b32_e32 v11, s17
	v_add_co_u32_e32 v8, vcc, s16, v8
	v_addc_co_u32_e32 v9, vcc, v11, v9, vcc
	v_lshlrev_b64 v[0:1], 3, v[0:1]
	global_load_dword v11, v[8:9], off
	v_mov_b32_e32 v8, s19
	v_add_co_u32_e32 v0, vcc, s18, v0
	v_addc_co_u32_e32 v1, vcc, v8, v1, vcc
	v_mov_b32_e32 v10, s27
	v_add_co_u32_e32 v8, vcc, s26, v2
	global_load_dwordx2 v[0:1], v[0:1], off
	v_addc_co_u32_e32 v9, vcc, v10, v3, vcc
	global_load_dwordx2 v[2:3], v[8:9], off
	s_mov_b64 s[10:11], 0
	s_waitcnt vmcnt(2)
	v_cvt_f64_f32_e32 v[10:11], v11
	v_mul_f64 v[10:11], v[4:5], v[10:11]
	s_waitcnt vmcnt(1)
	v_mul_f64 v[10:11], v[0:1], v[10:11]
.LBB96_40:                              ;   Parent Loop BB96_34 Depth=1
                                        ; =>  This Inner Loop Header: Depth=2
	s_waitcnt vmcnt(0)
	v_add_f64 v[0:1], v[2:3], v[10:11]
	global_atomic_cmpswap_x2 v[0:1], v[8:9], v[0:3], off glc
	s_waitcnt vmcnt(0)
	v_cmp_eq_u64_e32 vcc, v[0:1], v[2:3]
	s_or_b64 s[10:11], vcc, s[10:11]
	v_pk_mov_b32 v[2:3], v[0:1], v[0:1] op_sel:[0,1]
	s_andn2_b64 exec, exec, s[10:11]
	s_cbranch_execnz .LBB96_40
	s_branch .LBB96_33
.LBB96_41:
	s_endpgm
	.section	.rodata,"a",@progbits
	.p2align	6, 0x0
	.amdhsa_kernel _ZL33csrmvn_symm_large_adaptive_kernelIlifdddEvbT_PKS0_N9rocsparse24const_host_device_scalarIT4_EES2_PKT0_PKT1_PKT2_S6_PT3_21rocsparse_index_base_b
		.amdhsa_group_segment_fixed_size 8192
		.amdhsa_private_segment_fixed_size 0
		.amdhsa_kernarg_size 88
		.amdhsa_user_sgpr_count 6
		.amdhsa_user_sgpr_private_segment_buffer 1
		.amdhsa_user_sgpr_dispatch_ptr 0
		.amdhsa_user_sgpr_queue_ptr 0
		.amdhsa_user_sgpr_kernarg_segment_ptr 1
		.amdhsa_user_sgpr_dispatch_id 0
		.amdhsa_user_sgpr_flat_scratch_init 0
		.amdhsa_user_sgpr_kernarg_preload_length 0
		.amdhsa_user_sgpr_kernarg_preload_offset 0
		.amdhsa_user_sgpr_private_segment_size 0
		.amdhsa_uses_dynamic_stack 0
		.amdhsa_system_sgpr_private_segment_wavefront_offset 0
		.amdhsa_system_sgpr_workgroup_id_x 1
		.amdhsa_system_sgpr_workgroup_id_y 0
		.amdhsa_system_sgpr_workgroup_id_z 0
		.amdhsa_system_sgpr_workgroup_info 0
		.amdhsa_system_vgpr_workitem_id 0
		.amdhsa_next_free_vgpr 20
		.amdhsa_next_free_sgpr 46
		.amdhsa_accum_offset 20
		.amdhsa_reserve_vcc 1
		.amdhsa_reserve_flat_scratch 0
		.amdhsa_float_round_mode_32 0
		.amdhsa_float_round_mode_16_64 0
		.amdhsa_float_denorm_mode_32 3
		.amdhsa_float_denorm_mode_16_64 3
		.amdhsa_dx10_clamp 1
		.amdhsa_ieee_mode 1
		.amdhsa_fp16_overflow 0
		.amdhsa_tg_split 0
		.amdhsa_exception_fp_ieee_invalid_op 0
		.amdhsa_exception_fp_denorm_src 0
		.amdhsa_exception_fp_ieee_div_zero 0
		.amdhsa_exception_fp_ieee_overflow 0
		.amdhsa_exception_fp_ieee_underflow 0
		.amdhsa_exception_fp_ieee_inexact 0
		.amdhsa_exception_int_div_zero 0
	.end_amdhsa_kernel
	.section	.text._ZL33csrmvn_symm_large_adaptive_kernelIlifdddEvbT_PKS0_N9rocsparse24const_host_device_scalarIT4_EES2_PKT0_PKT1_PKT2_S6_PT3_21rocsparse_index_base_b,"axG",@progbits,_ZL33csrmvn_symm_large_adaptive_kernelIlifdddEvbT_PKS0_N9rocsparse24const_host_device_scalarIT4_EES2_PKT0_PKT1_PKT2_S6_PT3_21rocsparse_index_base_b,comdat
.Lfunc_end96:
	.size	_ZL33csrmvn_symm_large_adaptive_kernelIlifdddEvbT_PKS0_N9rocsparse24const_host_device_scalarIT4_EES2_PKT0_PKT1_PKT2_S6_PT3_21rocsparse_index_base_b, .Lfunc_end96-_ZL33csrmvn_symm_large_adaptive_kernelIlifdddEvbT_PKS0_N9rocsparse24const_host_device_scalarIT4_EES2_PKT0_PKT1_PKT2_S6_PT3_21rocsparse_index_base_b
                                        ; -- End function
	.section	.AMDGPU.csdata,"",@progbits
; Kernel info:
; codeLenInByte = 1860
; NumSgprs: 50
; NumVgprs: 20
; NumAgprs: 0
; TotalNumVgprs: 20
; ScratchSize: 0
; MemoryBound: 0
; FloatMode: 240
; IeeeMode: 1
; LDSByteSize: 8192 bytes/workgroup (compile time only)
; SGPRBlocks: 6
; VGPRBlocks: 2
; NumSGPRsForWavesPerEU: 50
; NumVGPRsForWavesPerEU: 20
; AccumOffset: 20
; Occupancy: 8
; WaveLimiterHint : 1
; COMPUTE_PGM_RSRC2:SCRATCH_EN: 0
; COMPUTE_PGM_RSRC2:USER_SGPR: 6
; COMPUTE_PGM_RSRC2:TRAP_HANDLER: 0
; COMPUTE_PGM_RSRC2:TGID_X_EN: 1
; COMPUTE_PGM_RSRC2:TGID_Y_EN: 0
; COMPUTE_PGM_RSRC2:TGID_Z_EN: 0
; COMPUTE_PGM_RSRC2:TIDIG_COMP_CNT: 0
; COMPUTE_PGM_RSRC3_GFX90A:ACCUM_OFFSET: 4
; COMPUTE_PGM_RSRC3_GFX90A:TG_SPLIT: 0
	.section	.text._ZN9rocsparseL22csrmvn_adaptive_kernelIllfdddEEvbT_PKS1_PjPKT0_NS_24const_host_device_scalarIT4_EES3_S7_PKT1_PKT2_SA_PT3_21rocsparse_index_base_b,"axG",@progbits,_ZN9rocsparseL22csrmvn_adaptive_kernelIllfdddEEvbT_PKS1_PjPKT0_NS_24const_host_device_scalarIT4_EES3_S7_PKT1_PKT2_SA_PT3_21rocsparse_index_base_b,comdat
	.globl	_ZN9rocsparseL22csrmvn_adaptive_kernelIllfdddEEvbT_PKS1_PjPKT0_NS_24const_host_device_scalarIT4_EES3_S7_PKT1_PKT2_SA_PT3_21rocsparse_index_base_b ; -- Begin function _ZN9rocsparseL22csrmvn_adaptive_kernelIllfdddEEvbT_PKS1_PjPKT0_NS_24const_host_device_scalarIT4_EES3_S7_PKT1_PKT2_SA_PT3_21rocsparse_index_base_b
	.p2align	8
	.type	_ZN9rocsparseL22csrmvn_adaptive_kernelIllfdddEEvbT_PKS1_PjPKT0_NS_24const_host_device_scalarIT4_EES3_S7_PKT1_PKT2_SA_PT3_21rocsparse_index_base_b,@function
_ZN9rocsparseL22csrmvn_adaptive_kernelIllfdddEEvbT_PKS1_PjPKT0_NS_24const_host_device_scalarIT4_EES3_S7_PKT1_PKT2_SA_PT3_21rocsparse_index_base_b: ; @_ZN9rocsparseL22csrmvn_adaptive_kernelIllfdddEEvbT_PKS1_PjPKT0_NS_24const_host_device_scalarIT4_EES3_S7_PKT1_PKT2_SA_PT3_21rocsparse_index_base_b
; %bb.0:
	s_load_dwordx2 s[46:47], s[4:5], 0x60
	s_load_dwordx2 s[8:9], s[4:5], 0x28
	;; [unrolled: 1-line block ×3, first 2 shown]
	s_waitcnt lgkmcnt(0)
	s_bitcmp1_b32 s47, 0
	s_cselect_b64 s[10:11], -1, 0
	s_xor_b64 s[2:3], s[10:11], -1
	s_and_b64 vcc, exec, s[10:11]
	v_pk_mov_b32 v[8:9], s[8:9], s[8:9] op_sel:[0,1]
	s_cbranch_vccnz .LBB97_2
; %bb.1:
	v_pk_mov_b32 v[2:3], s[8:9], s[8:9] op_sel:[0,1]
	flat_load_dwordx2 v[8:9], v[2:3]
.LBB97_2:
	s_andn2_b64 vcc, exec, s[2:3]
	v_pk_mov_b32 v[6:7], s[0:1], s[0:1] op_sel:[0,1]
	s_cbranch_vccnz .LBB97_4
; %bb.3:
	v_pk_mov_b32 v[2:3], s[0:1], s[0:1] op_sel:[0,1]
	flat_load_dwordx2 v[6:7], v[2:3]
.LBB97_4:
	s_waitcnt vmcnt(0) lgkmcnt(0)
	v_cmp_neq_f64_e32 vcc, 0, v[8:9]
	v_cmp_neq_f64_e64 s[0:1], 1.0, v[6:7]
	s_or_b64 s[0:1], vcc, s[0:1]
	s_and_saveexec_b64 s[2:3], s[0:1]
	s_cbranch_execz .LBB97_116
; %bb.5:
	s_load_dwordx2 s[0:1], s[4:5], 0x10
	s_load_dwordx2 s[2:3], s[4:5], 0x20
	s_ashr_i32 s7, s6, 31
	s_lshl_b64 s[8:9], s[6:7], 3
	s_waitcnt lgkmcnt(0)
	s_add_u32 s0, s0, s8
	s_addc_u32 s1, s1, s9
	s_load_dwordx4 s[36:39], s[0:1], 0x0
	s_load_dwordx2 s[34:35], s[4:5], 0x58
	s_load_dwordx8 s[24:31], s[4:5], 0x30
	s_waitcnt lgkmcnt(0)
	s_sub_u32 s0, s38, s36
	s_subb_u32 s1, s39, s37
	s_add_u32 s2, s2, s8
	s_addc_u32 s3, s3, s9
	s_lshl_b64 s[48:49], s[36:37], 3
	s_add_u32 s44, s24, s48
	s_addc_u32 s45, s25, s49
	s_load_dwordx2 s[40:41], s[2:3], 0x0
	s_load_dwordx2 s[42:43], s[44:45], 0x0
	v_cmp_lt_i64_e64 s[8:9], s[0:1], 2
	s_mov_b64 s[2:3], -1
	s_and_b64 vcc, exec, s[8:9]
	s_cbranch_vccz .LBB97_72
; %bb.6:
	s_cmp_lg_u64 s[0:1], 1
	s_cselect_b64 s[0:1], -1, 0
	s_waitcnt lgkmcnt(0)
	s_cmp_lg_u64 s[40:41], 0
	s_cselect_b64 s[2:3], -1, 0
	s_or_b64 s[2:3], s[0:1], s[2:3]
	s_mov_b64 s[0:1], -1
	s_and_b64 vcc, exec, s[2:3]
	s_cbranch_vccnz .LBB97_35
; %bb.7:
	v_pk_mov_b32 v[2:3], s[36:37], s[36:37] op_sel:[0,1]
	v_cmp_le_i64_e32 vcc, s[38:39], v[2:3]
	s_cbranch_vccnz .LBB97_34
; %bb.8:
	v_subrev_co_u32_e32 v1, vcc, s46, v0
	v_subb_co_u32_e64 v16, s[0:1], 0, 0, vcc
	s_mov_b32 s22, 0
	s_movk_i32 s0, 0x80
	s_add_u32 s33, s24, 8
	v_lshlrev_b32_e32 v17, 3, v0
	v_cmp_gt_u32_e64 s[0:1], s0, v0
	v_cmp_gt_u32_e64 s[2:3], 64, v0
	;; [unrolled: 1-line block ×7, first 2 shown]
	v_cmp_eq_u32_e64 s[18:19], 0, v0
	v_cmp_neq_f64_e64 s[20:21], 0, v[6:7]
	s_addc_u32 s47, s25, 0
	v_mov_b32_e32 v18, s22
	v_mov_b32_e32 v19, s31
	s_movk_i32 s62, 0x100
	v_mov_b32_e32 v20, 0
	v_pk_mov_b32 v[2:3], s[38:39], s[38:39] op_sel:[0,1]
	s_mov_b64 s[52:53], s[42:43]
	s_mov_b64 s[50:51], s[36:37]
	s_branch .LBB97_11
.LBB97_9:                               ;   in Loop: Header=BB97_11 Depth=1
	s_or_b64 exec, exec, s[56:57]
	s_add_u32 s54, s34, s54
	s_addc_u32 s55, s35, s55
	s_waitcnt lgkmcnt(0)
	global_store_dwordx2 v20, v[4:5], s[54:55]
.LBB97_10:                              ;   in Loop: Header=BB97_11 Depth=1
	s_or_b64 exec, exec, s[22:23]
	s_add_u32 s50, s50, 1
	s_addc_u32 s51, s51, 0
	v_cmp_ge_i64_e32 vcc, s[50:51], v[2:3]
	s_cbranch_vccnz .LBB97_34
.LBB97_11:                              ; =>This Loop Header: Depth=1
                                        ;     Child Loop BB97_13 Depth 2
	s_lshl_b64 s[54:55], s[50:51], 3
	s_mov_b64 s[22:23], s[52:53]
	s_add_u32 s52, s33, s54
	s_addc_u32 s53, s47, s55
	s_load_dwordx2 s[52:53], s[52:53], 0x0
	v_mov_b32_e32 v5, s23
	v_add_co_u32_e32 v4, vcc, s22, v1
	v_addc_co_u32_e32 v5, vcc, v5, v16, vcc
	s_waitcnt lgkmcnt(0)
	s_sub_u32 s56, s52, s46
	s_subb_u32 s57, s53, 0
	v_cmp_gt_i64_e32 vcc, s[56:57], v[4:5]
	v_pk_mov_b32 v[10:11], 0, 0
	s_and_saveexec_b64 s[58:59], vcc
	s_cbranch_execz .LBB97_15
; %bb.12:                               ;   in Loop: Header=BB97_11 Depth=1
	v_lshlrev_b64 v[10:11], 2, v[4:5]
	v_mov_b32_e32 v13, s29
	v_add_co_u32_e32 v12, vcc, s28, v10
	v_addc_co_u32_e32 v13, vcc, v13, v11, vcc
	v_lshlrev_b64 v[10:11], 3, v[4:5]
	v_mov_b32_e32 v15, s27
	v_add_co_u32_e32 v14, vcc, s26, v10
	v_addc_co_u32_e32 v15, vcc, v15, v11, vcc
	s_mov_b64 s[60:61], 0
	v_pk_mov_b32 v[10:11], 0, 0
.LBB97_13:                              ;   Parent Loop BB97_11 Depth=1
                                        ; =>  This Inner Loop Header: Depth=2
	global_load_dwordx2 v[22:23], v[14:15], off
	global_load_dword v21, v[12:13], off
	s_waitcnt vmcnt(1)
	v_subrev_co_u32_e32 v22, vcc, s46, v22
	v_subb_co_u32_e32 v23, vcc, v23, v18, vcc
	v_lshlrev_b64 v[22:23], 3, v[22:23]
	v_add_co_u32_e32 v22, vcc, s30, v22
	v_addc_co_u32_e32 v23, vcc, v19, v23, vcc
	global_load_dwordx2 v[22:23], v[22:23], off
	v_add_co_u32_e32 v4, vcc, s62, v4
	v_addc_co_u32_e32 v5, vcc, 0, v5, vcc
	v_add_co_u32_e32 v12, vcc, 0x400, v12
	v_addc_co_u32_e32 v13, vcc, 0, v13, vcc
	s_waitcnt vmcnt(1)
	v_cvt_f64_f32_e32 v[24:25], v21
	v_add_co_u32_e32 v14, vcc, 0x800, v14
	v_cmp_le_i64_e64 s[22:23], s[56:57], v[4:5]
	v_mul_f64 v[24:25], v[8:9], v[24:25]
	v_addc_co_u32_e32 v15, vcc, 0, v15, vcc
	s_or_b64 s[60:61], s[22:23], s[60:61]
	s_waitcnt vmcnt(0)
	v_fmac_f64_e32 v[10:11], v[24:25], v[22:23]
	s_andn2_b64 exec, exec, s[60:61]
	s_cbranch_execnz .LBB97_13
; %bb.14:                               ;   in Loop: Header=BB97_11 Depth=1
	s_or_b64 exec, exec, s[60:61]
.LBB97_15:                              ;   in Loop: Header=BB97_11 Depth=1
	s_or_b64 exec, exec, s[58:59]
	ds_write_b64 v17, v[10:11]
	s_waitcnt lgkmcnt(0)
	s_barrier
	s_and_saveexec_b64 s[22:23], s[0:1]
	s_cbranch_execz .LBB97_17
; %bb.16:                               ;   in Loop: Header=BB97_11 Depth=1
	ds_read2st64_b64 v[10:13], v17 offset1:2
	s_waitcnt lgkmcnt(0)
	v_add_f64 v[4:5], v[10:11], v[12:13]
	ds_write_b64 v17, v[4:5]
.LBB97_17:                              ;   in Loop: Header=BB97_11 Depth=1
	s_or_b64 exec, exec, s[22:23]
	s_waitcnt lgkmcnt(0)
	s_barrier
	s_and_saveexec_b64 s[22:23], s[2:3]
	s_cbranch_execz .LBB97_19
; %bb.18:                               ;   in Loop: Header=BB97_11 Depth=1
	ds_read2st64_b64 v[10:13], v17 offset1:1
	s_waitcnt lgkmcnt(0)
	v_add_f64 v[4:5], v[10:11], v[12:13]
	ds_write_b64 v17, v[4:5]
.LBB97_19:                              ;   in Loop: Header=BB97_11 Depth=1
	s_or_b64 exec, exec, s[22:23]
	s_waitcnt lgkmcnt(0)
	s_barrier
	s_and_saveexec_b64 s[22:23], s[8:9]
	s_cbranch_execz .LBB97_21
; %bb.20:                               ;   in Loop: Header=BB97_11 Depth=1
	ds_read2_b64 v[10:13], v17 offset1:32
	s_waitcnt lgkmcnt(0)
	v_add_f64 v[4:5], v[10:11], v[12:13]
	ds_write_b64 v17, v[4:5]
.LBB97_21:                              ;   in Loop: Header=BB97_11 Depth=1
	s_or_b64 exec, exec, s[22:23]
	s_waitcnt lgkmcnt(0)
	s_barrier
	s_and_saveexec_b64 s[22:23], s[10:11]
	s_cbranch_execz .LBB97_23
; %bb.22:                               ;   in Loop: Header=BB97_11 Depth=1
	ds_read2_b64 v[10:13], v17 offset1:16
	s_waitcnt lgkmcnt(0)
	v_add_f64 v[4:5], v[10:11], v[12:13]
	ds_write_b64 v17, v[4:5]
.LBB97_23:                              ;   in Loop: Header=BB97_11 Depth=1
	;; [unrolled: 11-line block ×5, first 2 shown]
	s_or_b64 exec, exec, s[22:23]
	s_waitcnt lgkmcnt(0)
	s_barrier
	s_and_saveexec_b64 s[22:23], s[18:19]
	s_cbranch_execz .LBB97_31
; %bb.30:                               ;   in Loop: Header=BB97_11 Depth=1
	ds_read_b128 v[10:13], v20
	s_waitcnt lgkmcnt(0)
	v_add_f64 v[4:5], v[10:11], v[12:13]
	ds_write_b64 v20, v[4:5]
.LBB97_31:                              ;   in Loop: Header=BB97_11 Depth=1
	s_or_b64 exec, exec, s[22:23]
	s_waitcnt lgkmcnt(0)
	s_barrier
	s_and_saveexec_b64 s[22:23], s[18:19]
	s_cbranch_execz .LBB97_10
; %bb.32:                               ;   in Loop: Header=BB97_11 Depth=1
	ds_read_b64 v[4:5], v20
	s_and_saveexec_b64 s[56:57], s[20:21]
	s_cbranch_execz .LBB97_9
; %bb.33:                               ;   in Loop: Header=BB97_11 Depth=1
	s_add_u32 s58, s34, s54
	s_addc_u32 s59, s35, s55
	global_load_dwordx2 v[10:11], v20, s[58:59]
	s_waitcnt vmcnt(0) lgkmcnt(0)
	v_fmac_f64_e32 v[4:5], v[6:7], v[10:11]
	s_branch .LBB97_9
.LBB97_34:
	s_mov_b64 s[0:1], 0
.LBB97_35:
	s_andn2_b64 vcc, exec, s[0:1]
	s_cbranch_vccnz .LBB97_71
; %bb.36:
	s_load_dwordx2 s[8:9], s[4:5], 0x18
	s_sub_u32 s10, s6, s40
	s_subb_u32 s11, s7, s41
	s_lshl_b64 s[0:1], s[6:7], 2
	s_mov_b32 s21, 0
	s_waitcnt lgkmcnt(0)
	s_add_u32 s6, s8, s0
	s_addc_u32 s7, s9, s1
	s_load_dword s20, s[6:7], 0x0
	s_cmp_eq_u64 s[40:41], 0
	s_cselect_b64 s[2:3], -1, 0
	s_cmp_lg_u64 s[40:41], 0
	v_cmp_eq_u32_e64 s[0:1], 0, v0
	s_cselect_b64 s[12:13], -1, 0
	s_and_b64 s[14:15], s[0:1], s[2:3]
	v_pk_mov_b32 v[2:3], 0, 0
	s_and_saveexec_b64 s[2:3], s[14:15]
	s_cbranch_execz .LBB97_40
; %bb.37:
	s_add_u32 s14, s34, s48
	s_addc_u32 s15, s35, s49
	s_load_dwordx2 s[14:15], s[14:15], 0x0
	s_mov_b64 s[16:17], exec
	v_mbcnt_lo_u32_b32 v1, s16, 0
	v_mbcnt_hi_u32_b32 v1, s17, v1
	v_add_f64 v[2:3], v[6:7], -1.0
	v_cmp_eq_u32_e32 vcc, 0, v1
	s_waitcnt vmcnt(0) expcnt(0) lgkmcnt(0)
	s_and_saveexec_b64 s[18:19], vcc
	s_cbranch_execz .LBB97_39
; %bb.38:
	s_lshl_b64 s[22:23], s[10:11], 2
	s_add_u32 s22, s8, s22
	s_addc_u32 s23, s9, s23
	s_bcnt1_i32_b64 s16, s[16:17]
	s_and_b32 s16, s16, 1
	v_mov_b32_e32 v1, 0
	v_mov_b32_e32 v4, s16
	global_atomic_xor v1, v4, s[22:23]
.LBB97_39:
	s_or_b64 exec, exec, s[18:19]
	v_mul_f64 v[2:3], v[2:3], s[14:15]
.LBB97_40:
	s_or_b64 exec, exec, s[2:3]
	s_mul_i32 s2, s41, 0xc00
	s_mul_hi_u32 s3, s40, 0xc00
	s_add_i32 s14, s3, s2
	s_load_dwordx2 s[2:3], s[44:45], 0x8
	s_sub_u32 s16, s42, s46
	s_mul_i32 s15, s40, 0xc00
	s_subb_u32 s17, s43, 0
	s_add_u32 s16, s16, s15
	s_addc_u32 s17, s17, s14
	s_waitcnt lgkmcnt(0)
	s_sub_u32 s2, s2, s46
	v_mov_b32_e32 v1, s17
	v_add_co_u32_e32 v4, vcc, s16, v0
	s_subb_u32 s3, s3, 0
	v_addc_co_u32_e32 v5, vcc, 0, v1, vcc
	v_cmp_gt_i64_e32 vcc, s[2:3], v[4:5]
	s_and_saveexec_b64 s[14:15], vcc
	s_cbranch_execz .LBB97_44
; %bb.41:
	s_add_u32 s16, s16, 0xc00
	s_addc_u32 s17, s17, 0
	v_pk_mov_b32 v[10:11], s[2:3], s[2:3] op_sel:[0,1]
	v_cmp_lt_i64_e32 vcc, s[16:17], v[10:11]
	v_lshlrev_b64 v[10:11], 2, v[4:5]
	s_and_b64 s[18:19], vcc, exec
	v_mov_b32_e32 v1, s29
	v_add_co_u32_e32 v10, vcc, s28, v10
	v_addc_co_u32_e32 v11, vcc, v1, v11, vcc
	v_lshlrev_b64 v[12:13], 3, v[4:5]
	v_mov_b32_e32 v1, s27
	v_add_co_u32_e32 v12, vcc, s26, v12
	s_cselect_b32 s17, s17, s3
	s_cselect_b32 s16, s16, s2
	v_addc_co_u32_e32 v13, vcc, v1, v13, vcc
	s_mov_b64 s[18:19], 0
	v_mov_b32_e32 v1, s21
	v_mov_b32_e32 v14, s31
	s_movk_i32 s21, 0x100
.LBB97_42:                              ; =>This Inner Loop Header: Depth=1
	global_load_dwordx2 v[16:17], v[12:13], off
	global_load_dword v15, v[10:11], off
	s_waitcnt vmcnt(1)
	v_subrev_co_u32_e32 v16, vcc, s46, v16
	v_subb_co_u32_e32 v17, vcc, v17, v1, vcc
	v_lshlrev_b64 v[16:17], 3, v[16:17]
	v_add_co_u32_e32 v16, vcc, s30, v16
	v_addc_co_u32_e32 v17, vcc, v14, v17, vcc
	global_load_dwordx2 v[16:17], v[16:17], off
	v_add_co_u32_e32 v4, vcc, s21, v4
	v_addc_co_u32_e32 v5, vcc, 0, v5, vcc
	v_add_co_u32_e32 v10, vcc, 0x400, v10
	v_addc_co_u32_e32 v11, vcc, 0, v11, vcc
	s_waitcnt vmcnt(1)
	v_cvt_f64_f32_e32 v[18:19], v15
	v_add_co_u32_e32 v12, vcc, 0x800, v12
	v_cmp_le_i64_e64 s[2:3], s[16:17], v[4:5]
	v_mul_f64 v[18:19], v[8:9], v[18:19]
	v_addc_co_u32_e32 v13, vcc, 0, v13, vcc
	s_or_b64 s[18:19], s[2:3], s[18:19]
	s_waitcnt vmcnt(0)
	v_fmac_f64_e32 v[2:3], v[18:19], v[16:17]
	s_andn2_b64 exec, exec, s[18:19]
	s_cbranch_execnz .LBB97_42
; %bb.43:
	s_or_b64 exec, exec, s[18:19]
.LBB97_44:
	s_or_b64 exec, exec, s[14:15]
	s_movk_i32 s2, 0x80
	v_lshlrev_b32_e32 v1, 3, v0
	v_cmp_gt_u32_e32 vcc, s2, v0
	ds_write_b64 v1, v[2:3]
	s_waitcnt lgkmcnt(0)
	s_barrier
	s_and_saveexec_b64 s[2:3], vcc
	s_cbranch_execz .LBB97_46
; %bb.45:
	ds_read2st64_b64 v[2:5], v1 offset1:2
	s_waitcnt lgkmcnt(0)
	v_add_f64 v[2:3], v[2:3], v[4:5]
	ds_write_b64 v1, v[2:3]
.LBB97_46:
	s_or_b64 exec, exec, s[2:3]
	v_cmp_gt_u32_e32 vcc, 64, v0
	s_waitcnt lgkmcnt(0)
	s_barrier
	s_and_saveexec_b64 s[2:3], vcc
	s_cbranch_execz .LBB97_48
; %bb.47:
	ds_read2st64_b64 v[2:5], v1 offset1:1
	s_waitcnt lgkmcnt(0)
	v_add_f64 v[2:3], v[2:3], v[4:5]
	ds_write_b64 v1, v[2:3]
.LBB97_48:
	s_or_b64 exec, exec, s[2:3]
	v_cmp_gt_u32_e32 vcc, 32, v0
	s_waitcnt lgkmcnt(0)
	s_barrier
	s_and_saveexec_b64 s[2:3], vcc
	s_cbranch_execz .LBB97_50
; %bb.49:
	ds_read2_b64 v[2:5], v1 offset1:32
	s_waitcnt lgkmcnt(0)
	v_add_f64 v[2:3], v[2:3], v[4:5]
	ds_write_b64 v1, v[2:3]
.LBB97_50:
	s_or_b64 exec, exec, s[2:3]
	v_cmp_gt_u32_e32 vcc, 16, v0
	s_waitcnt lgkmcnt(0)
	s_barrier
	s_and_saveexec_b64 s[2:3], vcc
	s_cbranch_execz .LBB97_52
; %bb.51:
	ds_read2_b64 v[2:5], v1 offset1:16
	s_waitcnt lgkmcnt(0)
	v_add_f64 v[2:3], v[2:3], v[4:5]
	ds_write_b64 v1, v[2:3]
.LBB97_52:
	;; [unrolled: 12-line block ×5, first 2 shown]
	s_or_b64 exec, exec, s[2:3]
	s_waitcnt lgkmcnt(0)
	s_barrier
	s_and_saveexec_b64 s[2:3], s[0:1]
	s_cbranch_execz .LBB97_60
; %bb.59:
	v_mov_b32_e32 v1, 0
	ds_read_b128 v[2:5], v1
	s_waitcnt lgkmcnt(0)
	v_add_f64 v[2:3], v[2:3], v[4:5]
	ds_write_b64 v1, v[2:3]
.LBB97_60:
	s_or_b64 exec, exec, s[2:3]
	s_waitcnt lgkmcnt(0)
	s_barrier
	s_and_saveexec_b64 s[2:3], s[0:1]
	s_cbranch_execz .LBB97_70
; %bb.61:
	s_andn2_b64 vcc, exec, s[12:13]
	s_cbranch_vccnz .LBB97_67
; %bb.62:
	s_lshl_b64 s[0:1], s[10:11], 2
	s_add_u32 s0, s8, s0
	s_addc_u32 s1, s9, s1
	v_mov_b32_e32 v1, 0
	s_branch .LBB97_64
.LBB97_63:                              ;   in Loop: Header=BB97_64 Depth=1
	s_or_b64 exec, exec, s[8:9]
	s_waitcnt vmcnt(0)
	v_readfirstlane_b32 s8, v2
	s_cmp_eq_u32 s8, s20
	s_cbranch_scc0 .LBB97_66
.LBB97_64:                              ; =>This Inner Loop Header: Depth=1
	v_mbcnt_lo_u32_b32 v2, exec_lo, 0
	v_mbcnt_hi_u32_b32 v2, exec_hi, v2
	v_cmp_eq_u32_e32 vcc, 0, v2
                                        ; implicit-def: $vgpr2
	s_and_saveexec_b64 s[8:9], vcc
	s_cbranch_execz .LBB97_63
; %bb.65:                               ;   in Loop: Header=BB97_64 Depth=1
	global_load_dword v2, v1, s[0:1] glc
	s_branch .LBB97_63
.LBB97_66:
	v_mov_b32_e32 v1, 0
	global_load_dword v2, v1, s[6:7]
	s_waitcnt vmcnt(0)
	v_xor_b32_e32 v2, 1, v2
	global_store_dword v1, v2, s[6:7]
.LBB97_67:
	s_mov_b64 s[6:7], exec
	v_mbcnt_lo_u32_b32 v1, s6, 0
	v_mbcnt_hi_u32_b32 v1, s7, v1
	v_cmp_eq_u32_e32 vcc, 0, v1
	s_and_b64 s[0:1], exec, vcc
	s_mov_b64 exec, s[0:1]
	s_cbranch_execz .LBB97_70
; %bb.68:
	s_add_u32 s0, s34, s48
	s_addc_u32 s1, s35, s49
	v_mov_b32_e32 v1, 0
	global_load_dwordx2 v[4:5], v1, s[0:1]
	ds_read_b64 v[2:3], v1
	s_bcnt1_i32_b64 s6, s[6:7]
	v_cvt_f64_u32_e32 v[10:11], s6
	s_mov_b64 s[6:7], 0
	s_waitcnt lgkmcnt(0)
	v_mul_f64 v[10:11], v[2:3], v[10:11]
.LBB97_69:                              ; =>This Inner Loop Header: Depth=1
	s_waitcnt vmcnt(0)
	v_add_f64 v[2:3], v[4:5], v[10:11]
	global_atomic_cmpswap_x2 v[2:3], v1, v[2:5], s[0:1] glc
	s_waitcnt vmcnt(0)
	v_cmp_eq_u64_e32 vcc, v[2:3], v[4:5]
	s_or_b64 s[6:7], vcc, s[6:7]
	v_pk_mov_b32 v[4:5], v[2:3], v[2:3] op_sel:[0,1]
	s_andn2_b64 exec, exec, s[6:7]
	s_cbranch_execnz .LBB97_69
.LBB97_70:
	s_or_b64 exec, exec, s[2:3]
.LBB97_71:
	s_mov_b64 s[2:3], 0
.LBB97_72:
	s_andn2_b64 vcc, exec, s[2:3]
	s_cbranch_vccnz .LBB97_116
; %bb.73:
	s_load_dwordx2 s[0:1], s[4:5], 0x8
	v_subrev_co_u32_e32 v1, vcc, s46, v0
	v_subb_co_u32_e64 v3, s[2:3], 0, 0, vcc
	s_waitcnt lgkmcnt(0)
	v_mov_b32_e32 v4, s43
	v_add_co_u32_e32 v2, vcc, s42, v1
	v_addc_co_u32_e32 v3, vcc, v4, v3, vcc
	v_add_co_u32_e32 v4, vcc, 0x300, v2
	v_addc_co_u32_e32 v5, vcc, 0, v3, vcc
	s_mov_b32 s10, 0
	v_cmp_le_i64_e32 vcc, s[0:1], v[4:5]
	s_and_saveexec_b64 s[0:1], vcc
	s_xor_b64 s[2:3], exec, s[0:1]
	s_cbranch_execz .LBB97_78
; %bb.74:
	s_lshl_b64 s[0:1], s[38:39], 3
	s_add_u32 s0, s24, s0
	s_addc_u32 s1, s25, s1
	s_load_dwordx2 s[0:1], s[0:1], 0x0
	s_waitcnt lgkmcnt(0)
	s_sub_u32 s4, s0, s46
	s_subb_u32 s5, s1, 0
	v_cmp_gt_i64_e32 vcc, s[4:5], v[2:3]
	s_and_saveexec_b64 s[6:7], vcc
	s_cbranch_execz .LBB97_77
; %bb.75:
	v_lshlrev_b64 v[4:5], 2, v[2:3]
	v_mov_b32_e32 v10, s29
	v_add_co_u32_e32 v4, vcc, s28, v4
	v_addc_co_u32_e32 v5, vcc, v10, v5, vcc
	v_lshlrev_b64 v[10:11], 3, v[2:3]
	v_mov_b32_e32 v12, s27
	v_add_co_u32_e32 v10, vcc, s26, v10
	v_lshlrev_b32_e32 v1, 3, v0
	v_addc_co_u32_e32 v11, vcc, v12, v11, vcc
	s_mov_b64 s[8:9], 0
	v_mov_b32_e32 v12, s10
	v_mov_b32_e32 v13, s31
	s_movk_i32 s11, 0x100
.LBB97_76:                              ; =>This Inner Loop Header: Depth=1
	global_load_dwordx2 v[14:15], v[10:11], off
	global_load_dword v16, v[4:5], off
	s_waitcnt vmcnt(1)
	v_subrev_co_u32_e32 v14, vcc, s46, v14
	v_subb_co_u32_e32 v15, vcc, v15, v12, vcc
	v_lshlrev_b64 v[14:15], 3, v[14:15]
	v_add_co_u32_e32 v14, vcc, s30, v14
	v_addc_co_u32_e32 v15, vcc, v13, v15, vcc
	global_load_dwordx2 v[14:15], v[14:15], off
	v_add_co_u32_e32 v2, vcc, s11, v2
	v_addc_co_u32_e32 v3, vcc, 0, v3, vcc
	v_add_co_u32_e32 v4, vcc, 0x400, v4
	s_waitcnt vmcnt(1)
	v_cvt_f64_f32_e32 v[16:17], v16
	v_addc_co_u32_e32 v5, vcc, 0, v5, vcc
	v_mul_f64 v[16:17], v[8:9], v[16:17]
	v_add_co_u32_e32 v10, vcc, 0x800, v10
	v_cmp_le_i64_e64 s[0:1], s[4:5], v[2:3]
	v_addc_co_u32_e32 v11, vcc, 0, v11, vcc
	s_or_b64 s[8:9], s[0:1], s[8:9]
	s_waitcnt vmcnt(0)
	v_mul_f64 v[14:15], v[16:17], v[14:15]
	ds_write_b64 v1, v[14:15]
	v_add_u32_e32 v1, 0x800, v1
	s_andn2_b64 exec, exec, s[8:9]
	s_cbranch_execnz .LBB97_76
.LBB97_77:
	s_or_b64 exec, exec, s[6:7]
                                        ; implicit-def: $vgpr2_vgpr3
                                        ; implicit-def: $vgpr8_vgpr9
.LBB97_78:
	s_or_saveexec_b64 s[0:1], s[2:3]
	v_lshlrev_b32_e32 v16, 3, v0
	s_xor_b64 exec, exec, s[0:1]
	s_cbranch_execz .LBB97_80
; %bb.79:
	v_lshlrev_b64 v[4:5], 3, v[2:3]
	v_mov_b32_e32 v1, s27
	v_add_co_u32_e32 v4, vcc, s26, v4
	v_addc_co_u32_e32 v5, vcc, v1, v5, vcc
	global_load_dwordx2 v[10:11], v[4:5], off
	global_load_dwordx2 v[12:13], v[4:5], off offset:2048
	s_movk_i32 s2, 0x1000
	v_add_co_u32_e32 v4, vcc, s2, v4
	v_addc_co_u32_e32 v5, vcc, 0, v5, vcc
	global_load_dwordx2 v[14:15], v[4:5], off
	global_load_dwordx2 v[18:19], v[4:5], off offset:2048
	v_lshlrev_b64 v[2:3], 2, v[2:3]
	v_mov_b32_e32 v1, s29
	v_add_co_u32_e32 v2, vcc, s28, v2
	v_addc_co_u32_e32 v3, vcc, v1, v3, vcc
	v_mov_b32_e32 v17, s10
	global_load_dword v1, v[2:3], off
	global_load_dword v21, v[2:3], off offset:1024
	global_load_dword v22, v[2:3], off offset:2048
	global_load_dword v23, v[2:3], off offset:3072
	v_mov_b32_e32 v20, s31
	s_waitcnt vmcnt(7)
	v_subrev_co_u32_e32 v2, vcc, s46, v10
	v_subb_co_u32_e32 v3, vcc, v11, v17, vcc
	s_waitcnt vmcnt(6)
	v_subrev_co_u32_e32 v4, vcc, s46, v12
	v_subb_co_u32_e32 v5, vcc, v13, v17, vcc
	;; [unrolled: 3-line block ×3, first 2 shown]
	s_waitcnt vmcnt(4)
	v_subrev_co_u32_e32 v12, vcc, s46, v18
	v_lshlrev_b64 v[2:3], 3, v[2:3]
	v_subb_co_u32_e32 v13, vcc, v19, v17, vcc
	v_add_co_u32_e32 v2, vcc, s30, v2
	v_lshlrev_b64 v[4:5], 3, v[4:5]
	v_addc_co_u32_e32 v3, vcc, v20, v3, vcc
	v_add_co_u32_e32 v4, vcc, s30, v4
	v_addc_co_u32_e32 v5, vcc, v20, v5, vcc
	v_lshlrev_b64 v[10:11], 3, v[10:11]
	global_load_dwordx2 v[14:15], v[2:3], off
	global_load_dwordx2 v[18:19], v[4:5], off
	v_add_co_u32_e32 v2, vcc, s30, v10
	v_lshlrev_b64 v[12:13], 3, v[12:13]
	v_addc_co_u32_e32 v3, vcc, v20, v11, vcc
	v_add_co_u32_e32 v4, vcc, s30, v12
	v_addc_co_u32_e32 v5, vcc, v20, v13, vcc
	global_load_dwordx2 v[10:11], v[2:3], off
	global_load_dwordx2 v[12:13], v[4:5], off
	s_waitcnt vmcnt(7)
	v_cvt_f64_f32_e32 v[2:3], v1
	s_waitcnt vmcnt(6)
	v_cvt_f64_f32_e32 v[4:5], v21
	;; [unrolled: 2-line block ×4, first 2 shown]
	v_mul_f64 v[2:3], v[8:9], v[2:3]
	v_mul_f64 v[4:5], v[8:9], v[4:5]
	;; [unrolled: 1-line block ×4, first 2 shown]
	s_waitcnt vmcnt(3)
	v_mul_f64 v[2:3], v[2:3], v[14:15]
	s_waitcnt vmcnt(2)
	v_mul_f64 v[4:5], v[4:5], v[18:19]
	ds_write2st64_b64 v16, v[2:3], v[4:5] offset1:4
	s_waitcnt vmcnt(1)
	v_mul_f64 v[2:3], v[20:21], v[10:11]
	s_waitcnt vmcnt(0)
	v_mul_f64 v[4:5], v[8:9], v[12:13]
	ds_write2st64_b64 v16, v[2:3], v[4:5] offset0:8 offset1:12
.LBB97_80:
	s_or_b64 exec, exec, s[0:1]
	v_cmp_lt_i64_e64 s[2:3], s[40:41], 2
	s_mov_b64 s[0:1], -1
	s_and_b64 vcc, exec, s[2:3]
	s_waitcnt lgkmcnt(0)
	s_barrier
	s_cbranch_vccz .LBB97_91
; %bb.81:
	v_mov_b32_e32 v1, s37
	v_add_co_u32_e32 v8, vcc, s36, v0
	v_addc_co_u32_e32 v9, vcc, 0, v1, vcc
	v_cmp_gt_i64_e32 vcc, s[38:39], v[8:9]
	s_and_saveexec_b64 s[2:3], vcc
	s_cbranch_execz .LBB97_90
; %bb.82:
	s_lshl_b32 s6, s42, 3
	s_mov_b64 s[4:5], 0
	v_cmp_neq_f64_e64 s[0:1], 0, v[6:7]
	s_sub_i32 s10, 0, s6
	v_mov_b32_e32 v1, s25
	v_mov_b32_e32 v17, s35
	s_branch .LBB97_84
.LBB97_83:                              ;   in Loop: Header=BB97_84 Depth=1
	s_or_b64 exec, exec, s[6:7]
	v_add_co_u32_e32 v2, vcc, s34, v10
	v_addc_co_u32_e32 v3, vcc, v17, v11, vcc
	v_add_co_u32_e32 v8, vcc, 0x100, v8
	v_addc_co_u32_e32 v9, vcc, 0, v9, vcc
	v_cmp_le_i64_e32 vcc, s[38:39], v[8:9]
	s_or_b64 s[4:5], vcc, s[4:5]
	global_store_dwordx2 v[2:3], v[12:13], off
	s_andn2_b64 exec, exec, s[4:5]
	s_cbranch_execz .LBB97_90
.LBB97_84:                              ; =>This Loop Header: Depth=1
                                        ;     Child Loop BB97_86 Depth 2
	v_lshlrev_b64 v[10:11], 3, v[8:9]
	v_add_co_u32_e32 v2, vcc, s24, v10
	v_addc_co_u32_e32 v3, vcc, v1, v11, vcc
	global_load_dwordx4 v[2:5], v[2:3], off
	v_pk_mov_b32 v[12:13], 0, 0
	s_waitcnt vmcnt(0)
	v_cmp_lt_i64_e32 vcc, v[2:3], v[4:5]
	s_and_saveexec_b64 s[6:7], vcc
	s_cbranch_execz .LBB97_88
; %bb.85:                               ;   in Loop: Header=BB97_84 Depth=1
	v_mov_b32_e32 v12, s43
	v_subrev_co_u32_e32 v4, vcc, s42, v4
	v_subb_co_u32_e32 v5, vcc, v5, v12, vcc
	v_subrev_co_u32_e32 v14, vcc, s42, v2
	v_subb_co_u32_e32 v15, vcc, v3, v12, vcc
	v_lshl_add_u32 v2, v2, 3, s10
	s_mov_b64 s[8:9], 0
	v_pk_mov_b32 v[12:13], 0, 0
.LBB97_86:                              ;   Parent Loop BB97_84 Depth=1
                                        ; =>  This Inner Loop Header: Depth=2
	ds_read_b64 v[18:19], v2
	v_add_co_u32_e32 v14, vcc, 1, v14
	v_addc_co_u32_e32 v15, vcc, 0, v15, vcc
	v_cmp_ge_i64_e32 vcc, v[14:15], v[4:5]
	v_add_u32_e32 v2, 8, v2
	s_or_b64 s[8:9], vcc, s[8:9]
	s_waitcnt lgkmcnt(0)
	v_add_f64 v[12:13], v[12:13], v[18:19]
	s_andn2_b64 exec, exec, s[8:9]
	s_cbranch_execnz .LBB97_86
; %bb.87:                               ;   in Loop: Header=BB97_84 Depth=1
	s_or_b64 exec, exec, s[8:9]
.LBB97_88:                              ;   in Loop: Header=BB97_84 Depth=1
	s_or_b64 exec, exec, s[6:7]
	s_and_saveexec_b64 s[6:7], s[0:1]
	s_cbranch_execz .LBB97_83
; %bb.89:                               ;   in Loop: Header=BB97_84 Depth=1
	v_mov_b32_e32 v3, s35
	v_add_co_u32_e32 v2, vcc, s34, v10
	v_addc_co_u32_e32 v3, vcc, v3, v11, vcc
	global_load_dwordx2 v[2:3], v[2:3], off
	s_waitcnt vmcnt(0)
	v_fmac_f64_e32 v[12:13], v[6:7], v[2:3]
	s_branch .LBB97_83
.LBB97_90:
	s_or_b64 exec, exec, s[2:3]
	s_mov_b64 s[0:1], 0
.LBB97_91:
	s_andn2_b64 vcc, exec, s[0:1]
	s_cbranch_vccnz .LBB97_116
; %bb.92:
	s_flbit_i32_b32 s0, s40
	s_min_u32 s0, s0, 32
	s_sub_i32 s0, 31, s0
	v_lshrrev_b32_e32 v8, s0, v0
	v_mov_b32_e32 v1, s37
	v_add_co_u32_e32 v2, vcc, s36, v8
	v_addc_co_u32_e32 v3, vcc, 0, v1, vcc
	s_add_i32 s0, s40, -1
	v_and_b32_e64 v1, s0, 0
	v_and_b32_e32 v0, s0, v0
	v_cmp_le_i64_e64 s[0:1], s[38:39], v[2:3]
	v_cmp_gt_i64_e32 vcc, s[38:39], v[2:3]
	v_pk_mov_b32 v[4:5], 0, 0
	s_and_saveexec_b64 s[2:3], vcc
	s_cbranch_execz .LBB97_98
; %bb.93:
	v_lshlrev_b32_e32 v4, 3, v8
	global_load_dwordx4 v[10:13], v4, s[44:45]
	v_mov_b32_e32 v4, s43
	v_subrev_co_u32_e32 v5, vcc, s42, v0
	v_subb_co_u32_e32 v14, vcc, v1, v4, vcc
	s_waitcnt vmcnt(0)
	v_subrev_co_u32_e32 v8, vcc, s42, v12
	v_subb_co_u32_e32 v9, vcc, v13, v4, vcc
	v_add_co_u32_e32 v10, vcc, v10, v5
	v_addc_co_u32_e32 v11, vcc, v11, v14, vcc
	v_cmp_lt_i64_e32 vcc, v[10:11], v[8:9]
	v_pk_mov_b32 v[4:5], 0, 0
	s_and_saveexec_b64 s[4:5], vcc
	s_cbranch_execz .LBB97_97
; %bb.94:
	v_lshlrev_b32_e32 v12, 3, v10
	s_lshl_b32 s8, s40, 3
	s_mov_b64 s[6:7], 0
	v_pk_mov_b32 v[4:5], 0, 0
	v_mov_b32_e32 v13, s41
.LBB97_95:                              ; =>This Inner Loop Header: Depth=1
	ds_read_b64 v[14:15], v12
	v_add_co_u32_e32 v10, vcc, s40, v10
	v_addc_co_u32_e32 v11, vcc, v11, v13, vcc
	v_cmp_ge_i64_e32 vcc, v[10:11], v[8:9]
	v_add_u32_e32 v12, s8, v12
	s_or_b64 s[6:7], vcc, s[6:7]
	s_waitcnt lgkmcnt(0)
	v_add_f64 v[4:5], v[4:5], v[14:15]
	s_andn2_b64 exec, exec, s[6:7]
	s_cbranch_execnz .LBB97_95
; %bb.96:
	s_or_b64 exec, exec, s[6:7]
.LBB97_97:
	s_or_b64 exec, exec, s[4:5]
.LBB97_98:
	s_or_b64 exec, exec, s[2:3]
	v_mov_b32_e32 v8, 0x81
	v_mov_b32_e32 v9, 0
	v_cmp_lt_i64_e32 vcc, s[40:41], v[8:9]
	s_and_b64 vcc, exec, vcc
	s_barrier
	ds_write_b64 v16, v[4:5]
	s_waitcnt lgkmcnt(0)
	s_barrier
	s_cbranch_vccnz .LBB97_100
; %bb.99:
	ds_read_b64 v[8:9], v16 offset:1024
	s_waitcnt lgkmcnt(0)
	s_barrier
	v_add_f64 v[4:5], v[4:5], v[8:9]
	ds_write_b64 v16, v[4:5]
.LBB97_100:
	v_mov_b32_e32 v8, 0x41
	v_mov_b32_e32 v9, 0
	v_cmp_lt_i64_e32 vcc, s[40:41], v[8:9]
	s_waitcnt lgkmcnt(0)
	s_barrier
	s_cbranch_vccnz .LBB97_102
; %bb.101:
	ds_read_b64 v[8:9], v16 offset:512
	s_waitcnt lgkmcnt(0)
	s_barrier
	v_add_f64 v[4:5], v[4:5], v[8:9]
	ds_write_b64 v16, v[4:5]
.LBB97_102:
	v_cmp_lt_i64_e64 s[2:3], s[40:41], 33
	s_and_b64 vcc, exec, s[2:3]
	s_waitcnt lgkmcnt(0)
	s_barrier
	s_cbranch_vccnz .LBB97_104
; %bb.103:
	ds_read_b64 v[8:9], v16 offset:256
	s_waitcnt lgkmcnt(0)
	s_barrier
	v_add_f64 v[4:5], v[4:5], v[8:9]
	ds_write_b64 v16, v[4:5]
.LBB97_104:
	v_cmp_lt_i64_e64 s[2:3], s[40:41], 17
	s_and_b64 vcc, exec, s[2:3]
	;; [unrolled: 12-line block ×4, first 2 shown]
	s_waitcnt lgkmcnt(0)
	s_barrier
	s_cbranch_vccnz .LBB97_110
; %bb.109:
	ds_read_b64 v[8:9], v16 offset:32
	s_waitcnt lgkmcnt(0)
	s_barrier
	v_add_f64 v[4:5], v[4:5], v[8:9]
	ds_write_b64 v16, v[4:5]
.LBB97_110:
	s_cmp_eq_u64 s[40:41], 2
	s_waitcnt lgkmcnt(0)
	s_barrier
	s_cbranch_scc1 .LBB97_112
; %bb.111:
	ds_read_b64 v[8:9], v16 offset:16
	s_waitcnt lgkmcnt(0)
	s_barrier
	v_add_f64 v[4:5], v[4:5], v[8:9]
	ds_write_b64 v16, v[4:5]
.LBB97_112:
	s_waitcnt lgkmcnt(0)
	s_barrier
	ds_read_b64 v[8:9], v16 offset:8
	v_cmp_eq_u64_e32 vcc, 0, v[0:1]
	s_xor_b64 s[0:1], s[0:1], -1
	s_and_b64 s[0:1], vcc, s[0:1]
	s_waitcnt lgkmcnt(0)
	v_add_f64 v[4:5], v[4:5], v[8:9]
	s_barrier
	ds_write_b64 v16, v[4:5]
	s_and_b64 exec, exec, s[0:1]
	s_cbranch_execz .LBB97_116
; %bb.113:
	v_cmp_neq_f64_e32 vcc, 0, v[6:7]
	v_lshlrev_b64 v[0:1], 3, v[2:3]
	s_and_saveexec_b64 s[0:1], vcc
	s_cbranch_execz .LBB97_115
; %bb.114:
	v_mov_b32_e32 v3, s35
	v_add_co_u32_e32 v2, vcc, s34, v0
	v_addc_co_u32_e32 v3, vcc, v3, v1, vcc
	global_load_dwordx2 v[2:3], v[2:3], off
	s_waitcnt vmcnt(0)
	v_fmac_f64_e32 v[4:5], v[6:7], v[2:3]
.LBB97_115:
	s_or_b64 exec, exec, s[0:1]
	v_mov_b32_e32 v2, s35
	v_add_co_u32_e32 v0, vcc, s34, v0
	v_addc_co_u32_e32 v1, vcc, v2, v1, vcc
	global_store_dwordx2 v[0:1], v[4:5], off
.LBB97_116:
	s_endpgm
	.section	.rodata,"a",@progbits
	.p2align	6, 0x0
	.amdhsa_kernel _ZN9rocsparseL22csrmvn_adaptive_kernelIllfdddEEvbT_PKS1_PjPKT0_NS_24const_host_device_scalarIT4_EES3_S7_PKT1_PKT2_SA_PT3_21rocsparse_index_base_b
		.amdhsa_group_segment_fixed_size 8192
		.amdhsa_private_segment_fixed_size 0
		.amdhsa_kernarg_size 104
		.amdhsa_user_sgpr_count 6
		.amdhsa_user_sgpr_private_segment_buffer 1
		.amdhsa_user_sgpr_dispatch_ptr 0
		.amdhsa_user_sgpr_queue_ptr 0
		.amdhsa_user_sgpr_kernarg_segment_ptr 1
		.amdhsa_user_sgpr_dispatch_id 0
		.amdhsa_user_sgpr_flat_scratch_init 0
		.amdhsa_user_sgpr_kernarg_preload_length 0
		.amdhsa_user_sgpr_kernarg_preload_offset 0
		.amdhsa_user_sgpr_private_segment_size 0
		.amdhsa_uses_dynamic_stack 0
		.amdhsa_system_sgpr_private_segment_wavefront_offset 0
		.amdhsa_system_sgpr_workgroup_id_x 1
		.amdhsa_system_sgpr_workgroup_id_y 0
		.amdhsa_system_sgpr_workgroup_id_z 0
		.amdhsa_system_sgpr_workgroup_info 0
		.amdhsa_system_vgpr_workitem_id 0
		.amdhsa_next_free_vgpr 26
		.amdhsa_next_free_sgpr 63
		.amdhsa_accum_offset 28
		.amdhsa_reserve_vcc 1
		.amdhsa_reserve_flat_scratch 0
		.amdhsa_float_round_mode_32 0
		.amdhsa_float_round_mode_16_64 0
		.amdhsa_float_denorm_mode_32 3
		.amdhsa_float_denorm_mode_16_64 3
		.amdhsa_dx10_clamp 1
		.amdhsa_ieee_mode 1
		.amdhsa_fp16_overflow 0
		.amdhsa_tg_split 0
		.amdhsa_exception_fp_ieee_invalid_op 0
		.amdhsa_exception_fp_denorm_src 0
		.amdhsa_exception_fp_ieee_div_zero 0
		.amdhsa_exception_fp_ieee_overflow 0
		.amdhsa_exception_fp_ieee_underflow 0
		.amdhsa_exception_fp_ieee_inexact 0
		.amdhsa_exception_int_div_zero 0
	.end_amdhsa_kernel
	.section	.text._ZN9rocsparseL22csrmvn_adaptive_kernelIllfdddEEvbT_PKS1_PjPKT0_NS_24const_host_device_scalarIT4_EES3_S7_PKT1_PKT2_SA_PT3_21rocsparse_index_base_b,"axG",@progbits,_ZN9rocsparseL22csrmvn_adaptive_kernelIllfdddEEvbT_PKS1_PjPKT0_NS_24const_host_device_scalarIT4_EES3_S7_PKT1_PKT2_SA_PT3_21rocsparse_index_base_b,comdat
.Lfunc_end97:
	.size	_ZN9rocsparseL22csrmvn_adaptive_kernelIllfdddEEvbT_PKS1_PjPKT0_NS_24const_host_device_scalarIT4_EES3_S7_PKT1_PKT2_SA_PT3_21rocsparse_index_base_b, .Lfunc_end97-_ZN9rocsparseL22csrmvn_adaptive_kernelIllfdddEEvbT_PKS1_PjPKT0_NS_24const_host_device_scalarIT4_EES3_S7_PKT1_PKT2_SA_PT3_21rocsparse_index_base_b
                                        ; -- End function
	.section	.AMDGPU.csdata,"",@progbits
; Kernel info:
; codeLenInByte = 4284
; NumSgprs: 67
; NumVgprs: 26
; NumAgprs: 0
; TotalNumVgprs: 26
; ScratchSize: 0
; MemoryBound: 0
; FloatMode: 240
; IeeeMode: 1
; LDSByteSize: 8192 bytes/workgroup (compile time only)
; SGPRBlocks: 8
; VGPRBlocks: 3
; NumSGPRsForWavesPerEU: 67
; NumVGPRsForWavesPerEU: 26
; AccumOffset: 28
; Occupancy: 8
; WaveLimiterHint : 1
; COMPUTE_PGM_RSRC2:SCRATCH_EN: 0
; COMPUTE_PGM_RSRC2:USER_SGPR: 6
; COMPUTE_PGM_RSRC2:TRAP_HANDLER: 0
; COMPUTE_PGM_RSRC2:TGID_X_EN: 1
; COMPUTE_PGM_RSRC2:TGID_Y_EN: 0
; COMPUTE_PGM_RSRC2:TGID_Z_EN: 0
; COMPUTE_PGM_RSRC2:TIDIG_COMP_CNT: 0
; COMPUTE_PGM_RSRC3_GFX90A:ACCUM_OFFSET: 6
; COMPUTE_PGM_RSRC3_GFX90A:TG_SPLIT: 0
	.section	.text._ZN9rocsparseL27csrmvn_symm_adaptive_kernelIllfdddEEvbT_S1_PKS1_NS_24const_host_device_scalarIT4_EES3_PKT0_PKT1_PKT2_S6_PT3_21rocsparse_index_base_b,"axG",@progbits,_ZN9rocsparseL27csrmvn_symm_adaptive_kernelIllfdddEEvbT_S1_PKS1_NS_24const_host_device_scalarIT4_EES3_PKT0_PKT1_PKT2_S6_PT3_21rocsparse_index_base_b,comdat
	.globl	_ZN9rocsparseL27csrmvn_symm_adaptive_kernelIllfdddEEvbT_S1_PKS1_NS_24const_host_device_scalarIT4_EES3_PKT0_PKT1_PKT2_S6_PT3_21rocsparse_index_base_b ; -- Begin function _ZN9rocsparseL27csrmvn_symm_adaptive_kernelIllfdddEEvbT_S1_PKS1_NS_24const_host_device_scalarIT4_EES3_PKT0_PKT1_PKT2_S6_PT3_21rocsparse_index_base_b
	.p2align	8
	.type	_ZN9rocsparseL27csrmvn_symm_adaptive_kernelIllfdddEEvbT_S1_PKS1_NS_24const_host_device_scalarIT4_EES3_PKT0_PKT1_PKT2_S6_PT3_21rocsparse_index_base_b,@function
_ZN9rocsparseL27csrmvn_symm_adaptive_kernelIllfdddEEvbT_S1_PKS1_NS_24const_host_device_scalarIT4_EES3_PKT0_PKT1_PKT2_S6_PT3_21rocsparse_index_base_b: ; @_ZN9rocsparseL27csrmvn_symm_adaptive_kernelIllfdddEEvbT_S1_PKS1_NS_24const_host_device_scalarIT4_EES3_PKT0_PKT1_PKT2_S6_PT3_21rocsparse_index_base_b
; %bb.0:
	s_load_dwordx2 s[30:31], s[4:5], 0x58
	s_load_dwordx2 s[8:9], s[4:5], 0x20
	;; [unrolled: 1-line block ×3, first 2 shown]
	s_waitcnt lgkmcnt(0)
	s_bitcmp1_b32 s31, 0
	s_cselect_b64 s[10:11], -1, 0
	s_xor_b64 s[2:3], s[10:11], -1
	s_and_b64 vcc, exec, s[10:11]
	v_pk_mov_b32 v[10:11], s[8:9], s[8:9] op_sel:[0,1]
	s_cbranch_vccnz .LBB98_2
; %bb.1:
	v_pk_mov_b32 v[2:3], s[8:9], s[8:9] op_sel:[0,1]
	flat_load_dwordx2 v[10:11], v[2:3]
.LBB98_2:
	s_andn2_b64 vcc, exec, s[2:3]
	v_pk_mov_b32 v[2:3], s[0:1], s[0:1] op_sel:[0,1]
	s_cbranch_vccnz .LBB98_4
; %bb.3:
	v_pk_mov_b32 v[2:3], s[0:1], s[0:1] op_sel:[0,1]
	flat_load_dwordx2 v[2:3], v[2:3]
.LBB98_4:
	s_waitcnt vmcnt(0) lgkmcnt(0)
	v_cmp_neq_f64_e32 vcc, 0, v[10:11]
	v_cmp_neq_f64_e64 s[0:1], 1.0, v[2:3]
	s_or_b64 s[0:1], vcc, s[0:1]
	s_and_saveexec_b64 s[2:3], s[0:1]
	s_cbranch_execz .LBB98_170
; %bb.5:
	s_load_dwordx2 s[0:1], s[4:5], 0x18
	s_mov_b32 s31, 0
	s_mov_b32 s2, s31
	;; [unrolled: 1-line block ×3, first 2 shown]
	s_ashr_i32 s7, s6, 31
	v_pk_mov_b32 v[2:3], s[2:3], s[2:3] op_sel:[0,1]
	s_lshl_b64 s[2:3], s[6:7], 3
	s_waitcnt lgkmcnt(0)
	s_add_u32 s0, s0, s2
	v_lshlrev_b32_e32 v18, 3, v0
	s_addc_u32 s1, s1, s3
	ds_write2st64_b64 v18, v[2:3], v[2:3] offset1:4
	ds_write2st64_b64 v18, v[2:3], v[2:3] offset0:8 offset1:12
	s_waitcnt lgkmcnt(0)
	s_barrier
	s_load_dwordx4 s[24:27], s[0:1], 0x0
	s_load_dwordx8 s[16:23], s[4:5], 0x28
	s_load_dwordx2 s[14:15], s[4:5], 0x50
	s_mov_b64 s[0:1], -1
	s_waitcnt lgkmcnt(0)
	s_sub_u32 s28, s26, s24
	s_subb_u32 s29, s27, s25
	v_cmp_gt_i64_e64 s[2:3], s[28:29], 2
	s_and_b64 vcc, exec, s[2:3]
	s_cbranch_vccnz .LBB98_43
; %bb.6:
	v_pk_mov_b32 v[2:3], s[24:25], s[24:25] op_sel:[0,1]
	v_cmp_gt_i64_e32 vcc, s[26:27], v[2:3]
	v_subrev_co_u32_e64 v1, s[0:1], s30, v0
	v_subb_co_u32_e64 v12, s[0:1], 0, 0, s[0:1]
	s_cbranch_vccnz .LBB98_8
; %bb.7:
	s_lshl_b64 s[0:1], s[24:25], 3
	s_add_u32 s0, s16, s0
	s_addc_u32 s1, s17, s1
	s_load_dwordx2 s[34:35], s[0:1], 0x0
	s_cbranch_execz .LBB98_9
	s_branch .LBB98_32
.LBB98_8:
                                        ; implicit-def: $sgpr34_sgpr35
.LBB98_9:
	s_lshl_b64 s[12:13], s[24:25], 3
	s_add_u32 s12, s16, s12
	s_addc_u32 s13, s17, s13
	s_waitcnt lgkmcnt(0)
	s_load_dwordx2 s[34:35], s[12:13], 0x0
	s_movk_i32 s33, 0x100
	s_add_u32 s48, s16, 8
	v_cmp_gt_u32_e64 s[0:1], s33, v0
	v_cmp_gt_u32_e64 s[2:3], 64, v0
	;; [unrolled: 1-line block ×4, first 2 shown]
	v_cmp_eq_u32_e64 s[10:11], 0, v0
	s_addc_u32 s49, s17, 0
	v_mov_b32_e32 v13, s31
	v_mov_b32_e32 v14, s23
	v_mov_b32_e32 v15, 0
	s_waitcnt lgkmcnt(0)
	s_mov_b64 s[38:39], s[34:35]
	s_mov_b64 s[36:37], s[24:25]
	s_branch .LBB98_11
.LBB98_10:                              ;   in Loop: Header=BB98_11 Depth=1
	s_or_b64 exec, exec, s[12:13]
	s_add_u32 s36, s36, 1
	s_addc_u32 s37, s37, 0
	v_pk_mov_b32 v[2:3], s[26:27], s[26:27] op_sel:[0,1]
	v_cmp_ge_i64_e32 vcc, s[36:37], v[2:3]
	s_cbranch_vccnz .LBB98_32
.LBB98_11:                              ; =>This Loop Header: Depth=1
                                        ;     Child Loop BB98_13 Depth 2
                                        ;     Child Loop BB98_27 Depth 2
	;; [unrolled: 1-line block ×3, first 2 shown]
	s_lshl_b64 s[40:41], s[36:37], 3
	s_mov_b64 s[12:13], s[38:39]
	s_add_u32 s38, s48, s40
	s_addc_u32 s39, s49, s41
	s_load_dwordx2 s[38:39], s[38:39], 0x0
	v_mov_b32_e32 v3, s13
	v_add_co_u32_e32 v2, vcc, s12, v1
	v_addc_co_u32_e32 v3, vcc, v3, v12, vcc
	s_waitcnt lgkmcnt(0)
	s_sub_u32 s42, s38, s30
	s_subb_u32 s43, s39, 0
	v_cmp_gt_i64_e32 vcc, s[42:43], v[2:3]
	v_pk_mov_b32 v[4:5], 0, 0
	s_and_saveexec_b64 s[44:45], vcc
	s_cbranch_execz .LBB98_15
; %bb.12:                               ;   in Loop: Header=BB98_11 Depth=1
	v_lshlrev_b64 v[4:5], 3, v[2:3]
	v_mov_b32_e32 v7, s19
	v_add_co_u32_e32 v6, vcc, s18, v4
	v_addc_co_u32_e32 v7, vcc, v7, v5, vcc
	v_lshlrev_b64 v[4:5], 2, v[2:3]
	v_mov_b32_e32 v9, s21
	v_add_co_u32_e32 v8, vcc, s20, v4
	v_addc_co_u32_e32 v9, vcc, v9, v5, vcc
	s_mov_b64 s[46:47], 0
	v_pk_mov_b32 v[4:5], 0, 0
.LBB98_13:                              ;   Parent Loop BB98_11 Depth=1
                                        ; =>  This Inner Loop Header: Depth=2
	global_load_dwordx2 v[16:17], v[6:7], off
	global_load_dword v19, v[8:9], off
	s_waitcnt vmcnt(1)
	v_subrev_co_u32_e32 v16, vcc, s30, v16
	v_subb_co_u32_e32 v17, vcc, v17, v13, vcc
	v_lshlrev_b64 v[16:17], 3, v[16:17]
	v_add_co_u32_e32 v16, vcc, s22, v16
	v_addc_co_u32_e32 v17, vcc, v14, v17, vcc
	global_load_dwordx2 v[16:17], v[16:17], off
	v_add_co_u32_e32 v2, vcc, s33, v2
	v_addc_co_u32_e32 v3, vcc, 0, v3, vcc
	v_add_co_u32_e32 v6, vcc, 0x800, v6
	v_addc_co_u32_e32 v7, vcc, 0, v7, vcc
	v_add_co_u32_e32 v8, vcc, 0x400, v8
	v_cmp_le_i64_e64 s[12:13], s[42:43], v[2:3]
	s_waitcnt vmcnt(1)
	v_cvt_f64_f32_e32 v[20:21], v19
	v_addc_co_u32_e32 v9, vcc, 0, v9, vcc
	s_or_b64 s[46:47], s[12:13], s[46:47]
	s_waitcnt vmcnt(0)
	v_fmac_f64_e32 v[4:5], v[20:21], v[16:17]
	s_andn2_b64 exec, exec, s[46:47]
	s_cbranch_execnz .LBB98_13
; %bb.14:                               ;   in Loop: Header=BB98_11 Depth=1
	s_or_b64 exec, exec, s[46:47]
.LBB98_15:                              ;   in Loop: Header=BB98_11 Depth=1
	s_or_b64 exec, exec, s[44:45]
	ds_write_b64 v18, v[4:5]
	s_waitcnt lgkmcnt(0)
	s_barrier
	s_and_saveexec_b64 s[12:13], s[0:1]
	s_cbranch_execz .LBB98_17
; %bb.16:                               ;   in Loop: Header=BB98_11 Depth=1
	ds_read2st64_b64 v[2:5], v18 offset1:4
	ds_read2st64_b64 v[6:9], v18 offset0:8 offset1:12
	s_waitcnt lgkmcnt(0)
	v_add_f64 v[4:5], v[4:5], v[6:7]
	v_add_f64 v[4:5], v[4:5], v[8:9]
	;; [unrolled: 1-line block ×3, first 2 shown]
	ds_write_b64 v18, v[2:3]
.LBB98_17:                              ;   in Loop: Header=BB98_11 Depth=1
	s_or_b64 exec, exec, s[12:13]
	s_waitcnt lgkmcnt(0)
	s_barrier
	s_and_saveexec_b64 s[12:13], s[2:3]
	s_cbranch_execz .LBB98_19
; %bb.18:                               ;   in Loop: Header=BB98_11 Depth=1
	ds_read2st64_b64 v[2:5], v18 offset1:1
	ds_read2st64_b64 v[6:9], v18 offset0:2 offset1:3
	s_waitcnt lgkmcnt(0)
	v_add_f64 v[4:5], v[4:5], v[6:7]
	v_add_f64 v[4:5], v[4:5], v[8:9]
	;; [unrolled: 1-line block ×3, first 2 shown]
	ds_write_b64 v18, v[2:3]
.LBB98_19:                              ;   in Loop: Header=BB98_11 Depth=1
	s_or_b64 exec, exec, s[12:13]
	s_waitcnt lgkmcnt(0)
	s_barrier
	s_and_saveexec_b64 s[12:13], s[6:7]
	s_cbranch_execz .LBB98_21
; %bb.20:                               ;   in Loop: Header=BB98_11 Depth=1
	ds_read2_b64 v[2:5], v18 offset1:16
	ds_read2_b64 v[6:9], v18 offset0:32 offset1:48
	s_waitcnt lgkmcnt(0)
	v_add_f64 v[4:5], v[4:5], v[6:7]
	v_add_f64 v[4:5], v[4:5], v[8:9]
	;; [unrolled: 1-line block ×3, first 2 shown]
	ds_write_b64 v18, v[2:3]
.LBB98_21:                              ;   in Loop: Header=BB98_11 Depth=1
	s_or_b64 exec, exec, s[12:13]
	s_waitcnt lgkmcnt(0)
	s_barrier
	s_and_saveexec_b64 s[12:13], s[8:9]
	s_cbranch_execz .LBB98_23
; %bb.22:                               ;   in Loop: Header=BB98_11 Depth=1
	ds_read2_b64 v[2:5], v18 offset1:4
	ds_read2_b64 v[6:9], v18 offset0:8 offset1:12
	s_waitcnt lgkmcnt(0)
	v_add_f64 v[4:5], v[4:5], v[6:7]
	v_add_f64 v[4:5], v[4:5], v[8:9]
	;; [unrolled: 1-line block ×3, first 2 shown]
	ds_write_b64 v18, v[2:3]
.LBB98_23:                              ;   in Loop: Header=BB98_11 Depth=1
	s_or_b64 exec, exec, s[12:13]
	s_waitcnt lgkmcnt(0)
	s_barrier
	s_and_saveexec_b64 s[12:13], s[10:11]
	s_cbranch_execz .LBB98_25
; %bb.24:                               ;   in Loop: Header=BB98_11 Depth=1
	ds_read2_b64 v[2:5], v15 offset0:1 offset1:2
	ds_read_b64 v[6:7], v15 offset:24
	ds_read_b64 v[8:9], v18
	s_waitcnt lgkmcnt(2)
	v_add_f64 v[2:3], v[2:3], v[4:5]
	s_waitcnt lgkmcnt(1)
	v_add_f64 v[2:3], v[2:3], v[6:7]
	;; [unrolled: 2-line block ×3, first 2 shown]
	ds_write_b64 v18, v[2:3]
.LBB98_25:                              ;   in Loop: Header=BB98_11 Depth=1
	s_or_b64 exec, exec, s[12:13]
	s_waitcnt lgkmcnt(0)
	s_barrier
	s_and_saveexec_b64 s[12:13], s[10:11]
	s_cbranch_execz .LBB98_10
; %bb.26:                               ;   in Loop: Header=BB98_11 Depth=1
	ds_read_b64 v[2:3], v15
	v_mov_b32_e32 v6, 0
	s_mov_b64 s[42:43], exec
	v_bfrev_b32_e32 v7, 1
	s_waitcnt lgkmcnt(0)
	v_mul_f64 v[2:3], v[10:11], v[2:3]
.LBB98_27:                              ;   Parent Loop BB98_11 Depth=1
                                        ; =>  This Inner Loop Header: Depth=2
	s_ff1_i32_b64 s46, s[42:43]
	v_readlane_b32 s45, v3, s46
	v_readlane_b32 s44, v2, s46
	s_lshl_b64 s[46:47], 1, s46
	s_andn2_b64 s[42:43], s[42:43], s[46:47]
	s_cmp_lg_u64 s[42:43], 0
	v_add_f64 v[6:7], v[6:7], s[44:45]
	s_cbranch_scc1 .LBB98_27
; %bb.28:                               ;   in Loop: Header=BB98_11 Depth=1
	v_mbcnt_lo_u32_b32 v2, exec_lo, 0
	v_mbcnt_hi_u32_b32 v2, exec_hi, v2
	v_cmp_eq_u32_e32 vcc, 0, v2
	s_and_saveexec_b64 s[42:43], vcc
	s_xor_b64 s[42:43], exec, s[42:43]
	s_cbranch_execz .LBB98_10
; %bb.29:                               ;   in Loop: Header=BB98_11 Depth=1
	s_add_u32 s40, s14, s40
	s_addc_u32 s41, s15, s41
	global_load_dwordx2 v[4:5], v15, s[40:41]
	s_mov_b64 s[42:43], 0
.LBB98_30:                              ;   Parent Loop BB98_11 Depth=1
                                        ; =>  This Inner Loop Header: Depth=2
	s_waitcnt vmcnt(0)
	v_add_f64 v[2:3], v[4:5], v[6:7]
	global_atomic_cmpswap_x2 v[2:3], v15, v[2:5], s[40:41] glc
	s_waitcnt vmcnt(0)
	v_cmp_eq_u64_e32 vcc, v[2:3], v[4:5]
	s_or_b64 s[42:43], vcc, s[42:43]
	v_pk_mov_b32 v[4:5], v[2:3], v[2:3] op_sel:[0,1]
	s_andn2_b64 exec, exec, s[42:43]
	s_cbranch_execnz .LBB98_30
; %bb.31:                               ;   in Loop: Header=BB98_11 Depth=1
	s_or_b64 exec, exec, s[42:43]
	s_branch .LBB98_10
.LBB98_32:
	s_lshl_b64 s[0:1], s[26:27], 3
	s_add_u32 s0, s16, s0
	s_addc_u32 s1, s17, s1
	s_load_dwordx2 s[0:1], s[0:1], 0x0
	s_waitcnt lgkmcnt(0)
	v_mov_b32_e32 v2, s35
	v_add_co_u32_e32 v6, vcc, s34, v1
	v_addc_co_u32_e32 v7, vcc, v2, v12, vcc
	s_sub_u32 s6, s0, s30
	s_subb_u32 s7, s1, 0
	v_cmp_gt_i64_e32 vcc, s[6:7], v[6:7]
	s_and_saveexec_b64 s[8:9], vcc
	s_cbranch_execz .LBB98_42
; %bb.33:
	s_add_u32 s10, s26, -1
	s_addc_u32 s11, s27, -1
	s_add_u32 s0, s26, -2
	s_addc_u32 s1, s27, -1
	v_pk_mov_b32 v[2:3], s[24:25], s[24:25] op_sel:[0,1]
	s_cmp_lg_u64 s[0:1], s[24:25]
	v_cmp_gt_i64_e32 vcc, s[10:11], v[2:3]
	s_cselect_b64 s[0:1], -1, 0
	s_and_b64 s[0:1], vcc, s[0:1]
	v_cndmask_b32_e64 v1, 0, 1, s[0:1]
	s_mov_b64 s[12:13], 0
	v_cmp_ne_u32_e64 s[0:1], 1, v1
	v_mov_b32_e32 v1, s17
	v_mov_b32_e32 v14, s31
	;; [unrolled: 1-line block ×3, first 2 shown]
	s_branch .LBB98_35
.LBB98_34:                              ;   in Loop: Header=BB98_35 Depth=1
	s_or_b64 exec, exec, s[2:3]
	v_add_co_u32_e32 v6, vcc, 0x100, v6
	v_addc_co_u32_e32 v7, vcc, 0, v7, vcc
	v_cmp_le_i64_e32 vcc, s[6:7], v[6:7]
	s_or_b64 s[12:13], vcc, s[12:13]
	s_andn2_b64 exec, exec, s[12:13]
	s_cbranch_execz .LBB98_42
.LBB98_35:                              ; =>This Loop Header: Depth=1
                                        ;     Child Loop BB98_37 Depth 2
                                        ;     Child Loop BB98_41 Depth 2
	s_and_b64 vcc, exec, s[0:1]
	v_pk_mov_b32 v[2:3], s[24:25], s[24:25] op_sel:[0,1]
	v_pk_mov_b32 v[4:5], s[10:11], s[10:11] op_sel:[0,1]
	s_cbranch_vccnz .LBB98_39
; %bb.36:                               ;   in Loop: Header=BB98_35 Depth=1
	s_mov_b64 s[34:35], 0
	v_pk_mov_b32 v[2:3], s[24:25], s[24:25] op_sel:[0,1]
	v_pk_mov_b32 v[4:5], s[10:11], s[10:11] op_sel:[0,1]
.LBB98_37:                              ;   Parent Loop BB98_35 Depth=1
                                        ; =>  This Inner Loop Header: Depth=2
	v_add_co_u32_e32 v8, vcc, v4, v2
	v_addc_co_u32_e32 v9, vcc, v5, v3, vcc
	v_lshrrev_b32_e32 v12, 31, v9
	v_add_co_u32_e32 v8, vcc, v8, v12
	v_addc_co_u32_e32 v9, vcc, 0, v9, vcc
	v_ashrrev_i64 v[8:9], 1, v[8:9]
	v_lshlrev_b64 v[12:13], 3, v[8:9]
	v_mov_b32_e32 v16, s17
	v_add_co_u32_e32 v12, vcc, s16, v12
	v_addc_co_u32_e32 v13, vcc, v16, v13, vcc
	global_load_dwordx2 v[12:13], v[12:13], off
	v_mov_b32_e32 v16, s31
	s_waitcnt vmcnt(0)
	v_subrev_co_u32_e32 v12, vcc, s30, v12
	v_subb_co_u32_e32 v13, vcc, v13, v16, vcc
	v_cmp_gt_i64_e32 vcc, v[12:13], v[6:7]
	v_cndmask_b32_e32 v4, v4, v8, vcc
	v_cndmask_b32_e32 v5, v5, v9, vcc
	;; [unrolled: 1-line block ×3, first 2 shown]
	v_add_co_u32_e64 v8, s[2:3], -1, v4
	v_cndmask_b32_e32 v3, v9, v3, vcc
	v_addc_co_u32_e64 v9, s[2:3], -1, v5, s[2:3]
	v_cmp_ge_i64_e32 vcc, v[2:3], v[4:5]
	v_cmp_eq_u64_e64 s[2:3], v[2:3], v[8:9]
	s_or_b64 s[2:3], vcc, s[2:3]
	s_and_b64 s[2:3], exec, s[2:3]
	s_or_b64 s[34:35], s[2:3], s[34:35]
	s_andn2_b64 exec, exec, s[34:35]
	s_cbranch_execnz .LBB98_37
; %bb.38:                               ;   in Loop: Header=BB98_35 Depth=1
	s_or_b64 exec, exec, s[34:35]
.LBB98_39:                              ;   in Loop: Header=BB98_35 Depth=1
	v_lshlrev_b64 v[8:9], 3, v[4:5]
	v_add_co_u32_e32 v8, vcc, s16, v8
	v_addc_co_u32_e32 v9, vcc, v1, v9, vcc
	global_load_dwordx2 v[8:9], v[8:9], off
	v_lshlrev_b64 v[12:13], 3, v[6:7]
	v_add_co_u32_e32 v12, vcc, s18, v12
	v_addc_co_u32_e32 v13, vcc, v15, v13, vcc
	global_load_dwordx2 v[12:13], v[12:13], off
	s_waitcnt vmcnt(1)
	v_subrev_co_u32_e32 v8, vcc, s30, v8
	v_subb_co_u32_e32 v9, vcc, v9, v14, vcc
	v_cmp_gt_i64_e32 vcc, v[8:9], v[6:7]
	v_cndmask_b32_e32 v3, v5, v3, vcc
	v_cndmask_b32_e32 v2, v4, v2, vcc
	s_waitcnt vmcnt(0)
	v_subrev_co_u32_e32 v4, vcc, s30, v12
	v_subb_co_u32_e32 v5, vcc, v13, v14, vcc
	v_cmp_ne_u64_e32 vcc, v[4:5], v[2:3]
	s_and_saveexec_b64 s[2:3], vcc
	s_cbranch_execz .LBB98_34
; %bb.40:                               ;   in Loop: Header=BB98_35 Depth=1
	v_lshlrev_b64 v[8:9], 2, v[6:7]
	v_mov_b32_e32 v13, s21
	v_add_co_u32_e32 v8, vcc, s20, v8
	v_addc_co_u32_e32 v9, vcc, v13, v9, vcc
	v_lshlrev_b64 v[2:3], 3, v[2:3]
	global_load_dword v13, v[8:9], off
	v_mov_b32_e32 v8, s23
	v_add_co_u32_e32 v2, vcc, s22, v2
	v_lshlrev_b64 v[4:5], 3, v[4:5]
	v_addc_co_u32_e32 v3, vcc, v8, v3, vcc
	v_mov_b32_e32 v12, s15
	v_add_co_u32_e32 v8, vcc, s14, v4
	global_load_dwordx2 v[2:3], v[2:3], off
	v_addc_co_u32_e32 v9, vcc, v12, v5, vcc
	global_load_dwordx2 v[4:5], v[8:9], off
	s_mov_b64 s[34:35], 0
	s_waitcnt vmcnt(2)
	v_cvt_f64_f32_e32 v[12:13], v13
	v_mul_f64 v[12:13], v[10:11], v[12:13]
	s_waitcnt vmcnt(1)
	v_mul_f64 v[12:13], v[2:3], v[12:13]
.LBB98_41:                              ;   Parent Loop BB98_35 Depth=1
                                        ; =>  This Inner Loop Header: Depth=2
	s_waitcnt vmcnt(0)
	v_add_f64 v[2:3], v[4:5], v[12:13]
	global_atomic_cmpswap_x2 v[2:3], v[8:9], v[2:5], off glc
	s_waitcnt vmcnt(0)
	v_cmp_eq_u64_e32 vcc, v[2:3], v[4:5]
	s_or_b64 s[34:35], vcc, s[34:35]
	v_pk_mov_b32 v[4:5], v[2:3], v[2:3] op_sel:[0,1]
	s_andn2_b64 exec, exec, s[34:35]
	s_cbranch_execnz .LBB98_41
	s_branch .LBB98_34
.LBB98_42:
	s_or_b64 exec, exec, s[8:9]
	s_mov_b64 s[0:1], 0
.LBB98_43:
	s_and_b64 vcc, exec, s[0:1]
	s_cbranch_vccz .LBB98_170
; %bb.44:
	s_load_dword s0, s[4:5], 0x6c
	s_mov_b32 s31, 0
	v_pk_mov_b32 v[2:3], s[28:29], s[28:29] op_sel:[0,1]
	s_mov_b32 s13, s31
	s_mov_b64 s[34:35], 0
	s_waitcnt lgkmcnt(0)
	s_and_b32 s12, s0, 0xffff
	v_cmp_lt_u64_e32 vcc, s[12:13], v[2:3]
	s_cbranch_vccnz .LBB98_46
; %bb.45:
	v_cvt_f32_u32_e32 v1, s28
	s_sub_i32 s0, 0, s28
	v_rcp_iflag_f32_e32 v1, v1
	v_mul_f32_e32 v1, 0x4f7ffffe, v1
	v_cvt_u32_f32_e32 v1, v1
	v_readfirstlane_b32 s1, v1
	s_mul_i32 s0, s0, s1
	s_mul_hi_u32 s0, s1, s0
	s_add_i32 s1, s1, s0
	s_mul_hi_u32 s0, s12, s1
	s_mul_i32 s2, s0, s28
	s_sub_i32 s2, s12, s2
	s_add_i32 s1, s0, 1
	s_sub_i32 s3, s2, s28
	s_cmp_ge_u32 s2, s28
	s_cselect_b32 s0, s1, s0
	s_cselect_b32 s2, s3, s2
	s_add_i32 s1, s0, 1
	s_cmp_ge_u32 s2, s28
	s_cselect_b32 s34, s1, s0
.LBB98_46:
	s_lshl_b64 s[0:1], s[24:25], 3
	s_add_u32 s10, s16, s0
	s_addc_u32 s11, s17, s1
	s_load_dwordx2 s[8:9], s[10:11], 0x0
	v_subrev_co_u32_e32 v2, vcc, s30, v0
	s_load_dwordx4 s[4:7], s[4:5], 0x8
	v_subb_co_u32_e64 v3, s[0:1], 0, 0, vcc
	s_waitcnt lgkmcnt(0)
	v_mov_b32_e32 v4, s9
	v_add_co_u32_e32 v6, vcc, s8, v2
	v_addc_co_u32_e32 v7, vcc, v4, v3, vcc
	v_add_co_u32_e32 v8, vcc, 0x300, v6
	v_addc_co_u32_e32 v9, vcc, 0, v7, vcc
	v_mov_b32_e32 v1, 0
	v_cmp_le_i64_e64 s[0:1], s[4:5], v[8:9]
	s_and_saveexec_b64 s[2:3], s[0:1]
	s_xor_b64 s[2:3], exec, s[2:3]
	s_cbranch_execnz .LBB98_49
; %bb.47:
	s_andn2_saveexec_b64 s[2:3], s[2:3]
	s_cbranch_execnz .LBB98_53
.LBB98_48:
	s_or_b64 exec, exec, s[2:3]
	v_cmp_gt_i64_e32 vcc, s[6:7], v[0:1]
	s_and_saveexec_b64 s[2:3], vcc
	s_cbranch_execnz .LBB98_54
	s_branch .LBB98_56
.LBB98_49:
	s_lshl_b64 s[4:5], s[26:27], 3
	s_add_u32 s4, s16, s4
	s_addc_u32 s5, s17, s5
	s_load_dwordx2 s[4:5], s[4:5], 0x0
	s_waitcnt lgkmcnt(0)
	s_sub_u32 s4, s4, s8
	s_subb_u32 s5, s5, s9
	v_cmp_gt_i64_e32 vcc, s[4:5], v[0:1]
	s_and_saveexec_b64 s[36:37], vcc
	s_cbranch_execz .LBB98_52
; %bb.50:
	v_lshlrev_b64 v[2:3], 2, v[6:7]
	v_mov_b32_e32 v4, s21
	v_add_co_u32_e32 v2, vcc, s20, v2
	v_addc_co_u32_e32 v3, vcc, v4, v3, vcc
	s_mov_b64 s[38:39], 0
	v_mov_b32_e32 v12, v18
	v_pk_mov_b32 v[4:5], v[0:1], v[0:1] op_sel:[0,1]
.LBB98_51:                              ; =>This Inner Loop Header: Depth=1
	global_load_dword v13, v[2:3], off
	v_add_co_u32_e32 v2, vcc, 0x400, v2
	v_addc_co_u32_e32 v3, vcc, 0, v3, vcc
	v_add_co_u32_e32 v4, vcc, 0x100, v4
	v_addc_co_u32_e32 v5, vcc, 0, v5, vcc
	v_cmp_le_i64_e32 vcc, s[4:5], v[4:5]
	s_or_b64 s[38:39], vcc, s[38:39]
	s_waitcnt vmcnt(0)
	v_cvt_f64_f32_e32 v[14:15], v13
	v_mul_f64 v[14:15], v[10:11], v[14:15]
	ds_write_b64 v12, v[14:15]
	v_add_u32_e32 v12, 0x800, v12
	s_andn2_b64 exec, exec, s[38:39]
	s_cbranch_execnz .LBB98_51
.LBB98_52:
	s_or_b64 exec, exec, s[36:37]
                                        ; implicit-def: $vgpr10_vgpr11
	s_andn2_saveexec_b64 s[2:3], s[2:3]
	s_cbranch_execz .LBB98_48
.LBB98_53:
	v_lshlrev_b64 v[2:3], 2, v[6:7]
	v_mov_b32_e32 v4, s21
	v_add_co_u32_e32 v2, vcc, s20, v2
	v_addc_co_u32_e32 v3, vcc, v4, v3, vcc
	global_load_dword v4, v[2:3], off
	global_load_dword v5, v[2:3], off offset:1024
	global_load_dword v12, v[2:3], off offset:2048
	;; [unrolled: 1-line block ×3, first 2 shown]
	s_waitcnt vmcnt(3)
	v_cvt_f64_f32_e32 v[2:3], v4
	s_waitcnt vmcnt(2)
	v_cvt_f64_f32_e32 v[4:5], v5
	;; [unrolled: 2-line block ×4, first 2 shown]
	v_mul_f64 v[2:3], v[10:11], v[2:3]
	v_mul_f64 v[4:5], v[10:11], v[4:5]
	;; [unrolled: 1-line block ×4, first 2 shown]
	ds_write2st64_b64 v18, v[2:3], v[4:5] offset1:4
	ds_write2st64_b64 v18, v[12:13], v[10:11] offset0:8 offset1:12
	s_or_b64 exec, exec, s[2:3]
	v_cmp_gt_i64_e32 vcc, s[6:7], v[0:1]
	s_and_saveexec_b64 s[2:3], vcc
	s_cbranch_execz .LBB98_56
.LBB98_54:
	v_mov_b32_e32 v2, 0x2000
	v_lshl_add_u32 v10, v0, 3, v2
	v_mov_b32_e32 v2, 0
	s_mov_b64 s[4:5], 0
	v_mov_b32_e32 v3, v2
	v_pk_mov_b32 v[4:5], v[0:1], v[0:1] op_sel:[0,1]
.LBB98_55:                              ; =>This Inner Loop Header: Depth=1
	v_add_co_u32_e32 v4, vcc, 0x100, v4
	v_addc_co_u32_e32 v5, vcc, 0, v5, vcc
	v_cmp_le_i64_e32 vcc, s[6:7], v[4:5]
	ds_write_b64 v10, v[2:3]
	s_or_b64 s[4:5], vcc, s[4:5]
	v_add_u32_e32 v10, 0x800, v10
	s_andn2_b64 exec, exec, s[4:5]
	s_cbranch_execnz .LBB98_55
.LBB98_56:
	s_or_b64 exec, exec, s[2:3]
	s_sub_u32 s4, s26, s6
	v_pk_mov_b32 v[2:3], s[6:7], s[6:7] op_sel:[0,1]
	s_subb_u32 s5, s27, s7
	v_cmp_ge_i64_e32 vcc, s[26:27], v[2:3]
	s_and_b64 s[2:3], vcc, exec
	s_cselect_b32 s5, s5, 0
	s_cselect_b32 s4, s4, 0
	s_waitcnt lgkmcnt(0)
	s_barrier
	s_and_saveexec_b64 s[2:3], s[0:1]
	s_xor_b64 s[20:21], exec, s[2:3]
	s_cbranch_execz .LBB98_75
; %bb.57:
	s_lshl_b64 s[0:1], s[26:27], 3
	s_add_u32 s0, s16, s0
	s_addc_u32 s1, s17, s1
	s_load_dwordx2 s[0:1], s[0:1], 0x0
	s_waitcnt lgkmcnt(0)
	s_sub_u32 s36, s0, s8
	s_subb_u32 s37, s1, s9
	v_cmp_gt_i64_e32 vcc, s[36:37], v[0:1]
	s_and_saveexec_b64 s[38:39], vcc
	s_cbranch_execz .LBB98_74
; %bb.58:
	s_add_u32 s40, s26, -1
	s_addc_u32 s41, s27, -1
	s_add_u32 s2, s26, -2
	s_addc_u32 s3, s27, -1
	v_pk_mov_b32 v[2:3], s[24:25], s[24:25] op_sel:[0,1]
	s_cmp_lg_u64 s[2:3], s[24:25]
	v_cmp_gt_i64_e32 vcc, s[40:41], v[2:3]
	s_cselect_b64 s[2:3], -1, 0
	s_and_b64 s[2:3], vcc, s[2:3]
	s_sub_u32 s42, s0, s30
	v_cndmask_b32_e64 v2, 0, 1, s[2:3]
	s_subb_u32 s43, s1, 0
	s_mov_b64 s[44:45], 0
	v_cmp_ne_u32_e64 s[0:1], 1, v2
	v_mov_b32_e32 v16, s17
	v_mov_b32_e32 v17, s31
	;; [unrolled: 1-line block ×4, first 2 shown]
	s_mov_b64 s[46:47], 0
	s_branch .LBB98_61
.LBB98_59:                              ;   in Loop: Header=BB98_61 Depth=1
	s_or_b64 exec, exec, s[2:3]
.LBB98_60:                              ;   in Loop: Header=BB98_61 Depth=1
	s_or_b64 exec, exec, s[48:49]
	v_lshlrev_b64 v[2:3], 3, v[8:9]
	v_mov_b32_e32 v4, s23
	v_add_co_u32_e32 v2, vcc, s22, v2
	v_addc_co_u32_e32 v3, vcc, v4, v3, vcc
	global_load_dwordx2 v[2:3], v[2:3], off
	s_add_u32 s46, s46, 0x100
	s_addc_u32 s47, s47, 0
	v_mov_b32_e32 v5, s47
	v_add_co_u32_e32 v4, vcc, s46, v0
	v_addc_co_u32_e32 v5, vcc, 0, v5, vcc
	v_cmp_le_i64_e32 vcc, s[36:37], v[4:5]
	v_lshlrev_b32_e32 v8, 3, v21
	s_or_b64 s[44:45], vcc, s[44:45]
	s_waitcnt vmcnt(0) lgkmcnt(0)
	v_mul_f64 v[2:3], v[2:3], v[10:11]
	ds_write_b64 v8, v[2:3]
	s_andn2_b64 exec, exec, s[44:45]
	s_cbranch_execz .LBB98_74
.LBB98_61:                              ; =>This Loop Header: Depth=1
                                        ;     Child Loop BB98_63 Depth 2
                                        ;     Child Loop BB98_70 Depth 2
	v_mov_b32_e32 v3, s47
	v_add_co_u32_e32 v2, vcc, s46, v6
	v_addc_co_u32_e32 v3, vcc, v3, v7, vcc
	s_and_b64 vcc, exec, s[0:1]
	v_pk_mov_b32 v[4:5], s[24:25], s[24:25] op_sel:[0,1]
	v_pk_mov_b32 v[10:11], s[40:41], s[40:41] op_sel:[0,1]
	s_cbranch_vccnz .LBB98_65
; %bb.62:                               ;   in Loop: Header=BB98_61 Depth=1
	s_mov_b64 s[48:49], 0
	v_pk_mov_b32 v[4:5], s[24:25], s[24:25] op_sel:[0,1]
	v_pk_mov_b32 v[10:11], s[40:41], s[40:41] op_sel:[0,1]
.LBB98_63:                              ;   Parent Loop BB98_61 Depth=1
                                        ; =>  This Inner Loop Header: Depth=2
	v_add_co_u32_e32 v8, vcc, v10, v4
	v_addc_co_u32_e32 v9, vcc, v11, v5, vcc
	v_lshrrev_b32_e32 v12, 31, v9
	v_add_co_u32_e32 v8, vcc, v8, v12
	v_addc_co_u32_e32 v9, vcc, 0, v9, vcc
	v_ashrrev_i64 v[8:9], 1, v[8:9]
	v_lshlrev_b64 v[12:13], 3, v[8:9]
	v_mov_b32_e32 v14, s17
	v_add_co_u32_e32 v12, vcc, s16, v12
	v_addc_co_u32_e32 v13, vcc, v14, v13, vcc
	global_load_dwordx2 v[12:13], v[12:13], off
	v_mov_b32_e32 v14, s31
	s_waitcnt vmcnt(0)
	v_subrev_co_u32_e32 v12, vcc, s30, v12
	v_subb_co_u32_e32 v13, vcc, v13, v14, vcc
	v_cmp_gt_i64_e32 vcc, v[12:13], v[2:3]
	v_cndmask_b32_e32 v10, v10, v8, vcc
	v_cndmask_b32_e32 v11, v11, v9, vcc
	;; [unrolled: 1-line block ×3, first 2 shown]
	v_add_co_u32_e64 v8, s[2:3], -1, v10
	v_cndmask_b32_e32 v5, v9, v5, vcc
	v_addc_co_u32_e64 v9, s[2:3], -1, v11, s[2:3]
	v_cmp_ge_i64_e32 vcc, v[4:5], v[10:11]
	v_cmp_eq_u64_e64 s[2:3], v[4:5], v[8:9]
	s_or_b64 s[2:3], vcc, s[2:3]
	s_and_b64 s[2:3], exec, s[2:3]
	s_or_b64 s[48:49], s[2:3], s[48:49]
	s_andn2_b64 exec, exec, s[48:49]
	s_cbranch_execnz .LBB98_63
; %bb.64:                               ;   in Loop: Header=BB98_61 Depth=1
	s_or_b64 exec, exec, s[48:49]
.LBB98_65:                              ;   in Loop: Header=BB98_61 Depth=1
	v_lshlrev_b64 v[8:9], 3, v[10:11]
	v_add_co_u32_e32 v8, vcc, s16, v8
	v_addc_co_u32_e32 v9, vcc, v16, v9, vcc
	v_lshlrev_b64 v[12:13], 3, v[2:3]
	global_load_dwordx2 v[8:9], v[8:9], off
	v_add_co_u32_e32 v12, vcc, s18, v12
	v_addc_co_u32_e32 v13, vcc, v19, v13, vcc
	global_load_dwordx2 v[12:13], v[12:13], off
	v_add_co_u32_e32 v21, vcc, s46, v0
	v_cmp_le_i64_e32 vcc, s[42:43], v[2:3]
	s_waitcnt vmcnt(1)
	v_subrev_co_u32_e64 v14, s[2:3], s30, v8
	v_subb_co_u32_e64 v15, s[2:3], v9, v17, s[2:3]
	s_waitcnt vmcnt(0)
	v_subrev_co_u32_e64 v8, s[2:3], s30, v12
	v_subb_co_u32_e64 v9, s[2:3], v13, v17, s[2:3]
	v_cmp_gt_i64_e64 s[2:3], v[14:15], v[2:3]
	v_cndmask_b32_e64 v3, v11, v5, s[2:3]
	v_cndmask_b32_e64 v2, v10, v4, s[2:3]
	v_cmp_eq_u64_e64 s[2:3], v[8:9], v[2:3]
	s_or_b64 s[2:3], s[2:3], vcc
	v_lshlrev_b32_e32 v14, 3, v21
                                        ; implicit-def: $vgpr10_vgpr11
	s_and_saveexec_b64 s[48:49], s[2:3]
	s_xor_b64 s[2:3], exec, s[48:49]
	s_cbranch_execz .LBB98_67
; %bb.66:                               ;   in Loop: Header=BB98_61 Depth=1
	ds_read_b64 v[10:11], v14
                                        ; implicit-def: $vgpr14
                                        ; implicit-def: $vgpr2_vgpr3
.LBB98_67:                              ;   in Loop: Header=BB98_61 Depth=1
	s_andn2_saveexec_b64 s[48:49], s[2:3]
	s_cbranch_execz .LBB98_60
; %bb.68:                               ;   in Loop: Header=BB98_61 Depth=1
	v_cmp_gt_i64_e32 vcc, s[4:5], v[8:9]
	v_cmp_le_i64_e64 s[2:3], s[26:27], v[8:9]
	s_or_b64 s[2:3], vcc, s[2:3]
	v_lshlrev_b64 v[2:3], 3, v[2:3]
                                        ; implicit-def: $vgpr10_vgpr11
	s_and_saveexec_b64 s[50:51], s[2:3]
	s_xor_b64 s[2:3], exec, s[50:51]
	s_cbranch_execz .LBB98_72
; %bb.69:                               ;   in Loop: Header=BB98_61 Depth=1
	s_waitcnt lgkmcnt(0)
	v_mov_b32_e32 v11, s23
	v_add_co_u32_e32 v2, vcc, s22, v2
	v_lshlrev_b64 v[4:5], 3, v[8:9]
	v_addc_co_u32_e32 v3, vcc, v11, v3, vcc
	v_mov_b32_e32 v10, s15
	v_add_co_u32_e32 v12, vcc, s14, v4
	global_load_dwordx2 v[2:3], v[2:3], off
	v_addc_co_u32_e32 v13, vcc, v10, v5, vcc
	global_load_dwordx2 v[4:5], v[12:13], off
	ds_read_b64 v[10:11], v14
	s_mov_b64 s[50:51], 0
	s_waitcnt vmcnt(1) lgkmcnt(0)
	v_mul_f64 v[14:15], v[10:11], v[2:3]
.LBB98_70:                              ;   Parent Loop BB98_61 Depth=1
                                        ; =>  This Inner Loop Header: Depth=2
	s_waitcnt vmcnt(0)
	v_add_f64 v[2:3], v[4:5], v[14:15]
	global_atomic_cmpswap_x2 v[2:3], v[12:13], v[2:5], off glc
	s_waitcnt vmcnt(0)
	v_cmp_eq_u64_e32 vcc, v[2:3], v[4:5]
	s_or_b64 s[50:51], vcc, s[50:51]
	v_pk_mov_b32 v[4:5], v[2:3], v[2:3] op_sel:[0,1]
	s_andn2_b64 exec, exec, s[50:51]
	s_cbranch_execnz .LBB98_70
; %bb.71:                               ;   in Loop: Header=BB98_61 Depth=1
	s_or_b64 exec, exec, s[50:51]
                                        ; implicit-def: $vgpr14
                                        ; implicit-def: $vgpr2_vgpr3
.LBB98_72:                              ;   in Loop: Header=BB98_61 Depth=1
	s_andn2_saveexec_b64 s[2:3], s[2:3]
	s_cbranch_execz .LBB98_59
; %bb.73:                               ;   in Loop: Header=BB98_61 Depth=1
	v_mov_b32_e32 v4, s23
	v_add_co_u32_e32 v2, vcc, s22, v2
	v_addc_co_u32_e32 v3, vcc, v4, v3, vcc
	global_load_dwordx2 v[2:3], v[2:3], off
	s_waitcnt lgkmcnt(0)
	ds_read_b64 v[10:11], v14
	v_subrev_u32_e32 v4, s4, v8
	v_lshl_add_u32 v4, v4, 3, v20
	s_waitcnt vmcnt(0) lgkmcnt(0)
	v_mul_f64 v[2:3], v[10:11], v[2:3]
	ds_add_f64 v4, v[2:3]
	s_branch .LBB98_59
.LBB98_74:
	s_or_b64 exec, exec, s[38:39]
                                        ; implicit-def: $vgpr8_vgpr9
                                        ; implicit-def: $vgpr6
.LBB98_75:
	s_andn2_saveexec_b64 s[20:21], s[20:21]
	s_cbranch_execz .LBB98_125
; %bb.76:
	s_add_u32 s36, s26, -1
	s_addc_u32 s37, s27, -1
	s_add_u32 s0, s26, -2
	s_addc_u32 s1, s27, -1
	v_pk_mov_b32 v[2:3], s[24:25], s[24:25] op_sel:[0,1]
	s_cmp_eq_u64 s[0:1], s[24:25]
	v_cmp_le_i64_e32 vcc, s[36:37], v[2:3]
	s_cselect_b64 s[0:1], -1, 0
	s_or_b64 s[2:3], vcc, s[0:1]
	s_and_b64 vcc, exec, s[2:3]
	v_pk_mov_b32 v[4:5], s[36:37], s[36:37] op_sel:[0,1]
	s_cbranch_vccnz .LBB98_80
; %bb.77:
	s_mov_b64 s[38:39], 0
	v_pk_mov_b32 v[2:3], s[24:25], s[24:25] op_sel:[0,1]
	v_pk_mov_b32 v[4:5], s[36:37], s[36:37] op_sel:[0,1]
	v_mov_b32_e32 v10, s17
	v_mov_b32_e32 v11, s31
.LBB98_78:                              ; =>This Inner Loop Header: Depth=1
	v_add_co_u32_e32 v12, vcc, v4, v2
	v_addc_co_u32_e32 v13, vcc, v5, v3, vcc
	v_lshrrev_b32_e32 v14, 31, v13
	v_add_co_u32_e32 v12, vcc, v12, v14
	v_addc_co_u32_e32 v13, vcc, 0, v13, vcc
	v_ashrrev_i64 v[12:13], 1, v[12:13]
	v_lshlrev_b64 v[14:15], 3, v[12:13]
	v_add_co_u32_e32 v14, vcc, s16, v14
	v_addc_co_u32_e32 v15, vcc, v10, v15, vcc
	global_load_dwordx2 v[14:15], v[14:15], off
	s_waitcnt vmcnt(0)
	v_subrev_co_u32_e32 v14, vcc, s30, v14
	v_subb_co_u32_e32 v15, vcc, v15, v11, vcc
	v_cmp_gt_i64_e32 vcc, v[14:15], v[6:7]
	v_cndmask_b32_e32 v4, v4, v12, vcc
	v_cndmask_b32_e32 v5, v5, v13, vcc
	;; [unrolled: 1-line block ×3, first 2 shown]
	v_add_co_u32_e64 v12, s[0:1], -1, v4
	v_cndmask_b32_e32 v3, v13, v3, vcc
	v_addc_co_u32_e64 v13, s[0:1], -1, v5, s[0:1]
	v_cmp_ge_i64_e32 vcc, v[2:3], v[4:5]
	v_cmp_eq_u64_e64 s[0:1], v[2:3], v[12:13]
	s_or_b64 s[0:1], vcc, s[0:1]
	s_and_b64 s[0:1], exec, s[0:1]
	s_or_b64 s[38:39], s[0:1], s[38:39]
	s_andn2_b64 exec, exec, s[38:39]
	s_cbranch_execnz .LBB98_78
; %bb.79:
	s_or_b64 exec, exec, s[38:39]
.LBB98_80:
	v_lshlrev_b64 v[10:11], 3, v[4:5]
	v_mov_b32_e32 v12, s17
	v_add_co_u32_e32 v10, vcc, s16, v10
	v_addc_co_u32_e32 v11, vcc, v12, v11, vcc
	global_load_dwordx2 v[12:13], v[10:11], off
	v_lshlrev_b64 v[10:11], 3, v[6:7]
	v_mov_b32_e32 v14, s19
	v_add_co_u32_e32 v10, vcc, s18, v10
	v_addc_co_u32_e32 v11, vcc, v14, v11, vcc
	global_load_dwordx2 v[14:15], v[10:11], off
	v_mov_b32_e32 v16, s31
	s_xor_b64 s[2:3], s[2:3], -1
	s_lshl_b64 s[0:1], s[26:27], 3
	s_add_u32 s18, s16, s0
	s_addc_u32 s19, s17, s1
	s_waitcnt vmcnt(1)
	v_subrev_co_u32_e32 v12, vcc, s30, v12
	v_subb_co_u32_e32 v13, vcc, v13, v16, vcc
	v_cmp_gt_i64_e32 vcc, v[12:13], v[6:7]
	v_cndmask_b32_e32 v3, v5, v3, vcc
	v_cndmask_b32_e32 v2, v4, v2, vcc
	s_waitcnt vmcnt(0)
	v_subrev_co_u32_e32 v12, vcc, s30, v14
	v_subb_co_u32_e32 v13, vcc, v15, v16, vcc
	v_cmp_ne_u64_e32 vcc, v[12:13], v[2:3]
	s_and_saveexec_b64 s[38:39], vcc
	s_cbranch_execz .LBB98_88
; %bb.81:
	s_load_dwordx2 s[0:1], s[18:19], 0x0
	s_waitcnt lgkmcnt(0)
	s_sub_u32 s0, s0, s30
	s_subb_u32 s1, s1, 0
	v_cmp_gt_i64_e32 vcc, s[0:1], v[6:7]
	s_and_b64 exec, exec, vcc
	s_cbranch_execz .LBB98_88
; %bb.82:
	v_cmp_gt_i64_e32 vcc, s[4:5], v[12:13]
	v_cmp_le_i64_e64 s[0:1], s[26:27], v[12:13]
	s_or_b64 s[0:1], vcc, s[0:1]
	v_lshlrev_b64 v[2:3], 3, v[2:3]
	s_and_saveexec_b64 s[40:41], s[0:1]
	s_xor_b64 s[0:1], exec, s[40:41]
	s_cbranch_execz .LBB98_86
; %bb.83:
	v_mov_b32_e32 v14, s23
	v_add_co_u32_e32 v2, vcc, s22, v2
	v_lshlrev_b64 v[4:5], 3, v[12:13]
	v_addc_co_u32_e32 v3, vcc, v14, v3, vcc
	v_mov_b32_e32 v15, s15
	v_add_co_u32_e32 v14, vcc, s14, v4
	global_load_dwordx2 v[2:3], v[2:3], off
	v_addc_co_u32_e32 v15, vcc, v15, v5, vcc
	global_load_dwordx2 v[4:5], v[14:15], off
	ds_read_b64 v[16:17], v18
	s_mov_b64 s[40:41], 0
	s_waitcnt vmcnt(1) lgkmcnt(0)
	v_mul_f64 v[16:17], v[16:17], v[2:3]
.LBB98_84:                              ; =>This Inner Loop Header: Depth=1
	s_waitcnt vmcnt(0)
	v_add_f64 v[2:3], v[4:5], v[16:17]
	global_atomic_cmpswap_x2 v[2:3], v[14:15], v[2:5], off glc
	s_waitcnt vmcnt(0)
	v_cmp_eq_u64_e32 vcc, v[2:3], v[4:5]
	s_or_b64 s[40:41], vcc, s[40:41]
	v_pk_mov_b32 v[4:5], v[2:3], v[2:3] op_sel:[0,1]
	s_andn2_b64 exec, exec, s[40:41]
	s_cbranch_execnz .LBB98_84
; %bb.85:
	s_or_b64 exec, exec, s[40:41]
                                        ; implicit-def: $vgpr2_vgpr3
.LBB98_86:
	s_andn2_saveexec_b64 s[0:1], s[0:1]
	s_cbranch_execz .LBB98_88
; %bb.87:
	v_mov_b32_e32 v4, s23
	v_add_co_u32_e32 v2, vcc, s22, v2
	v_addc_co_u32_e32 v3, vcc, v4, v3, vcc
	global_load_dwordx2 v[2:3], v[2:3], off
	ds_read_b64 v[4:5], v18
	v_subrev_u32_e32 v14, s4, v12
	v_mov_b32_e32 v15, 0x2000
	v_lshl_add_u32 v14, v14, 3, v15
	s_waitcnt vmcnt(0) lgkmcnt(0)
	v_mul_f64 v[2:3], v[4:5], v[2:3]
	ds_add_f64 v14, v[2:3]
.LBB98_88:
	s_or_b64 exec, exec, s[38:39]
	v_lshlrev_b64 v[2:3], 3, v[12:13]
	v_mov_b32_e32 v4, s23
	v_add_co_u32_e32 v2, vcc, s22, v2
	v_addc_co_u32_e32 v3, vcc, v4, v3, vcc
	global_load_dwordx2 v[12:13], v[2:3], off
	ds_read_b64 v[14:15], v18
	v_add_co_u32_e32 v2, vcc, 0x100, v6
	v_cndmask_b32_e64 v16, 0, 1, s[2:3]
	v_addc_co_u32_e32 v3, vcc, 0, v7, vcc
	v_pk_mov_b32 v[4:5], s[24:25], s[24:25] op_sel:[0,1]
	v_cmp_ne_u32_e64 s[0:1], 1, v16
	s_andn2_b64 vcc, exec, s[2:3]
	s_waitcnt vmcnt(0) lgkmcnt(0)
	v_mul_f64 v[12:13], v[12:13], v[14:15]
	ds_write_b64 v18, v[12:13]
	v_pk_mov_b32 v[12:13], s[36:37], s[36:37] op_sel:[0,1]
	s_cbranch_vccnz .LBB98_92
; %bb.89:
	s_mov_b64 s[38:39], 0
	v_pk_mov_b32 v[4:5], s[24:25], s[24:25] op_sel:[0,1]
	v_pk_mov_b32 v[12:13], s[36:37], s[36:37] op_sel:[0,1]
	v_mov_b32_e32 v14, s17
	v_mov_b32_e32 v15, s31
.LBB98_90:                              ; =>This Inner Loop Header: Depth=1
	v_add_co_u32_e32 v16, vcc, v12, v4
	v_addc_co_u32_e32 v17, vcc, v13, v5, vcc
	v_lshrrev_b32_e32 v19, 31, v17
	v_add_co_u32_e32 v16, vcc, v16, v19
	v_addc_co_u32_e32 v17, vcc, 0, v17, vcc
	v_ashrrev_i64 v[16:17], 1, v[16:17]
	v_lshlrev_b64 v[20:21], 3, v[16:17]
	v_add_co_u32_e32 v20, vcc, s16, v20
	v_addc_co_u32_e32 v21, vcc, v14, v21, vcc
	global_load_dwordx2 v[20:21], v[20:21], off
	s_waitcnt vmcnt(0)
	v_subrev_co_u32_e32 v20, vcc, s30, v20
	v_subb_co_u32_e32 v21, vcc, v21, v15, vcc
	v_cmp_gt_i64_e32 vcc, v[20:21], v[2:3]
	v_cndmask_b32_e32 v12, v12, v16, vcc
	v_cndmask_b32_e32 v13, v13, v17, vcc
	;; [unrolled: 1-line block ×3, first 2 shown]
	v_add_co_u32_e64 v16, s[2:3], -1, v12
	v_cndmask_b32_e32 v5, v17, v5, vcc
	v_addc_co_u32_e64 v17, s[2:3], -1, v13, s[2:3]
	v_cmp_ge_i64_e32 vcc, v[4:5], v[12:13]
	v_cmp_eq_u64_e64 s[2:3], v[4:5], v[16:17]
	s_or_b64 s[2:3], vcc, s[2:3]
	s_and_b64 s[2:3], exec, s[2:3]
	s_or_b64 s[38:39], s[2:3], s[38:39]
	s_andn2_b64 exec, exec, s[38:39]
	s_cbranch_execnz .LBB98_90
; %bb.91:
	s_or_b64 exec, exec, s[38:39]
.LBB98_92:
	v_lshlrev_b64 v[14:15], 3, v[12:13]
	v_mov_b32_e32 v16, s17
	v_add_co_u32_e32 v14, vcc, s16, v14
	v_addc_co_u32_e32 v15, vcc, v16, v15, vcc
	global_load_dwordx2 v[16:17], v[14:15], off
	global_load_dwordx2 v[20:21], v[10:11], off offset:2048
	v_mov_b32_e32 v19, s31
	s_waitcnt vmcnt(1)
	v_subrev_co_u32_e32 v14, vcc, s30, v16
	v_subb_co_u32_e32 v15, vcc, v17, v19, vcc
	v_cmp_gt_i64_e32 vcc, v[14:15], v[2:3]
	v_cndmask_b32_e32 v5, v13, v5, vcc
	v_cndmask_b32_e32 v4, v12, v4, vcc
	s_waitcnt vmcnt(0)
	v_subrev_co_u32_e32 v12, vcc, s30, v20
	v_subb_co_u32_e32 v13, vcc, v21, v19, vcc
	v_cmp_ne_u64_e32 vcc, v[12:13], v[4:5]
	s_and_saveexec_b64 s[38:39], vcc
	s_cbranch_execz .LBB98_100
; %bb.93:
	s_load_dwordx2 s[2:3], s[18:19], 0x0
	s_waitcnt lgkmcnt(0)
	s_sub_u32 s2, s2, s30
	s_subb_u32 s3, s3, 0
	v_cmp_gt_i64_e32 vcc, s[2:3], v[2:3]
	s_and_b64 exec, exec, vcc
	s_cbranch_execz .LBB98_100
; %bb.94:
	v_cmp_gt_i64_e32 vcc, s[4:5], v[12:13]
	v_cmp_le_i64_e64 s[2:3], s[26:27], v[12:13]
	s_or_b64 s[2:3], vcc, s[2:3]
	v_lshlrev_b64 v[2:3], 3, v[4:5]
	s_and_saveexec_b64 s[40:41], s[2:3]
	s_xor_b64 s[2:3], exec, s[40:41]
	s_cbranch_execz .LBB98_98
; %bb.95:
	v_mov_b32_e32 v14, s23
	v_add_co_u32_e32 v2, vcc, s22, v2
	v_lshlrev_b64 v[4:5], 3, v[12:13]
	v_addc_co_u32_e32 v3, vcc, v14, v3, vcc
	v_mov_b32_e32 v15, s15
	v_add_co_u32_e32 v14, vcc, s14, v4
	global_load_dwordx2 v[2:3], v[2:3], off
	v_addc_co_u32_e32 v15, vcc, v15, v5, vcc
	global_load_dwordx2 v[4:5], v[14:15], off
	ds_read_b64 v[16:17], v18 offset:2048
	s_mov_b64 s[40:41], 0
	s_waitcnt vmcnt(1) lgkmcnt(0)
	v_mul_f64 v[16:17], v[16:17], v[2:3]
.LBB98_96:                              ; =>This Inner Loop Header: Depth=1
	s_waitcnt vmcnt(0)
	v_add_f64 v[2:3], v[4:5], v[16:17]
	global_atomic_cmpswap_x2 v[2:3], v[14:15], v[2:5], off glc
	s_waitcnt vmcnt(0)
	v_cmp_eq_u64_e32 vcc, v[2:3], v[4:5]
	s_or_b64 s[40:41], vcc, s[40:41]
	v_pk_mov_b32 v[4:5], v[2:3], v[2:3] op_sel:[0,1]
	s_andn2_b64 exec, exec, s[40:41]
	s_cbranch_execnz .LBB98_96
; %bb.97:
	s_or_b64 exec, exec, s[40:41]
                                        ; implicit-def: $vgpr2_vgpr3
.LBB98_98:
	s_andn2_saveexec_b64 s[2:3], s[2:3]
	s_cbranch_execz .LBB98_100
; %bb.99:
	v_mov_b32_e32 v4, s23
	v_add_co_u32_e32 v2, vcc, s22, v2
	v_addc_co_u32_e32 v3, vcc, v4, v3, vcc
	global_load_dwordx2 v[2:3], v[2:3], off
	ds_read_b64 v[4:5], v18 offset:2048
	v_subrev_u32_e32 v14, s4, v12
	v_mov_b32_e32 v15, 0x2000
	v_lshl_add_u32 v14, v14, 3, v15
	s_waitcnt vmcnt(0) lgkmcnt(0)
	v_mul_f64 v[2:3], v[4:5], v[2:3]
	ds_add_f64 v14, v[2:3]
.LBB98_100:
	s_or_b64 exec, exec, s[38:39]
	v_lshlrev_b64 v[2:3], 3, v[12:13]
	v_mov_b32_e32 v4, s23
	v_add_co_u32_e32 v2, vcc, s22, v2
	v_addc_co_u32_e32 v3, vcc, v4, v3, vcc
	global_load_dwordx2 v[12:13], v[2:3], off
	ds_read_b64 v[14:15], v18 offset:2048
	v_add_co_u32_e32 v2, vcc, 0x200, v6
	v_addc_co_u32_e32 v3, vcc, 0, v7, vcc
	v_pk_mov_b32 v[4:5], s[24:25], s[24:25] op_sel:[0,1]
	s_and_b64 vcc, exec, s[0:1]
	s_waitcnt vmcnt(0) lgkmcnt(0)
	v_mul_f64 v[6:7], v[12:13], v[14:15]
	ds_write_b64 v18, v[6:7] offset:2048
	v_pk_mov_b32 v[6:7], s[36:37], s[36:37] op_sel:[0,1]
	s_cbranch_vccnz .LBB98_104
; %bb.101:
	s_mov_b64 s[38:39], 0
	v_pk_mov_b32 v[4:5], s[24:25], s[24:25] op_sel:[0,1]
	v_pk_mov_b32 v[6:7], s[36:37], s[36:37] op_sel:[0,1]
	v_mov_b32_e32 v12, s17
	v_mov_b32_e32 v13, s31
.LBB98_102:                             ; =>This Inner Loop Header: Depth=1
	v_add_co_u32_e32 v14, vcc, v6, v4
	v_addc_co_u32_e32 v15, vcc, v7, v5, vcc
	v_lshrrev_b32_e32 v16, 31, v15
	v_add_co_u32_e32 v14, vcc, v14, v16
	v_addc_co_u32_e32 v15, vcc, 0, v15, vcc
	v_ashrrev_i64 v[14:15], 1, v[14:15]
	v_lshlrev_b64 v[16:17], 3, v[14:15]
	v_add_co_u32_e32 v16, vcc, s16, v16
	v_addc_co_u32_e32 v17, vcc, v12, v17, vcc
	global_load_dwordx2 v[16:17], v[16:17], off
	s_waitcnt vmcnt(0)
	v_subrev_co_u32_e32 v16, vcc, s30, v16
	v_subb_co_u32_e32 v17, vcc, v17, v13, vcc
	v_cmp_gt_i64_e32 vcc, v[16:17], v[2:3]
	v_cndmask_b32_e32 v6, v6, v14, vcc
	v_cndmask_b32_e32 v7, v7, v15, vcc
	;; [unrolled: 1-line block ×3, first 2 shown]
	v_add_co_u32_e64 v14, s[2:3], -1, v6
	v_cndmask_b32_e32 v5, v15, v5, vcc
	v_addc_co_u32_e64 v15, s[2:3], -1, v7, s[2:3]
	v_cmp_ge_i64_e32 vcc, v[4:5], v[6:7]
	v_cmp_eq_u64_e64 s[2:3], v[4:5], v[14:15]
	s_or_b64 s[2:3], vcc, s[2:3]
	s_and_b64 s[2:3], exec, s[2:3]
	s_or_b64 s[38:39], s[2:3], s[38:39]
	s_andn2_b64 exec, exec, s[38:39]
	s_cbranch_execnz .LBB98_102
; %bb.103:
	s_or_b64 exec, exec, s[38:39]
.LBB98_104:
	v_lshlrev_b64 v[12:13], 3, v[6:7]
	v_mov_b32_e32 v14, s17
	v_add_co_u32_e32 v12, vcc, s16, v12
	v_addc_co_u32_e32 v13, vcc, v14, v13, vcc
	global_load_dwordx2 v[12:13], v[12:13], off
	v_add_co_u32_e32 v14, vcc, 0x1000, v10
	v_addc_co_u32_e32 v15, vcc, 0, v11, vcc
	global_load_dwordx2 v[14:15], v[14:15], off
	v_mov_b32_e32 v16, s31
	s_waitcnt vmcnt(1)
	v_subrev_co_u32_e32 v12, vcc, s30, v12
	v_subb_co_u32_e32 v13, vcc, v13, v16, vcc
	v_cmp_gt_i64_e32 vcc, v[12:13], v[2:3]
	v_cndmask_b32_e32 v5, v7, v5, vcc
	v_cndmask_b32_e32 v4, v6, v4, vcc
	s_waitcnt vmcnt(0)
	v_subrev_co_u32_e32 v6, vcc, s30, v14
	v_subb_co_u32_e32 v7, vcc, v15, v16, vcc
	v_cmp_ne_u64_e32 vcc, v[6:7], v[4:5]
	s_and_saveexec_b64 s[38:39], vcc
	s_cbranch_execz .LBB98_112
; %bb.105:
	s_load_dwordx2 s[2:3], s[18:19], 0x0
	s_waitcnt lgkmcnt(0)
	s_sub_u32 s2, s2, s30
	s_subb_u32 s3, s3, 0
	v_cmp_gt_i64_e32 vcc, s[2:3], v[2:3]
	s_and_b64 exec, exec, vcc
	s_cbranch_execz .LBB98_112
; %bb.106:
	v_cmp_gt_i64_e32 vcc, s[4:5], v[6:7]
	v_cmp_le_i64_e64 s[2:3], s[26:27], v[6:7]
	s_or_b64 s[2:3], vcc, s[2:3]
	v_lshlrev_b64 v[2:3], 3, v[4:5]
	s_and_saveexec_b64 s[40:41], s[2:3]
	s_xor_b64 s[2:3], exec, s[40:41]
	s_cbranch_execz .LBB98_110
; %bb.107:
	v_mov_b32_e32 v12, s23
	v_add_co_u32_e32 v2, vcc, s22, v2
	v_lshlrev_b64 v[4:5], 3, v[6:7]
	v_addc_co_u32_e32 v3, vcc, v12, v3, vcc
	v_mov_b32_e32 v13, s15
	v_add_co_u32_e32 v12, vcc, s14, v4
	global_load_dwordx2 v[2:3], v[2:3], off
	v_addc_co_u32_e32 v13, vcc, v13, v5, vcc
	global_load_dwordx2 v[4:5], v[12:13], off
	ds_read_b64 v[14:15], v18 offset:4096
	s_mov_b64 s[40:41], 0
	s_waitcnt vmcnt(1) lgkmcnt(0)
	v_mul_f64 v[14:15], v[14:15], v[2:3]
.LBB98_108:                             ; =>This Inner Loop Header: Depth=1
	s_waitcnt vmcnt(0)
	v_add_f64 v[2:3], v[4:5], v[14:15]
	global_atomic_cmpswap_x2 v[2:3], v[12:13], v[2:5], off glc
	s_waitcnt vmcnt(0)
	v_cmp_eq_u64_e32 vcc, v[2:3], v[4:5]
	s_or_b64 s[40:41], vcc, s[40:41]
	v_pk_mov_b32 v[4:5], v[2:3], v[2:3] op_sel:[0,1]
	s_andn2_b64 exec, exec, s[40:41]
	s_cbranch_execnz .LBB98_108
; %bb.109:
	s_or_b64 exec, exec, s[40:41]
                                        ; implicit-def: $vgpr2_vgpr3
.LBB98_110:
	s_andn2_saveexec_b64 s[2:3], s[2:3]
	s_cbranch_execz .LBB98_112
; %bb.111:
	v_mov_b32_e32 v4, s23
	v_add_co_u32_e32 v2, vcc, s22, v2
	v_addc_co_u32_e32 v3, vcc, v4, v3, vcc
	global_load_dwordx2 v[2:3], v[2:3], off
	ds_read_b64 v[4:5], v18 offset:4096
	v_subrev_u32_e32 v12, s4, v6
	v_mov_b32_e32 v13, 0x2000
	v_lshl_add_u32 v12, v12, 3, v13
	s_waitcnt vmcnt(0) lgkmcnt(0)
	v_mul_f64 v[2:3], v[4:5], v[2:3]
	ds_add_f64 v12, v[2:3]
.LBB98_112:
	s_or_b64 exec, exec, s[38:39]
	v_lshlrev_b64 v[2:3], 3, v[6:7]
	v_mov_b32_e32 v4, s23
	v_add_co_u32_e32 v2, vcc, s22, v2
	v_addc_co_u32_e32 v3, vcc, v4, v3, vcc
	global_load_dwordx2 v[4:5], v[2:3], off
	ds_read_b64 v[6:7], v18 offset:4096
	s_and_b64 vcc, exec, s[0:1]
	v_pk_mov_b32 v[2:3], s[24:25], s[24:25] op_sel:[0,1]
	s_waitcnt vmcnt(0) lgkmcnt(0)
	v_mul_f64 v[4:5], v[4:5], v[6:7]
	ds_write_b64 v18, v[4:5] offset:4096
	v_pk_mov_b32 v[4:5], s[36:37], s[36:37] op_sel:[0,1]
	s_cbranch_vccnz .LBB98_116
; %bb.113:
	s_mov_b64 s[2:3], 0
	v_pk_mov_b32 v[2:3], s[24:25], s[24:25] op_sel:[0,1]
	v_pk_mov_b32 v[4:5], s[36:37], s[36:37] op_sel:[0,1]
	v_mov_b32_e32 v6, s17
	v_mov_b32_e32 v7, s31
.LBB98_114:                             ; =>This Inner Loop Header: Depth=1
	v_add_co_u32_e32 v12, vcc, v4, v2
	v_addc_co_u32_e32 v13, vcc, v5, v3, vcc
	v_lshrrev_b32_e32 v14, 31, v13
	v_add_co_u32_e32 v12, vcc, v12, v14
	v_addc_co_u32_e32 v13, vcc, 0, v13, vcc
	v_ashrrev_i64 v[12:13], 1, v[12:13]
	v_lshlrev_b64 v[14:15], 3, v[12:13]
	v_add_co_u32_e32 v14, vcc, s16, v14
	v_addc_co_u32_e32 v15, vcc, v6, v15, vcc
	global_load_dwordx2 v[14:15], v[14:15], off
	s_waitcnt vmcnt(0)
	v_subrev_co_u32_e32 v14, vcc, s30, v14
	v_subb_co_u32_e32 v15, vcc, v15, v7, vcc
	v_cmp_gt_i64_e32 vcc, v[14:15], v[8:9]
	v_cndmask_b32_e32 v4, v4, v12, vcc
	v_cndmask_b32_e32 v5, v5, v13, vcc
	;; [unrolled: 1-line block ×3, first 2 shown]
	v_add_co_u32_e64 v12, s[0:1], -1, v4
	v_cndmask_b32_e32 v3, v13, v3, vcc
	v_addc_co_u32_e64 v13, s[0:1], -1, v5, s[0:1]
	v_cmp_ge_i64_e32 vcc, v[2:3], v[4:5]
	v_cmp_eq_u64_e64 s[0:1], v[2:3], v[12:13]
	s_or_b64 s[0:1], vcc, s[0:1]
	s_and_b64 s[0:1], exec, s[0:1]
	s_or_b64 s[2:3], s[0:1], s[2:3]
	s_andn2_b64 exec, exec, s[2:3]
	s_cbranch_execnz .LBB98_114
; %bb.115:
	s_or_b64 exec, exec, s[2:3]
.LBB98_116:
	v_lshlrev_b64 v[6:7], 3, v[4:5]
	v_mov_b32_e32 v12, s17
	v_add_co_u32_e32 v6, vcc, s16, v6
	v_addc_co_u32_e32 v7, vcc, v12, v7, vcc
	global_load_dwordx2 v[6:7], v[6:7], off
	v_add_co_u32_e32 v10, vcc, 0x1000, v10
	v_addc_co_u32_e32 v11, vcc, 0, v11, vcc
	global_load_dwordx2 v[10:11], v[10:11], off offset:2048
	v_mov_b32_e32 v12, s31
	s_waitcnt vmcnt(1)
	v_subrev_co_u32_e32 v6, vcc, s30, v6
	v_subb_co_u32_e32 v7, vcc, v7, v12, vcc
	v_cmp_gt_i64_e32 vcc, v[6:7], v[8:9]
	v_cndmask_b32_e32 v3, v5, v3, vcc
	v_cndmask_b32_e32 v2, v4, v2, vcc
	s_waitcnt vmcnt(0)
	v_subrev_co_u32_e32 v6, vcc, s30, v10
	v_subb_co_u32_e32 v7, vcc, v11, v12, vcc
	v_cmp_ne_u64_e32 vcc, v[6:7], v[2:3]
	s_and_saveexec_b64 s[2:3], vcc
	s_cbranch_execz .LBB98_124
; %bb.117:
	s_load_dwordx2 s[0:1], s[18:19], 0x0
	s_waitcnt lgkmcnt(0)
	s_sub_u32 s0, s0, s30
	s_subb_u32 s1, s1, 0
	v_cmp_gt_i64_e32 vcc, s[0:1], v[8:9]
	s_and_b64 exec, exec, vcc
	s_cbranch_execz .LBB98_124
; %bb.118:
	v_cmp_gt_i64_e32 vcc, s[4:5], v[6:7]
	v_cmp_le_i64_e64 s[0:1], s[26:27], v[6:7]
	s_or_b64 s[0:1], vcc, s[0:1]
	v_lshlrev_b64 v[2:3], 3, v[2:3]
	s_and_saveexec_b64 s[18:19], s[0:1]
	s_xor_b64 s[0:1], exec, s[18:19]
	s_cbranch_execz .LBB98_122
; %bb.119:
	v_mov_b32_e32 v8, s23
	v_add_co_u32_e32 v2, vcc, s22, v2
	v_lshlrev_b64 v[4:5], 3, v[6:7]
	v_addc_co_u32_e32 v3, vcc, v8, v3, vcc
	v_mov_b32_e32 v9, s15
	v_add_co_u32_e32 v8, vcc, s14, v4
	global_load_dwordx2 v[2:3], v[2:3], off
	v_addc_co_u32_e32 v9, vcc, v9, v5, vcc
	global_load_dwordx2 v[4:5], v[8:9], off
	ds_read_b64 v[10:11], v18 offset:6144
	s_mov_b64 s[18:19], 0
	s_waitcnt vmcnt(1) lgkmcnt(0)
	v_mul_f64 v[10:11], v[10:11], v[2:3]
.LBB98_120:                             ; =>This Inner Loop Header: Depth=1
	s_waitcnt vmcnt(0)
	v_add_f64 v[2:3], v[4:5], v[10:11]
	global_atomic_cmpswap_x2 v[2:3], v[8:9], v[2:5], off glc
	s_waitcnt vmcnt(0)
	v_cmp_eq_u64_e32 vcc, v[2:3], v[4:5]
	s_or_b64 s[18:19], vcc, s[18:19]
	v_pk_mov_b32 v[4:5], v[2:3], v[2:3] op_sel:[0,1]
	s_andn2_b64 exec, exec, s[18:19]
	s_cbranch_execnz .LBB98_120
; %bb.121:
	s_or_b64 exec, exec, s[18:19]
                                        ; implicit-def: $vgpr2_vgpr3
.LBB98_122:
	s_andn2_saveexec_b64 s[0:1], s[0:1]
	s_cbranch_execz .LBB98_124
; %bb.123:
	v_mov_b32_e32 v4, s23
	v_add_co_u32_e32 v2, vcc, s22, v2
	v_addc_co_u32_e32 v3, vcc, v4, v3, vcc
	global_load_dwordx2 v[2:3], v[2:3], off
	ds_read_b64 v[4:5], v18 offset:6144
	v_subrev_u32_e32 v8, s4, v6
	v_mov_b32_e32 v9, 0x2000
	v_lshl_add_u32 v8, v8, 3, v9
	s_waitcnt vmcnt(0) lgkmcnt(0)
	v_mul_f64 v[2:3], v[4:5], v[2:3]
	ds_add_f64 v8, v[2:3]
.LBB98_124:
	s_or_b64 exec, exec, s[2:3]
	v_lshlrev_b64 v[2:3], 3, v[6:7]
	v_mov_b32_e32 v4, s23
	v_add_co_u32_e32 v2, vcc, s22, v2
	v_addc_co_u32_e32 v3, vcc, v4, v3, vcc
	global_load_dwordx2 v[2:3], v[2:3], off
	ds_read_b64 v[4:5], v18 offset:6144
	s_waitcnt vmcnt(0) lgkmcnt(0)
	v_mul_f64 v[2:3], v[2:3], v[4:5]
	ds_write_b64 v18, v[2:3] offset:6144
.LBB98_125:
	s_or_b64 exec, exec, s[20:21]
	v_pk_mov_b32 v[2:3], s[6:7], s[6:7] op_sel:[0,1]
	v_cmp_lt_i64_e32 vcc, s[26:27], v[2:3]
	s_and_b64 s[0:1], vcc, exec
	s_cselect_b32 s18, s26, s6
	s_cselect_b32 s0, s27, s7
	s_sub_u32 s2, s18, s28
	s_subb_u32 s3, s0, s29
	v_cmp_gt_i64_e32 vcc, s[2:3], v[0:1]
	s_waitcnt lgkmcnt(0)
	s_barrier
	s_and_saveexec_b64 s[0:1], vcc
	s_cbranch_execz .LBB98_130
; %bb.126:
	s_lshl_b64 s[4:5], s[4:5], 3
	s_add_u32 s19, s14, s4
	s_addc_u32 s6, s15, s5
	s_mov_b64 s[4:5], 0
	v_mov_b32_e32 v12, s6
	v_mov_b32_e32 v13, 0x2000
	v_pk_mov_b32 v[6:7], v[0:1], v[0:1] op_sel:[0,1]
.LBB98_127:                             ; =>This Loop Header: Depth=1
                                        ;     Child Loop BB98_128 Depth 2
	v_lshlrev_b64 v[2:3], 3, v[6:7]
	v_add_co_u32_e32 v8, vcc, s19, v2
	v_addc_co_u32_e32 v9, vcc, v12, v3, vcc
	global_load_dwordx2 v[4:5], v[8:9], off
	v_lshl_add_u32 v2, v6, 3, v13
	ds_read_b64 v[10:11], v2
	s_mov_b64 s[6:7], 0
.LBB98_128:                             ;   Parent Loop BB98_127 Depth=1
                                        ; =>  This Inner Loop Header: Depth=2
	s_waitcnt vmcnt(0) lgkmcnt(0)
	v_add_f64 v[2:3], v[4:5], v[10:11]
	global_atomic_cmpswap_x2 v[2:3], v[8:9], v[2:5], off glc
	s_waitcnt vmcnt(0)
	v_cmp_eq_u64_e32 vcc, v[2:3], v[4:5]
	s_or_b64 s[6:7], vcc, s[6:7]
	v_pk_mov_b32 v[4:5], v[2:3], v[2:3] op_sel:[0,1]
	s_andn2_b64 exec, exec, s[6:7]
	s_cbranch_execnz .LBB98_128
; %bb.129:                              ;   in Loop: Header=BB98_127 Depth=1
	s_or_b64 exec, exec, s[6:7]
	v_add_co_u32_e32 v6, vcc, 0x100, v6
	v_addc_co_u32_e32 v7, vcc, 0, v7, vcc
	v_cmp_le_i64_e32 vcc, s[2:3], v[6:7]
	s_or_b64 s[4:5], vcc, s[4:5]
	s_andn2_b64 exec, exec, s[4:5]
	s_cbranch_execnz .LBB98_127
.LBB98_130:
	s_or_b64 exec, exec, s[0:1]
	s_add_i32 s0, s34, -1
	s_ashr_i32 s1, s0, 1
	s_or_b32 s0, s1, s0
	s_ashr_i32 s1, s0, 2
	s_or_b32 s0, s1, s0
	;; [unrolled: 2-line block ×5, first 2 shown]
	s_add_i32 s3, s3, 1
	s_ashr_i32 s20, s3, 1
	v_mov_b32_e32 v2, s25
	v_add_co_u32_e32 v6, vcc, s24, v0
	v_addc_co_u32_e32 v7, vcc, 0, v2, vcc
	s_cmp_gt_i32 s20, 1
	s_mov_b64 s[0:1], -1
	s_barrier
	s_cbranch_scc1 .LBB98_141
; %bb.131:
	v_cmp_gt_i64_e32 vcc, s[26:27], v[6:7]
	s_and_saveexec_b64 s[0:1], vcc
	s_cbranch_execz .LBB98_140
; %bb.132:
	s_sub_i32 s4, s18, s26
	s_lshl_b32 s4, s4, 3
	s_add_i32 s21, s4, 0x2000
	s_lshl_b32 s4, s8, 3
	s_sub_i32 s22, 0, s4
	s_mov_b64 s[4:5], 0
	v_mov_b32_e32 v16, s17
	v_mov_b32_e32 v17, s15
	;; [unrolled: 1-line block ×3, first 2 shown]
	v_pk_mov_b32 v[8:9], v[6:7], v[6:7] op_sel:[0,1]
.LBB98_133:                             ; =>This Loop Header: Depth=1
                                        ;     Child Loop BB98_135 Depth 2
                                        ;     Child Loop BB98_138 Depth 2
	v_lshlrev_b64 v[10:11], 3, v[8:9]
	v_add_co_u32_e32 v2, vcc, s16, v10
	v_addc_co_u32_e32 v3, vcc, v16, v11, vcc
	global_load_dwordx4 v[2:5], v[2:3], off
	v_pk_mov_b32 v[12:13], 0, 0
	s_waitcnt vmcnt(0)
	v_cmp_lt_i64_e32 vcc, v[2:3], v[4:5]
	s_and_saveexec_b64 s[6:7], vcc
	s_cbranch_execz .LBB98_137
; %bb.134:                              ;   in Loop: Header=BB98_133 Depth=1
	v_mov_b32_e32 v12, s9
	v_subrev_co_u32_e32 v4, vcc, s8, v4
	v_subb_co_u32_e32 v5, vcc, v5, v12, vcc
	v_subrev_co_u32_e32 v14, vcc, s8, v2
	v_subb_co_u32_e32 v15, vcc, v3, v12, vcc
	v_lshl_add_u32 v2, v2, 3, s22
	s_mov_b64 s[18:19], 0
	v_pk_mov_b32 v[12:13], 0, 0
.LBB98_135:                             ;   Parent Loop BB98_133 Depth=1
                                        ; =>  This Inner Loop Header: Depth=2
	ds_read_b64 v[20:21], v2
	v_add_co_u32_e32 v14, vcc, 1, v14
	v_addc_co_u32_e32 v15, vcc, 0, v15, vcc
	v_cmp_ge_i64_e32 vcc, v[14:15], v[4:5]
	v_add_u32_e32 v2, 8, v2
	s_or_b64 s[18:19], vcc, s[18:19]
	s_waitcnt lgkmcnt(0)
	v_add_f64 v[12:13], v[12:13], v[20:21]
	s_andn2_b64 exec, exec, s[18:19]
	s_cbranch_execnz .LBB98_135
; %bb.136:                              ;   in Loop: Header=BB98_133 Depth=1
	s_or_b64 exec, exec, s[18:19]
.LBB98_137:                             ;   in Loop: Header=BB98_133 Depth=1
	s_or_b64 exec, exec, s[6:7]
	v_add_co_u32_e32 v10, vcc, s14, v10
	v_addc_co_u32_e32 v11, vcc, v17, v11, vcc
	global_load_dwordx2 v[4:5], v[10:11], off
	v_lshl_add_u32 v2, v8, 3, s21
	ds_read_b64 v[2:3], v2
	s_mov_b64 s[6:7], 0
	s_waitcnt lgkmcnt(0)
	v_add_f64 v[12:13], v[12:13], v[2:3]
.LBB98_138:                             ;   Parent Loop BB98_133 Depth=1
                                        ; =>  This Inner Loop Header: Depth=2
	s_waitcnt vmcnt(0)
	v_add_f64 v[2:3], v[4:5], v[12:13]
	global_atomic_cmpswap_x2 v[2:3], v[10:11], v[2:5], off glc
	s_waitcnt vmcnt(0)
	v_cmp_eq_u64_e32 vcc, v[2:3], v[4:5]
	s_or_b64 s[6:7], vcc, s[6:7]
	v_pk_mov_b32 v[4:5], v[2:3], v[2:3] op_sel:[0,1]
	s_andn2_b64 exec, exec, s[6:7]
	s_cbranch_execnz .LBB98_138
; %bb.139:                              ;   in Loop: Header=BB98_133 Depth=1
	s_or_b64 exec, exec, s[6:7]
	v_add_co_u32_e32 v8, vcc, s12, v8
	v_addc_co_u32_e32 v9, vcc, v9, v19, vcc
	v_cmp_le_i64_e32 vcc, s[26:27], v[8:9]
	s_or_b64 s[4:5], vcc, s[4:5]
	s_andn2_b64 exec, exec, s[4:5]
	s_cbranch_execnz .LBB98_133
.LBB98_140:
	s_or_b64 exec, exec, s[0:1]
	s_mov_b64 s[0:1], 0
.LBB98_141:
	s_andn2_b64 vcc, exec, s[0:1]
	s_cbranch_vccnz .LBB98_170
; %bb.142:
	v_cvt_f32_u32_e32 v14, s20
	s_sub_i32 s6, 0, s20
	v_mov_b32_e32 v11, 0
	v_mov_b32_e32 v4, s11
	v_rcp_iflag_f32_e32 v2, v14
	v_mov_b32_e32 v12, s9
	v_mul_f32_e32 v2, 0x4f7ffffe, v2
	v_cvt_u32_f32_e32 v2, v2
	v_mul_lo_u32 v3, s6, v2
	v_mul_hi_u32 v3, v2, v3
	v_add_u32_e32 v2, v2, v3
	v_mul_hi_u32 v2, v0, v2
	v_mul_lo_u32 v3, v2, s20
	v_sub_u32_e32 v3, v0, v3
	v_add_u32_e32 v5, 1, v2
	v_cmp_le_u32_e32 vcc, s20, v3
	v_cndmask_b32_e32 v2, v2, v5, vcc
	v_subrev_u32_e32 v5, s20, v3
	v_cndmask_b32_e32 v3, v3, v5, vcc
	v_add_u32_e32 v5, 1, v2
	v_cmp_le_u32_e32 vcc, s20, v3
	v_cndmask_b32_e32 v10, v2, v5, vcc
	v_lshlrev_b64 v[2:3], 3, v[10:11]
	v_add_co_u32_e32 v2, vcc, s10, v2
	v_addc_co_u32_e32 v3, vcc, v4, v3, vcc
	global_load_dwordx4 v[2:5], v[2:3], off
	s_waitcnt vmcnt(0)
	v_subrev_co_u32_e32 v8, vcc, s8, v2
	v_subb_co_u32_e32 v9, vcc, v3, v12, vcc
	v_subrev_co_u32_e32 v19, vcc, s8, v4
	v_subb_co_u32_e32 v20, vcc, v5, v12, vcc
	v_sub_co_u32_e32 v3, vcc, v19, v8
	v_subb_co_u32_e32 v13, vcc, v20, v9, vcc
	v_mov_b32_e32 v12, v11
	v_cmp_ne_u64_e32 vcc, 0, v[12:13]
                                        ; implicit-def: $vgpr4_vgpr5
	s_and_saveexec_b64 s[0:1], vcc
	s_xor_b64 s[4:5], exec, s[0:1]
	s_cbranch_execz .LBB98_144
; %bb.143:
	v_cvt_f32_ubyte0_e32 v4, 0
	v_madmk_f32 v4, v4, 0x4f800000, v14
	v_rcp_f32_e32 v4, v4
	s_sub_u32 s0, 0, s20
	s_subb_u32 s1, 0, 0
	v_mul_f32_e32 v4, 0x5f7ffffc, v4
	v_mul_f32_e32 v5, 0x2f800000, v4
	v_trunc_f32_e32 v5, v5
	v_madmk_f32 v4, v5, 0xcf800000, v4
	v_cvt_u32_f32_e32 v5, v5
	v_cvt_u32_f32_e32 v4, v4
	v_mul_lo_u32 v12, s0, v5
	v_mul_hi_u32 v15, s0, v4
	v_mul_lo_u32 v14, s1, v4
	v_add_u32_e32 v12, v15, v12
	v_add_u32_e32 v12, v12, v14
	v_mul_lo_u32 v16, s0, v4
	v_mul_lo_u32 v15, v4, v12
	v_mul_hi_u32 v17, v4, v16
	v_mul_hi_u32 v14, v4, v12
	v_add_co_u32_e32 v15, vcc, v17, v15
	v_addc_co_u32_e32 v14, vcc, 0, v14, vcc
	v_mul_hi_u32 v21, v5, v16
	v_mul_lo_u32 v16, v5, v16
	v_add_co_u32_e32 v15, vcc, v15, v16
	v_mul_hi_u32 v17, v5, v12
	v_addc_co_u32_e32 v14, vcc, v14, v21, vcc
	v_addc_co_u32_e32 v15, vcc, 0, v17, vcc
	v_mul_lo_u32 v12, v5, v12
	v_add_co_u32_e32 v12, vcc, v14, v12
	v_addc_co_u32_e32 v14, vcc, 0, v15, vcc
	v_add_co_u32_e32 v4, vcc, v4, v12
	v_addc_co_u32_e32 v5, vcc, v5, v14, vcc
	v_mul_lo_u32 v12, s0, v5
	v_mul_hi_u32 v14, s0, v4
	v_add_u32_e32 v12, v14, v12
	v_mul_lo_u32 v14, s1, v4
	v_add_u32_e32 v12, v12, v14
	v_mul_lo_u32 v15, s0, v4
	v_mul_hi_u32 v16, v5, v15
	v_mul_lo_u32 v17, v5, v15
	v_mul_lo_u32 v22, v4, v12
	v_mul_hi_u32 v15, v4, v15
	v_mul_hi_u32 v21, v4, v12
	v_add_co_u32_e32 v15, vcc, v15, v22
	v_addc_co_u32_e32 v21, vcc, 0, v21, vcc
	v_add_co_u32_e32 v15, vcc, v15, v17
	v_mul_hi_u32 v14, v5, v12
	v_addc_co_u32_e32 v15, vcc, v21, v16, vcc
	v_addc_co_u32_e32 v14, vcc, 0, v14, vcc
	v_mul_lo_u32 v12, v5, v12
	v_add_co_u32_e32 v12, vcc, v15, v12
	v_addc_co_u32_e32 v14, vcc, 0, v14, vcc
	v_add_co_u32_e32 v12, vcc, v4, v12
	v_addc_co_u32_e32 v14, vcc, v5, v14, vcc
	v_ashrrev_i32_e32 v15, 31, v13
	v_add_co_u32_e32 v3, vcc, v3, v15
	v_addc_co_u32_e32 v4, vcc, v13, v15, vcc
	v_xor_b32_e32 v3, v3, v15
	v_xor_b32_e32 v16, v4, v15
	v_mad_u64_u32 v[4:5], s[0:1], v3, v14, 0
	v_mul_hi_u32 v13, v3, v12
	v_add_co_u32_e32 v17, vcc, v13, v4
	v_addc_co_u32_e32 v21, vcc, 0, v5, vcc
	v_mad_u64_u32 v[12:13], s[0:1], v16, v12, 0
	v_add_co_u32_e32 v12, vcc, v17, v12
	v_mad_u64_u32 v[4:5], s[0:1], v16, v14, 0
	v_addc_co_u32_e32 v12, vcc, v21, v13, vcc
	v_addc_co_u32_e32 v5, vcc, 0, v5, vcc
	v_add_co_u32_e32 v14, vcc, v12, v4
	v_addc_co_u32_e32 v17, vcc, 0, v5, vcc
	v_mad_u64_u32 v[4:5], s[0:1], s20, v14, 0
	v_mov_b32_e32 v12, v5
	v_mad_u64_u32 v[12:13], s[0:1], s20, v17, v[12:13]
	v_sub_co_u32_e32 v3, vcc, v3, v4
	v_subb_co_u32_e32 v4, vcc, v16, v12, vcc
	v_subrev_co_u32_e32 v5, vcc, s20, v3
	v_subbrev_co_u32_e32 v12, vcc, 0, v4, vcc
	v_cmp_le_u32_e32 vcc, s20, v5
	v_cndmask_b32_e64 v5, 0, -1, vcc
	v_cmp_eq_u32_e32 vcc, 0, v12
	v_cndmask_b32_e32 v5, -1, v5, vcc
	v_add_co_u32_e32 v12, vcc, 2, v14
	v_addc_co_u32_e32 v13, vcc, 0, v17, vcc
	v_add_co_u32_e32 v16, vcc, 1, v14
	v_cmp_le_u32_e64 s[0:1], s20, v3
	v_addc_co_u32_e32 v21, vcc, 0, v17, vcc
	v_cndmask_b32_e64 v3, 0, -1, s[0:1]
	v_cmp_eq_u32_e64 s[0:1], 0, v4
	v_cmp_ne_u32_e32 vcc, 0, v5
	v_cndmask_b32_e64 v3, -1, v3, s[0:1]
	v_cmp_ne_u32_e64 s[0:1], 0, v3
	v_cndmask_b32_e32 v4, v16, v12, vcc
	v_cndmask_b32_e32 v5, v21, v13, vcc
	v_cndmask_b32_e64 v4, v14, v4, s[0:1]
	v_cndmask_b32_e64 v3, v17, v5, s[0:1]
	v_xor_b32_e32 v4, v4, v15
	v_xor_b32_e32 v3, v3, v15
	v_sub_co_u32_e32 v4, vcc, v4, v15
	v_subb_co_u32_e32 v5, vcc, v3, v15, vcc
                                        ; implicit-def: $vgpr3
.LBB98_144:
	s_andn2_saveexec_b64 s[0:1], s[4:5]
	s_cbranch_execz .LBB98_146
; %bb.145:
	v_cvt_f32_u32_e32 v4, s20
	v_rcp_iflag_f32_e32 v4, v4
	v_mul_f32_e32 v4, 0x4f7ffffe, v4
	v_cvt_u32_f32_e32 v4, v4
	v_mul_lo_u32 v5, s6, v4
	v_mul_hi_u32 v5, v4, v5
	v_add_u32_e32 v4, v4, v5
	v_mul_hi_u32 v4, v3, v4
	v_mul_lo_u32 v5, v4, s20
	v_sub_u32_e32 v3, v3, v5
	v_add_u32_e32 v12, 1, v4
	v_subrev_u32_e32 v5, s20, v3
	v_cmp_le_u32_e32 vcc, s20, v3
	v_cndmask_b32_e32 v3, v3, v5, vcc
	v_cndmask_b32_e32 v4, v4, v12, vcc
	v_add_u32_e32 v5, 1, v4
	v_cmp_le_u32_e32 vcc, s20, v3
	v_cndmask_b32_e32 v4, v4, v5, vcc
	v_mov_b32_e32 v5, 0
.LBB98_146:
	s_or_b64 exec, exec, s[0:1]
	v_cmp_gt_i64_e32 vcc, s[28:29], v[10:11]
	v_pk_mov_b32 v[12:13], 0, 0
	s_and_saveexec_b64 s[0:1], vcc
	s_cbranch_execz .LBB98_160
; %bb.147:
	s_add_i32 s4, s20, -1
	v_and_b32_e32 v10, s4, v0
	v_cmp_lt_i64_e32 vcc, 0, v[4:5]
	v_pk_mov_b32 v[12:13], 0, 0
	s_and_saveexec_b64 s[4:5], vcc
	s_cbranch_execz .LBB98_157
; %bb.148:
	v_cmp_lt_u64_e32 vcc, 3, v[4:5]
	v_pk_mov_b32 v[14:15], 0, 0
	v_pk_mov_b32 v[12:13], 0, 0
	s_and_saveexec_b64 s[6:7], vcc
	s_cbranch_execz .LBB98_152
; %bb.149:
	s_lshl_b32 s10, s8, 3
	s_lshl_b32 s11, s20, 4
	;; [unrolled: 1-line block ×3, first 2 shown]
	v_lshlrev_b32_e32 v3, 3, v2
	s_sub_i32 s17, s11, s10
	s_mul_i32 s11, s20, 24
	v_and_b32_e32 v15, 0x7fffffff, v5
	v_and_b32_e32 v14, -4, v4
	s_sub_i32 s9, s9, s10
	v_lshl_add_u32 v3, v10, 3, v3
	s_lshl_b32 s16, s20, 5
	s_sub_i32 s18, s11, s10
	s_sub_i32 s19, 0, s10
	s_mov_b64 s[10:11], 0
	v_pk_mov_b32 v[12:13], 0, 0
	s_mov_b64 s[12:13], 0
.LBB98_150:                             ; =>This Inner Loop Header: Depth=1
	v_add_u32_e32 v11, s19, v3
	v_add_u32_e32 v24, s17, v3
	;; [unrolled: 1-line block ×4, first 2 shown]
	ds_read_b64 v[16:17], v11
	ds_read_b64 v[22:23], v21
	;; [unrolled: 1-line block ×4, first 2 shown]
	s_add_u32 s12, s12, 4
	s_waitcnt lgkmcnt(3)
	v_add_f64 v[12:13], v[12:13], v[16:17]
	s_addc_u32 s13, s13, 0
	s_waitcnt lgkmcnt(2)
	v_add_f64 v[12:13], v[12:13], v[22:23]
	v_cmp_eq_u64_e32 vcc, s[12:13], v[14:15]
	s_waitcnt lgkmcnt(1)
	v_add_f64 v[12:13], v[12:13], v[24:25]
	v_add_u32_e32 v3, s16, v3
	s_or_b64 s[10:11], vcc, s[10:11]
	s_waitcnt lgkmcnt(0)
	v_add_f64 v[12:13], v[12:13], v[26:27]
	s_andn2_b64 exec, exec, s[10:11]
	s_cbranch_execnz .LBB98_150
; %bb.151:
	s_or_b64 exec, exec, s[10:11]
.LBB98_152:
	s_or_b64 exec, exec, s[6:7]
	v_and_b32_e32 v16, 3, v4
	v_mov_b32_e32 v17, 0
	s_mov_b64 s[10:11], 0
	v_cmp_ne_u64_e32 vcc, 0, v[16:17]
	s_and_saveexec_b64 s[6:7], vcc
	s_cbranch_execz .LBB98_156
; %bb.153:
	v_mul_lo_u32 v3, s20, v14
	v_add3_u32 v2, v10, v3, v2
	v_subrev_u32_e32 v2, s8, v2
	v_lshlrev_b32_e32 v2, 3, v2
	s_lshl_b32 s8, s20, 3
.LBB98_154:                             ; =>This Inner Loop Header: Depth=1
	ds_read_b64 v[14:15], v2
	v_add_co_u32_e32 v16, vcc, -1, v16
	v_addc_co_u32_e32 v17, vcc, -1, v17, vcc
	v_cmp_eq_u64_e32 vcc, 0, v[16:17]
	v_add_u32_e32 v2, s8, v2
	s_or_b64 s[10:11], vcc, s[10:11]
	s_waitcnt lgkmcnt(0)
	v_add_f64 v[12:13], v[12:13], v[14:15]
	s_andn2_b64 exec, exec, s[10:11]
	s_cbranch_execnz .LBB98_154
; %bb.155:
	s_or_b64 exec, exec, s[10:11]
.LBB98_156:
	s_or_b64 exec, exec, s[6:7]
.LBB98_157:
	s_or_b64 exec, exec, s[4:5]
	v_mad_u64_u32 v[2:3], s[4:5], v4, s20, v[8:9]
	v_mov_b32_e32 v4, v3
	v_mad_u64_u32 v[4:5], s[4:5], v5, s20, v[4:5]
	v_mov_b32_e32 v3, v4
	v_sub_co_u32_e32 v4, vcc, v19, v2
	v_mov_b32_e32 v11, 0
	v_subb_co_u32_e32 v5, vcc, v20, v3, vcc
	v_cmp_gt_i64_e32 vcc, v[4:5], v[10:11]
	s_and_saveexec_b64 s[4:5], vcc
	s_cbranch_execz .LBB98_159
; %bb.158:
	v_add_lshl_u32 v2, v10, v2, 3
	ds_read_b64 v[2:3], v2
	s_waitcnt lgkmcnt(0)
	v_add_f64 v[12:13], v[12:13], v[2:3]
.LBB98_159:
	s_or_b64 exec, exec, s[4:5]
.LBB98_160:
	s_or_b64 exec, exec, s[0:1]
	v_cmp_gt_i64_e32 vcc, s[28:29], v[0:1]
	s_barrier
	ds_write_b64 v18, v[12:13]
	s_waitcnt lgkmcnt(0)
	s_barrier
	s_and_b64 exec, exec, vcc
	s_cbranch_execz .LBB98_170
; %bb.161:
	s_cmp_lt_u32 s20, 8
	v_mul_lo_u32 v1, s20, v0
	s_cbranch_scc1 .LBB98_164
; %bb.162:
	s_and_b32 s0, s20, 0x7ffffff8
	v_lshlrev_b32_e32 v2, 3, v1
	s_mov_b32 s1, 0
	v_pk_mov_b32 v[4:5], 0, 0
.LBB98_163:                             ; =>This Inner Loop Header: Depth=1
	ds_read2_b64 v[8:11], v2 offset1:1
	ds_read2_b64 v[12:15], v2 offset0:2 offset1:3
	ds_read2_b64 v[16:19], v2 offset0:4 offset1:5
	ds_read2_b64 v[20:23], v2 offset0:6 offset1:7
	s_add_i32 s1, s1, 8
	s_waitcnt lgkmcnt(3)
	v_add_f64 v[4:5], v[4:5], v[8:9]
	v_add_f64 v[4:5], v[4:5], v[10:11]
	s_waitcnt lgkmcnt(2)
	v_add_f64 v[4:5], v[4:5], v[12:13]
	v_add_f64 v[4:5], v[4:5], v[14:15]
	;; [unrolled: 3-line block ×3, first 2 shown]
	s_waitcnt lgkmcnt(0)
	v_add_f64 v[4:5], v[4:5], v[20:21]
	v_add_u32_e32 v2, 64, v2
	s_cmp_eq_u32 s0, s1
	v_add_f64 v[4:5], v[4:5], v[22:23]
	s_cbranch_scc0 .LBB98_163
	s_branch .LBB98_165
.LBB98_164:
	s_mov_b32 s0, 0
	v_pk_mov_b32 v[4:5], 0, 0
.LBB98_165:
	s_bfe_u32 s1, s3, 0x30001
	s_cmp_eq_u32 s1, 0
	s_cbranch_scc1 .LBB98_168
; %bb.166:
	v_add_lshl_u32 v1, s0, v1, 3
.LBB98_167:                             ; =>This Inner Loop Header: Depth=1
	ds_read_b64 v[2:3], v1
	s_add_i32 s1, s1, -1
	v_add_u32_e32 v1, 8, v1
	s_cmp_lg_u32 s1, 0
	s_waitcnt lgkmcnt(0)
	v_add_f64 v[4:5], v[4:5], v[2:3]
	s_cbranch_scc1 .LBB98_167
.LBB98_168:
	v_lshlrev_b64 v[2:3], 3, v[6:7]
	v_mov_b32_e32 v1, s15
	v_add_co_u32_e32 v6, vcc, s14, v2
	v_addc_co_u32_e32 v7, vcc, v1, v3, vcc
	global_load_dwordx2 v[2:3], v[6:7], off
	s_lshl_b32 s0, s2, 3
	s_addk_i32 s0, 0x2000
	v_lshl_add_u32 v0, v0, 3, s0
	ds_read_b64 v[0:1], v0
	s_mov_b64 s[0:1], 0
	s_waitcnt lgkmcnt(0)
	v_add_f64 v[4:5], v[4:5], v[0:1]
.LBB98_169:                             ; =>This Inner Loop Header: Depth=1
	s_waitcnt vmcnt(0)
	v_add_f64 v[0:1], v[2:3], v[4:5]
	global_atomic_cmpswap_x2 v[0:1], v[6:7], v[0:3], off glc
	s_waitcnt vmcnt(0)
	v_cmp_eq_u64_e32 vcc, v[0:1], v[2:3]
	s_or_b64 s[0:1], vcc, s[0:1]
	v_pk_mov_b32 v[2:3], v[0:1], v[0:1] op_sel:[0,1]
	s_andn2_b64 exec, exec, s[0:1]
	s_cbranch_execnz .LBB98_169
.LBB98_170:
	s_endpgm
	.section	.rodata,"a",@progbits
	.p2align	6, 0x0
	.amdhsa_kernel _ZN9rocsparseL27csrmvn_symm_adaptive_kernelIllfdddEEvbT_S1_PKS1_NS_24const_host_device_scalarIT4_EES3_PKT0_PKT1_PKT2_S6_PT3_21rocsparse_index_base_b
		.amdhsa_group_segment_fixed_size 8192
		.amdhsa_private_segment_fixed_size 0
		.amdhsa_kernarg_size 352
		.amdhsa_user_sgpr_count 6
		.amdhsa_user_sgpr_private_segment_buffer 1
		.amdhsa_user_sgpr_dispatch_ptr 0
		.amdhsa_user_sgpr_queue_ptr 0
		.amdhsa_user_sgpr_kernarg_segment_ptr 1
		.amdhsa_user_sgpr_dispatch_id 0
		.amdhsa_user_sgpr_flat_scratch_init 0
		.amdhsa_user_sgpr_kernarg_preload_length 0
		.amdhsa_user_sgpr_kernarg_preload_offset 0
		.amdhsa_user_sgpr_private_segment_size 0
		.amdhsa_uses_dynamic_stack 0
		.amdhsa_system_sgpr_private_segment_wavefront_offset 0
		.amdhsa_system_sgpr_workgroup_id_x 1
		.amdhsa_system_sgpr_workgroup_id_y 0
		.amdhsa_system_sgpr_workgroup_id_z 0
		.amdhsa_system_sgpr_workgroup_info 0
		.amdhsa_system_vgpr_workitem_id 0
		.amdhsa_next_free_vgpr 28
		.amdhsa_next_free_sgpr 52
		.amdhsa_accum_offset 28
		.amdhsa_reserve_vcc 1
		.amdhsa_reserve_flat_scratch 0
		.amdhsa_float_round_mode_32 0
		.amdhsa_float_round_mode_16_64 0
		.amdhsa_float_denorm_mode_32 3
		.amdhsa_float_denorm_mode_16_64 3
		.amdhsa_dx10_clamp 1
		.amdhsa_ieee_mode 1
		.amdhsa_fp16_overflow 0
		.amdhsa_tg_split 0
		.amdhsa_exception_fp_ieee_invalid_op 0
		.amdhsa_exception_fp_denorm_src 0
		.amdhsa_exception_fp_ieee_div_zero 0
		.amdhsa_exception_fp_ieee_overflow 0
		.amdhsa_exception_fp_ieee_underflow 0
		.amdhsa_exception_fp_ieee_inexact 0
		.amdhsa_exception_int_div_zero 0
	.end_amdhsa_kernel
	.section	.text._ZN9rocsparseL27csrmvn_symm_adaptive_kernelIllfdddEEvbT_S1_PKS1_NS_24const_host_device_scalarIT4_EES3_PKT0_PKT1_PKT2_S6_PT3_21rocsparse_index_base_b,"axG",@progbits,_ZN9rocsparseL27csrmvn_symm_adaptive_kernelIllfdddEEvbT_S1_PKS1_NS_24const_host_device_scalarIT4_EES3_PKT0_PKT1_PKT2_S6_PT3_21rocsparse_index_base_b,comdat
.Lfunc_end98:
	.size	_ZN9rocsparseL27csrmvn_symm_adaptive_kernelIllfdddEEvbT_S1_PKS1_NS_24const_host_device_scalarIT4_EES3_PKT0_PKT1_PKT2_S6_PT3_21rocsparse_index_base_b, .Lfunc_end98-_ZN9rocsparseL27csrmvn_symm_adaptive_kernelIllfdddEEvbT_S1_PKS1_NS_24const_host_device_scalarIT4_EES3_PKT0_PKT1_PKT2_S6_PT3_21rocsparse_index_base_b
                                        ; -- End function
	.section	.AMDGPU.csdata,"",@progbits
; Kernel info:
; codeLenInByte = 8408
; NumSgprs: 56
; NumVgprs: 28
; NumAgprs: 0
; TotalNumVgprs: 28
; ScratchSize: 0
; MemoryBound: 0
; FloatMode: 240
; IeeeMode: 1
; LDSByteSize: 8192 bytes/workgroup (compile time only)
; SGPRBlocks: 6
; VGPRBlocks: 3
; NumSGPRsForWavesPerEU: 56
; NumVGPRsForWavesPerEU: 28
; AccumOffset: 28
; Occupancy: 8
; WaveLimiterHint : 1
; COMPUTE_PGM_RSRC2:SCRATCH_EN: 0
; COMPUTE_PGM_RSRC2:USER_SGPR: 6
; COMPUTE_PGM_RSRC2:TRAP_HANDLER: 0
; COMPUTE_PGM_RSRC2:TGID_X_EN: 1
; COMPUTE_PGM_RSRC2:TGID_Y_EN: 0
; COMPUTE_PGM_RSRC2:TGID_Z_EN: 0
; COMPUTE_PGM_RSRC2:TIDIG_COMP_CNT: 0
; COMPUTE_PGM_RSRC3_GFX90A:ACCUM_OFFSET: 6
; COMPUTE_PGM_RSRC3_GFX90A:TG_SPLIT: 0
	.section	.text._ZL33csrmvn_symm_large_adaptive_kernelIllfdddEvbT_PKS0_N9rocsparse24const_host_device_scalarIT4_EES2_PKT0_PKT1_PKT2_S6_PT3_21rocsparse_index_base_b,"axG",@progbits,_ZL33csrmvn_symm_large_adaptive_kernelIllfdddEvbT_PKS0_N9rocsparse24const_host_device_scalarIT4_EES2_PKT0_PKT1_PKT2_S6_PT3_21rocsparse_index_base_b,comdat
	.globl	_ZL33csrmvn_symm_large_adaptive_kernelIllfdddEvbT_PKS0_N9rocsparse24const_host_device_scalarIT4_EES2_PKT0_PKT1_PKT2_S6_PT3_21rocsparse_index_base_b ; -- Begin function _ZL33csrmvn_symm_large_adaptive_kernelIllfdddEvbT_PKS0_N9rocsparse24const_host_device_scalarIT4_EES2_PKT0_PKT1_PKT2_S6_PT3_21rocsparse_index_base_b
	.p2align	8
	.type	_ZL33csrmvn_symm_large_adaptive_kernelIllfdddEvbT_PKS0_N9rocsparse24const_host_device_scalarIT4_EES2_PKT0_PKT1_PKT2_S6_PT3_21rocsparse_index_base_b,@function
_ZL33csrmvn_symm_large_adaptive_kernelIllfdddEvbT_PKS0_N9rocsparse24const_host_device_scalarIT4_EES2_PKT0_PKT1_PKT2_S6_PT3_21rocsparse_index_base_b: ; @_ZL33csrmvn_symm_large_adaptive_kernelIllfdddEvbT_PKS0_N9rocsparse24const_host_device_scalarIT4_EES2_PKT0_PKT1_PKT2_S6_PT3_21rocsparse_index_base_b
; %bb.0:
	s_load_dwordx2 s[24:25], s[4:5], 0x50
	s_load_dwordx2 s[8:9], s[4:5], 0x18
	;; [unrolled: 1-line block ×3, first 2 shown]
	s_waitcnt lgkmcnt(0)
	s_bitcmp1_b32 s25, 0
	s_cselect_b64 s[10:11], -1, 0
	s_xor_b64 s[2:3], s[10:11], -1
	s_and_b64 vcc, exec, s[10:11]
	v_pk_mov_b32 v[4:5], s[8:9], s[8:9] op_sel:[0,1]
	s_cbranch_vccnz .LBB99_2
; %bb.1:
	v_pk_mov_b32 v[2:3], s[8:9], s[8:9] op_sel:[0,1]
	flat_load_dwordx2 v[4:5], v[2:3]
.LBB99_2:
	s_andn2_b64 vcc, exec, s[2:3]
	v_pk_mov_b32 v[2:3], s[0:1], s[0:1] op_sel:[0,1]
	s_cbranch_vccnz .LBB99_4
; %bb.3:
	v_pk_mov_b32 v[2:3], s[0:1], s[0:1] op_sel:[0,1]
	flat_load_dwordx2 v[2:3], v[2:3]
.LBB99_4:
	s_waitcnt vmcnt(0) lgkmcnt(0)
	v_cmp_neq_f64_e32 vcc, 0, v[4:5]
	v_cmp_neq_f64_e64 s[0:1], 1.0, v[2:3]
	s_or_b64 s[0:1], vcc, s[0:1]
	s_and_saveexec_b64 s[2:3], s[0:1]
	s_cbranch_execz .LBB99_41
; %bb.5:
	s_load_dwordx2 s[0:1], s[4:5], 0x10
	s_ashr_i32 s7, s6, 31
	s_mov_b32 s2, 0
	s_lshl_b64 s[6:7], s[6:7], 3
	s_mov_b32 s3, s2
	s_waitcnt lgkmcnt(0)
	s_add_u32 s0, s0, s6
	v_lshlrev_b32_e32 v10, 3, v0
	v_pk_mov_b32 v[2:3], s[2:3], s[2:3] op_sel:[0,1]
	s_addc_u32 s1, s1, s7
	ds_write2st64_b64 v10, v[2:3], v[2:3] offset1:4
	ds_write2st64_b64 v10, v[2:3], v[2:3] offset0:8 offset1:12
	s_waitcnt lgkmcnt(0)
	s_barrier
	s_load_dwordx4 s[20:23], s[0:1], 0x0
	s_load_dwordx8 s[12:19], s[4:5], 0x20
	s_load_dwordx2 s[26:27], s[4:5], 0x48
	v_subrev_co_u32_e64 v11, s[0:1], s24, v0
	s_waitcnt lgkmcnt(0)
	v_pk_mov_b32 v[2:3], s[22:23], s[22:23] op_sel:[0,1]
	v_cmp_lt_i64_e32 vcc, s[20:21], v[2:3]
	s_mov_b32 s25, s2
	v_subb_co_u32_e64 v12, s[0:1], 0, 0, s[0:1]
	s_cbranch_vccnz .LBB99_7
; %bb.6:
	s_lshl_b64 s[0:1], s[20:21], 3
	s_add_u32 s0, s12, s0
	s_addc_u32 s1, s13, s1
	s_load_dwordx2 s[28:29], s[0:1], 0x0
	s_cbranch_execz .LBB99_8
	s_branch .LBB99_31
.LBB99_7:
                                        ; implicit-def: $sgpr28_sgpr29
.LBB99_8:
	s_lshl_b64 s[10:11], s[20:21], 3
	s_add_u32 s10, s12, s10
	s_addc_u32 s11, s13, s11
	s_waitcnt lgkmcnt(0)
	s_load_dwordx2 s[28:29], s[10:11], 0x0
	s_movk_i32 s33, 0x100
	s_add_u32 s44, s12, 8
	v_cmp_gt_u32_e64 s[0:1], s33, v0
	v_cmp_gt_u32_e64 s[2:3], 64, v0
	;; [unrolled: 1-line block ×4, first 2 shown]
	v_cmp_eq_u32_e64 s[8:9], 0, v0
	s_addc_u32 s45, s13, 0
	v_mov_b32_e32 v13, s25
	v_mov_b32_e32 v14, s19
	;; [unrolled: 1-line block ×3, first 2 shown]
	s_waitcnt lgkmcnt(0)
	s_mov_b64 s[34:35], s[28:29]
	s_mov_b64 s[30:31], s[20:21]
	s_branch .LBB99_10
.LBB99_9:                               ;   in Loop: Header=BB99_10 Depth=1
	s_or_b64 exec, exec, s[10:11]
	s_add_u32 s30, s30, 1
	s_addc_u32 s31, s31, 0
	v_pk_mov_b32 v[0:1], s[22:23], s[22:23] op_sel:[0,1]
	v_cmp_ge_i64_e32 vcc, s[30:31], v[0:1]
	s_cbranch_vccnz .LBB99_31
.LBB99_10:                              ; =>This Loop Header: Depth=1
                                        ;     Child Loop BB99_12 Depth 2
                                        ;     Child Loop BB99_26 Depth 2
	;; [unrolled: 1-line block ×3, first 2 shown]
	s_lshl_b64 s[36:37], s[30:31], 3
	s_mov_b64 s[10:11], s[34:35]
	s_add_u32 s34, s44, s36
	s_addc_u32 s35, s45, s37
	s_load_dwordx2 s[34:35], s[34:35], 0x0
	v_mov_b32_e32 v1, s11
	v_add_co_u32_e32 v0, vcc, s10, v11
	v_addc_co_u32_e32 v1, vcc, v1, v12, vcc
	s_waitcnt lgkmcnt(0)
	s_sub_u32 s38, s34, s24
	s_subb_u32 s39, s35, 0
	v_cmp_gt_i64_e32 vcc, s[38:39], v[0:1]
	v_pk_mov_b32 v[2:3], 0, 0
	s_and_saveexec_b64 s[40:41], vcc
	s_cbranch_execz .LBB99_14
; %bb.11:                               ;   in Loop: Header=BB99_10 Depth=1
	v_lshlrev_b64 v[2:3], 3, v[0:1]
	v_mov_b32_e32 v7, s15
	v_add_co_u32_e32 v6, vcc, s14, v2
	v_addc_co_u32_e32 v7, vcc, v7, v3, vcc
	v_lshlrev_b64 v[2:3], 2, v[0:1]
	v_mov_b32_e32 v9, s17
	v_add_co_u32_e32 v8, vcc, s16, v2
	v_addc_co_u32_e32 v9, vcc, v9, v3, vcc
	s_mov_b64 s[42:43], 0
	v_pk_mov_b32 v[2:3], 0, 0
.LBB99_12:                              ;   Parent Loop BB99_10 Depth=1
                                        ; =>  This Inner Loop Header: Depth=2
	global_load_dwordx2 v[16:17], v[6:7], off
	global_load_dword v18, v[8:9], off
	s_waitcnt vmcnt(1)
	v_subrev_co_u32_e32 v16, vcc, s24, v16
	v_subb_co_u32_e32 v17, vcc, v17, v13, vcc
	v_lshlrev_b64 v[16:17], 3, v[16:17]
	v_add_co_u32_e32 v16, vcc, s18, v16
	v_addc_co_u32_e32 v17, vcc, v14, v17, vcc
	global_load_dwordx2 v[16:17], v[16:17], off
	v_add_co_u32_e32 v0, vcc, s33, v0
	v_addc_co_u32_e32 v1, vcc, 0, v1, vcc
	v_add_co_u32_e32 v6, vcc, 0x800, v6
	v_addc_co_u32_e32 v7, vcc, 0, v7, vcc
	v_add_co_u32_e32 v8, vcc, 0x400, v8
	v_cmp_le_i64_e64 s[10:11], s[38:39], v[0:1]
	s_waitcnt vmcnt(1)
	v_cvt_f64_f32_e32 v[18:19], v18
	v_addc_co_u32_e32 v9, vcc, 0, v9, vcc
	s_or_b64 s[42:43], s[10:11], s[42:43]
	s_waitcnt vmcnt(0)
	v_fmac_f64_e32 v[2:3], v[18:19], v[16:17]
	s_andn2_b64 exec, exec, s[42:43]
	s_cbranch_execnz .LBB99_12
; %bb.13:                               ;   in Loop: Header=BB99_10 Depth=1
	s_or_b64 exec, exec, s[42:43]
.LBB99_14:                              ;   in Loop: Header=BB99_10 Depth=1
	s_or_b64 exec, exec, s[40:41]
	ds_write_b64 v10, v[2:3]
	s_waitcnt lgkmcnt(0)
	s_barrier
	s_and_saveexec_b64 s[10:11], s[0:1]
	s_cbranch_execz .LBB99_16
; %bb.15:                               ;   in Loop: Header=BB99_10 Depth=1
	ds_read2st64_b64 v[0:3], v10 offset1:4
	ds_read2st64_b64 v[6:9], v10 offset0:8 offset1:12
	s_waitcnt lgkmcnt(0)
	v_add_f64 v[2:3], v[2:3], v[6:7]
	v_add_f64 v[2:3], v[2:3], v[8:9]
	;; [unrolled: 1-line block ×3, first 2 shown]
	ds_write_b64 v10, v[0:1]
.LBB99_16:                              ;   in Loop: Header=BB99_10 Depth=1
	s_or_b64 exec, exec, s[10:11]
	s_waitcnt lgkmcnt(0)
	s_barrier
	s_and_saveexec_b64 s[10:11], s[2:3]
	s_cbranch_execz .LBB99_18
; %bb.17:                               ;   in Loop: Header=BB99_10 Depth=1
	ds_read2st64_b64 v[0:3], v10 offset1:1
	ds_read2st64_b64 v[6:9], v10 offset0:2 offset1:3
	s_waitcnt lgkmcnt(0)
	v_add_f64 v[2:3], v[2:3], v[6:7]
	v_add_f64 v[2:3], v[2:3], v[8:9]
	;; [unrolled: 1-line block ×3, first 2 shown]
	ds_write_b64 v10, v[0:1]
.LBB99_18:                              ;   in Loop: Header=BB99_10 Depth=1
	s_or_b64 exec, exec, s[10:11]
	s_waitcnt lgkmcnt(0)
	s_barrier
	s_and_saveexec_b64 s[10:11], s[4:5]
	s_cbranch_execz .LBB99_20
; %bb.19:                               ;   in Loop: Header=BB99_10 Depth=1
	ds_read2_b64 v[0:3], v10 offset1:16
	ds_read2_b64 v[6:9], v10 offset0:32 offset1:48
	s_waitcnt lgkmcnt(0)
	v_add_f64 v[2:3], v[2:3], v[6:7]
	v_add_f64 v[2:3], v[2:3], v[8:9]
	;; [unrolled: 1-line block ×3, first 2 shown]
	ds_write_b64 v10, v[0:1]
.LBB99_20:                              ;   in Loop: Header=BB99_10 Depth=1
	s_or_b64 exec, exec, s[10:11]
	s_waitcnt lgkmcnt(0)
	s_barrier
	s_and_saveexec_b64 s[10:11], s[6:7]
	s_cbranch_execz .LBB99_22
; %bb.21:                               ;   in Loop: Header=BB99_10 Depth=1
	ds_read2_b64 v[0:3], v10 offset1:4
	ds_read2_b64 v[6:9], v10 offset0:8 offset1:12
	s_waitcnt lgkmcnt(0)
	v_add_f64 v[2:3], v[2:3], v[6:7]
	v_add_f64 v[2:3], v[2:3], v[8:9]
	;; [unrolled: 1-line block ×3, first 2 shown]
	ds_write_b64 v10, v[0:1]
.LBB99_22:                              ;   in Loop: Header=BB99_10 Depth=1
	s_or_b64 exec, exec, s[10:11]
	s_waitcnt lgkmcnt(0)
	s_barrier
	s_and_saveexec_b64 s[10:11], s[8:9]
	s_cbranch_execz .LBB99_24
; %bb.23:                               ;   in Loop: Header=BB99_10 Depth=1
	ds_read2_b64 v[0:3], v15 offset0:1 offset1:2
	ds_read_b64 v[6:7], v15 offset:24
	ds_read_b64 v[8:9], v10
	s_waitcnt lgkmcnt(2)
	v_add_f64 v[0:1], v[0:1], v[2:3]
	s_waitcnt lgkmcnt(1)
	v_add_f64 v[0:1], v[0:1], v[6:7]
	;; [unrolled: 2-line block ×3, first 2 shown]
	ds_write_b64 v10, v[0:1]
.LBB99_24:                              ;   in Loop: Header=BB99_10 Depth=1
	s_or_b64 exec, exec, s[10:11]
	s_waitcnt lgkmcnt(0)
	s_barrier
	s_and_saveexec_b64 s[10:11], s[8:9]
	s_cbranch_execz .LBB99_9
; %bb.25:                               ;   in Loop: Header=BB99_10 Depth=1
	ds_read_b64 v[0:1], v15
	v_mov_b32_e32 v6, 0
	s_mov_b64 s[38:39], exec
	v_bfrev_b32_e32 v7, 1
	s_waitcnt lgkmcnt(0)
	v_mul_f64 v[0:1], v[4:5], v[0:1]
.LBB99_26:                              ;   Parent Loop BB99_10 Depth=1
                                        ; =>  This Inner Loop Header: Depth=2
	s_ff1_i32_b64 s42, s[38:39]
	v_readlane_b32 s41, v1, s42
	v_readlane_b32 s40, v0, s42
	s_lshl_b64 s[42:43], 1, s42
	s_andn2_b64 s[38:39], s[38:39], s[42:43]
	s_cmp_lg_u64 s[38:39], 0
	v_add_f64 v[6:7], v[6:7], s[40:41]
	s_cbranch_scc1 .LBB99_26
; %bb.27:                               ;   in Loop: Header=BB99_10 Depth=1
	v_mbcnt_lo_u32_b32 v0, exec_lo, 0
	v_mbcnt_hi_u32_b32 v0, exec_hi, v0
	v_cmp_eq_u32_e32 vcc, 0, v0
	s_and_saveexec_b64 s[38:39], vcc
	s_xor_b64 s[38:39], exec, s[38:39]
	s_cbranch_execz .LBB99_9
; %bb.28:                               ;   in Loop: Header=BB99_10 Depth=1
	s_add_u32 s36, s26, s36
	s_addc_u32 s37, s27, s37
	global_load_dwordx2 v[2:3], v15, s[36:37]
	s_mov_b64 s[38:39], 0
.LBB99_29:                              ;   Parent Loop BB99_10 Depth=1
                                        ; =>  This Inner Loop Header: Depth=2
	s_waitcnt vmcnt(0)
	v_add_f64 v[0:1], v[2:3], v[6:7]
	global_atomic_cmpswap_x2 v[0:1], v15, v[0:3], s[36:37] glc
	s_waitcnt vmcnt(0)
	v_cmp_eq_u64_e32 vcc, v[0:1], v[2:3]
	s_or_b64 s[38:39], vcc, s[38:39]
	v_pk_mov_b32 v[2:3], v[0:1], v[0:1] op_sel:[0,1]
	s_andn2_b64 exec, exec, s[38:39]
	s_cbranch_execnz .LBB99_29
; %bb.30:                               ;   in Loop: Header=BB99_10 Depth=1
	s_or_b64 exec, exec, s[38:39]
	s_branch .LBB99_9
.LBB99_31:
	s_lshl_b64 s[0:1], s[22:23], 3
	s_add_u32 s0, s12, s0
	s_addc_u32 s1, s13, s1
	s_load_dwordx2 s[0:1], s[0:1], 0x0
	s_waitcnt lgkmcnt(0)
	v_mov_b32_e32 v0, s29
	v_add_co_u32_e32 v6, vcc, s28, v11
	v_addc_co_u32_e32 v7, vcc, v0, v12, vcc
	s_sub_u32 s4, s0, s24
	s_subb_u32 s5, s1, 0
	v_cmp_gt_i64_e32 vcc, s[4:5], v[6:7]
	s_and_b64 exec, exec, vcc
	s_cbranch_execz .LBB99_41
; %bb.32:
	s_add_u32 s6, s22, -1
	s_addc_u32 s7, s23, -1
	s_add_u32 s0, s22, -2
	s_addc_u32 s1, s23, -1
	v_pk_mov_b32 v[0:1], s[20:21], s[20:21] op_sel:[0,1]
	s_cmp_lg_u64 s[0:1], s[20:21]
	v_cmp_gt_i64_e32 vcc, s[6:7], v[0:1]
	s_cselect_b64 s[0:1], -1, 0
	s_and_b64 s[0:1], vcc, s[0:1]
	v_cndmask_b32_e64 v0, 0, 1, s[0:1]
	s_mov_b64 s[8:9], 0
	v_cmp_ne_u32_e64 s[0:1], 1, v0
	v_mov_b32_e32 v12, s13
	v_mov_b32_e32 v13, s25
	;; [unrolled: 1-line block ×3, first 2 shown]
	s_branch .LBB99_34
.LBB99_33:                              ;   in Loop: Header=BB99_34 Depth=1
	s_or_b64 exec, exec, s[2:3]
	v_add_co_u32_e32 v6, vcc, 0x100, v6
	v_addc_co_u32_e32 v7, vcc, 0, v7, vcc
	v_cmp_le_i64_e32 vcc, s[4:5], v[6:7]
	s_or_b64 s[8:9], vcc, s[8:9]
	s_andn2_b64 exec, exec, s[8:9]
	s_cbranch_execz .LBB99_41
.LBB99_34:                              ; =>This Loop Header: Depth=1
                                        ;     Child Loop BB99_36 Depth 2
                                        ;     Child Loop BB99_40 Depth 2
	s_and_b64 vcc, exec, s[0:1]
	v_pk_mov_b32 v[0:1], s[20:21], s[20:21] op_sel:[0,1]
	v_pk_mov_b32 v[2:3], s[6:7], s[6:7] op_sel:[0,1]
	s_cbranch_vccnz .LBB99_38
; %bb.35:                               ;   in Loop: Header=BB99_34 Depth=1
	s_mov_b64 s[10:11], 0
	v_pk_mov_b32 v[0:1], s[20:21], s[20:21] op_sel:[0,1]
	v_pk_mov_b32 v[2:3], s[6:7], s[6:7] op_sel:[0,1]
.LBB99_36:                              ;   Parent Loop BB99_34 Depth=1
                                        ; =>  This Inner Loop Header: Depth=2
	v_add_co_u32_e32 v8, vcc, v2, v0
	v_addc_co_u32_e32 v9, vcc, v3, v1, vcc
	v_lshrrev_b32_e32 v10, 31, v9
	v_add_co_u32_e32 v8, vcc, v8, v10
	v_addc_co_u32_e32 v9, vcc, 0, v9, vcc
	v_ashrrev_i64 v[8:9], 1, v[8:9]
	v_lshlrev_b64 v[10:11], 3, v[8:9]
	v_mov_b32_e32 v15, s13
	v_add_co_u32_e32 v10, vcc, s12, v10
	v_addc_co_u32_e32 v11, vcc, v15, v11, vcc
	global_load_dwordx2 v[10:11], v[10:11], off
	v_mov_b32_e32 v15, s25
	s_waitcnt vmcnt(0)
	v_subrev_co_u32_e32 v10, vcc, s24, v10
	v_subb_co_u32_e32 v11, vcc, v11, v15, vcc
	v_cmp_gt_i64_e32 vcc, v[10:11], v[6:7]
	v_cndmask_b32_e32 v2, v2, v8, vcc
	v_cndmask_b32_e32 v3, v3, v9, vcc
	;; [unrolled: 1-line block ×3, first 2 shown]
	v_add_co_u32_e64 v8, s[2:3], -1, v2
	v_cndmask_b32_e32 v1, v9, v1, vcc
	v_addc_co_u32_e64 v9, s[2:3], -1, v3, s[2:3]
	v_cmp_ge_i64_e32 vcc, v[0:1], v[2:3]
	v_cmp_eq_u64_e64 s[2:3], v[0:1], v[8:9]
	s_or_b64 s[2:3], vcc, s[2:3]
	s_and_b64 s[2:3], exec, s[2:3]
	s_or_b64 s[10:11], s[2:3], s[10:11]
	s_andn2_b64 exec, exec, s[10:11]
	s_cbranch_execnz .LBB99_36
; %bb.37:                               ;   in Loop: Header=BB99_34 Depth=1
	s_or_b64 exec, exec, s[10:11]
.LBB99_38:                              ;   in Loop: Header=BB99_34 Depth=1
	v_lshlrev_b64 v[8:9], 3, v[2:3]
	v_add_co_u32_e32 v8, vcc, s12, v8
	v_addc_co_u32_e32 v9, vcc, v12, v9, vcc
	global_load_dwordx2 v[8:9], v[8:9], off
	v_lshlrev_b64 v[10:11], 3, v[6:7]
	v_add_co_u32_e32 v10, vcc, s14, v10
	v_addc_co_u32_e32 v11, vcc, v14, v11, vcc
	global_load_dwordx2 v[10:11], v[10:11], off
	s_waitcnt vmcnt(1)
	v_subrev_co_u32_e32 v8, vcc, s24, v8
	v_subb_co_u32_e32 v9, vcc, v9, v13, vcc
	v_cmp_gt_i64_e32 vcc, v[8:9], v[6:7]
	v_cndmask_b32_e32 v1, v3, v1, vcc
	v_cndmask_b32_e32 v0, v2, v0, vcc
	s_waitcnt vmcnt(0)
	v_subrev_co_u32_e32 v2, vcc, s24, v10
	v_subb_co_u32_e32 v3, vcc, v11, v13, vcc
	v_cmp_ne_u64_e32 vcc, v[2:3], v[0:1]
	s_and_saveexec_b64 s[2:3], vcc
	s_cbranch_execz .LBB99_33
; %bb.39:                               ;   in Loop: Header=BB99_34 Depth=1
	v_lshlrev_b64 v[8:9], 2, v[6:7]
	v_mov_b32_e32 v11, s17
	v_add_co_u32_e32 v8, vcc, s16, v8
	v_addc_co_u32_e32 v9, vcc, v11, v9, vcc
	v_lshlrev_b64 v[0:1], 3, v[0:1]
	global_load_dword v11, v[8:9], off
	v_mov_b32_e32 v8, s19
	v_add_co_u32_e32 v0, vcc, s18, v0
	v_lshlrev_b64 v[2:3], 3, v[2:3]
	v_addc_co_u32_e32 v1, vcc, v8, v1, vcc
	v_mov_b32_e32 v10, s27
	v_add_co_u32_e32 v8, vcc, s26, v2
	global_load_dwordx2 v[0:1], v[0:1], off
	v_addc_co_u32_e32 v9, vcc, v10, v3, vcc
	global_load_dwordx2 v[2:3], v[8:9], off
	s_mov_b64 s[10:11], 0
	s_waitcnt vmcnt(2)
	v_cvt_f64_f32_e32 v[10:11], v11
	v_mul_f64 v[10:11], v[4:5], v[10:11]
	s_waitcnt vmcnt(1)
	v_mul_f64 v[10:11], v[0:1], v[10:11]
.LBB99_40:                              ;   Parent Loop BB99_34 Depth=1
                                        ; =>  This Inner Loop Header: Depth=2
	s_waitcnt vmcnt(0)
	v_add_f64 v[0:1], v[2:3], v[10:11]
	global_atomic_cmpswap_x2 v[0:1], v[8:9], v[0:3], off glc
	s_waitcnt vmcnt(0)
	v_cmp_eq_u64_e32 vcc, v[0:1], v[2:3]
	s_or_b64 s[10:11], vcc, s[10:11]
	v_pk_mov_b32 v[2:3], v[0:1], v[0:1] op_sel:[0,1]
	s_andn2_b64 exec, exec, s[10:11]
	s_cbranch_execnz .LBB99_40
	s_branch .LBB99_33
.LBB99_41:
	s_endpgm
	.section	.rodata,"a",@progbits
	.p2align	6, 0x0
	.amdhsa_kernel _ZL33csrmvn_symm_large_adaptive_kernelIllfdddEvbT_PKS0_N9rocsparse24const_host_device_scalarIT4_EES2_PKT0_PKT1_PKT2_S6_PT3_21rocsparse_index_base_b
		.amdhsa_group_segment_fixed_size 8192
		.amdhsa_private_segment_fixed_size 0
		.amdhsa_kernarg_size 88
		.amdhsa_user_sgpr_count 6
		.amdhsa_user_sgpr_private_segment_buffer 1
		.amdhsa_user_sgpr_dispatch_ptr 0
		.amdhsa_user_sgpr_queue_ptr 0
		.amdhsa_user_sgpr_kernarg_segment_ptr 1
		.amdhsa_user_sgpr_dispatch_id 0
		.amdhsa_user_sgpr_flat_scratch_init 0
		.amdhsa_user_sgpr_kernarg_preload_length 0
		.amdhsa_user_sgpr_kernarg_preload_offset 0
		.amdhsa_user_sgpr_private_segment_size 0
		.amdhsa_uses_dynamic_stack 0
		.amdhsa_system_sgpr_private_segment_wavefront_offset 0
		.amdhsa_system_sgpr_workgroup_id_x 1
		.amdhsa_system_sgpr_workgroup_id_y 0
		.amdhsa_system_sgpr_workgroup_id_z 0
		.amdhsa_system_sgpr_workgroup_info 0
		.amdhsa_system_vgpr_workitem_id 0
		.amdhsa_next_free_vgpr 20
		.amdhsa_next_free_sgpr 46
		.amdhsa_accum_offset 20
		.amdhsa_reserve_vcc 1
		.amdhsa_reserve_flat_scratch 0
		.amdhsa_float_round_mode_32 0
		.amdhsa_float_round_mode_16_64 0
		.amdhsa_float_denorm_mode_32 3
		.amdhsa_float_denorm_mode_16_64 3
		.amdhsa_dx10_clamp 1
		.amdhsa_ieee_mode 1
		.amdhsa_fp16_overflow 0
		.amdhsa_tg_split 0
		.amdhsa_exception_fp_ieee_invalid_op 0
		.amdhsa_exception_fp_denorm_src 0
		.amdhsa_exception_fp_ieee_div_zero 0
		.amdhsa_exception_fp_ieee_overflow 0
		.amdhsa_exception_fp_ieee_underflow 0
		.amdhsa_exception_fp_ieee_inexact 0
		.amdhsa_exception_int_div_zero 0
	.end_amdhsa_kernel
	.section	.text._ZL33csrmvn_symm_large_adaptive_kernelIllfdddEvbT_PKS0_N9rocsparse24const_host_device_scalarIT4_EES2_PKT0_PKT1_PKT2_S6_PT3_21rocsparse_index_base_b,"axG",@progbits,_ZL33csrmvn_symm_large_adaptive_kernelIllfdddEvbT_PKS0_N9rocsparse24const_host_device_scalarIT4_EES2_PKT0_PKT1_PKT2_S6_PT3_21rocsparse_index_base_b,comdat
.Lfunc_end99:
	.size	_ZL33csrmvn_symm_large_adaptive_kernelIllfdddEvbT_PKS0_N9rocsparse24const_host_device_scalarIT4_EES2_PKT0_PKT1_PKT2_S6_PT3_21rocsparse_index_base_b, .Lfunc_end99-_ZL33csrmvn_symm_large_adaptive_kernelIllfdddEvbT_PKS0_N9rocsparse24const_host_device_scalarIT4_EES2_PKT0_PKT1_PKT2_S6_PT3_21rocsparse_index_base_b
                                        ; -- End function
	.section	.AMDGPU.csdata,"",@progbits
; Kernel info:
; codeLenInByte = 1880
; NumSgprs: 50
; NumVgprs: 20
; NumAgprs: 0
; TotalNumVgprs: 20
; ScratchSize: 0
; MemoryBound: 0
; FloatMode: 240
; IeeeMode: 1
; LDSByteSize: 8192 bytes/workgroup (compile time only)
; SGPRBlocks: 6
; VGPRBlocks: 2
; NumSGPRsForWavesPerEU: 50
; NumVGPRsForWavesPerEU: 20
; AccumOffset: 20
; Occupancy: 8
; WaveLimiterHint : 1
; COMPUTE_PGM_RSRC2:SCRATCH_EN: 0
; COMPUTE_PGM_RSRC2:USER_SGPR: 6
; COMPUTE_PGM_RSRC2:TRAP_HANDLER: 0
; COMPUTE_PGM_RSRC2:TGID_X_EN: 1
; COMPUTE_PGM_RSRC2:TGID_Y_EN: 0
; COMPUTE_PGM_RSRC2:TGID_Z_EN: 0
; COMPUTE_PGM_RSRC2:TIDIG_COMP_CNT: 0
; COMPUTE_PGM_RSRC3_GFX90A:ACCUM_OFFSET: 4
; COMPUTE_PGM_RSRC3_GFX90A:TG_SPLIT: 0
	.section	.text._ZN9rocsparseL22csrmvn_adaptive_kernelIiid21rocsparse_complex_numIdES2_S2_EEvbT_PKS3_PjPKT0_NS_24const_host_device_scalarIT4_EES5_S9_PKT1_PKT2_SC_PT3_21rocsparse_index_base_b,"axG",@progbits,_ZN9rocsparseL22csrmvn_adaptive_kernelIiid21rocsparse_complex_numIdES2_S2_EEvbT_PKS3_PjPKT0_NS_24const_host_device_scalarIT4_EES5_S9_PKT1_PKT2_SC_PT3_21rocsparse_index_base_b,comdat
	.globl	_ZN9rocsparseL22csrmvn_adaptive_kernelIiid21rocsparse_complex_numIdES2_S2_EEvbT_PKS3_PjPKT0_NS_24const_host_device_scalarIT4_EES5_S9_PKT1_PKT2_SC_PT3_21rocsparse_index_base_b ; -- Begin function _ZN9rocsparseL22csrmvn_adaptive_kernelIiid21rocsparse_complex_numIdES2_S2_EEvbT_PKS3_PjPKT0_NS_24const_host_device_scalarIT4_EES5_S9_PKT1_PKT2_SC_PT3_21rocsparse_index_base_b
	.p2align	8
	.type	_ZN9rocsparseL22csrmvn_adaptive_kernelIiid21rocsparse_complex_numIdES2_S2_EEvbT_PKS3_PjPKT0_NS_24const_host_device_scalarIT4_EES5_S9_PKT1_PKT2_SC_PT3_21rocsparse_index_base_b,@function
_ZN9rocsparseL22csrmvn_adaptive_kernelIiid21rocsparse_complex_numIdES2_S2_EEvbT_PKS3_PjPKT0_NS_24const_host_device_scalarIT4_EES5_S9_PKT1_PKT2_SC_PT3_21rocsparse_index_base_b: ; @_ZN9rocsparseL22csrmvn_adaptive_kernelIiid21rocsparse_complex_numIdES2_S2_EEvbT_PKS3_PjPKT0_NS_24const_host_device_scalarIT4_EES5_S9_PKT1_PKT2_SC_PT3_21rocsparse_index_base_b
; %bb.0:
	s_add_u32 flat_scratch_lo, s6, s9
	s_load_dwordx2 s[34:35], s[4:5], 0x68
	s_load_dwordx4 s[16:19], s[4:5], 0x20
	s_addc_u32 flat_scratch_hi, s7, 0
	s_add_u32 s0, s0, s9
	s_load_dwordx4 s[12:15], s[4:5], 0x50
	s_addc_u32 s1, s1, 0
	s_waitcnt lgkmcnt(0)
	s_bitcmp1_b32 s35, 0
	v_mov_b32_e32 v1, 0
	v_mov_b32_e32 v3, s16
	s_cselect_b64 s[6:7], -1, 0
	v_cndmask_b32_e64 v2, v3, v1, s[6:7]
	v_mov_b32_e32 v1, s17
	s_mov_b64 s[10:11], src_private_base
	s_and_b64 vcc, s[6:7], exec
	buffer_store_dword v1, off, s[0:3], 0 offset:4
	buffer_store_dword v3, off, s[0:3], 0
	v_mov_b32_e32 v1, s13
	s_cselect_b32 s9, s11, s17
	buffer_store_dword v1, off, s[0:3], 0 offset:12
	v_mov_b32_e32 v1, s12
	buffer_store_dword v1, off, s[0:3], 0 offset:8
	v_mov_b32_e32 v3, s9
	flat_load_dwordx2 v[14:15], v[2:3]
	s_xor_b64 s[20:21], s[6:7], -1
	v_pk_mov_b32 v[16:17], s[18:19], s[18:19] op_sel:[0,1]
	s_cbranch_vccnz .LBB100_2
; %bb.1:
	v_pk_mov_b32 v[2:3], s[16:17], s[16:17] op_sel:[0,1]
	flat_load_dwordx2 v[16:17], v[2:3] offset:8
.LBB100_2:
	s_and_b64 s[16:17], s[6:7], exec
	s_cselect_b32 s9, s11, s13
	v_mov_b32_e32 v1, 8
	v_mov_b32_e32 v2, s12
	v_cndmask_b32_e64 v2, v2, v1, s[6:7]
	v_mov_b32_e32 v3, s9
	flat_load_dwordx2 v[10:11], v[2:3]
	s_andn2_b64 vcc, exec, s[20:21]
	v_pk_mov_b32 v[12:13], s[14:15], s[14:15] op_sel:[0,1]
	s_cbranch_vccnz .LBB100_4
; %bb.3:
	v_pk_mov_b32 v[2:3], s[12:13], s[12:13] op_sel:[0,1]
	flat_load_dwordx2 v[12:13], v[2:3] offset:8
.LBB100_4:
	s_waitcnt vmcnt(0) lgkmcnt(0)
	v_cmp_eq_f64_e32 vcc, 0, v[14:15]
	v_cmp_eq_f64_e64 s[6:7], 0, v[16:17]
	s_and_b64 s[12:13], vcc, s[6:7]
	s_mov_b64 s[6:7], -1
	s_and_saveexec_b64 s[10:11], s[12:13]
; %bb.5:
	v_cmp_neq_f64_e32 vcc, 1.0, v[10:11]
	v_cmp_neq_f64_e64 s[6:7], 0, v[12:13]
	s_or_b64 s[6:7], vcc, s[6:7]
	s_orn2_b64 s[6:7], s[6:7], exec
; %bb.6:
	s_or_b64 exec, exec, s[10:11]
	s_and_saveexec_b64 s[10:11], s[6:7]
	s_cbranch_execz .LBB100_121
; %bb.7:
	s_load_dwordx2 s[6:7], s[4:5], 0x8
	s_load_dwordx2 s[10:11], s[4:5], 0x18
	s_ashr_i32 s9, s8, 31
	s_lshl_b64 s[46:47], s[8:9], 2
	s_waitcnt lgkmcnt(0)
	s_add_u32 s6, s6, s46
	s_addc_u32 s7, s7, s47
	s_load_dwordx2 s[28:29], s[6:7], 0x0
	s_load_dwordx2 s[26:27], s[4:5], 0x60
	s_load_dwordx8 s[36:43], s[4:5], 0x30
	s_waitcnt lgkmcnt(0)
	s_sub_i32 s9, s29, s28
	s_add_u32 s6, s10, s46
	s_mov_b32 s44, s28
	s_addc_u32 s7, s11, s47
	s_ashr_i32 s45, s28, 31
	s_load_dword s33, s[6:7], 0x0
	s_lshl_b64 s[6:7], s[44:45], 2
	s_add_u32 s30, s36, s6
	s_addc_u32 s31, s37, s7
	s_load_dword s35, s[30:31], 0x0
	s_cmp_lt_i32 s9, 2
	s_mov_b64 s[6:7], -1
	s_cbranch_scc0 .LBB100_77
; %bb.8:
	s_cmp_lg_u32 s9, 1
	s_cselect_b64 s[6:7], -1, 0
	s_waitcnt lgkmcnt(0)
	s_cmp_lg_u32 s33, 0
	s_cselect_b64 s[10:11], -1, 0
	s_or_b64 s[10:11], s[6:7], s[10:11]
	s_mov_b64 s[6:7], -1
	s_and_b64 vcc, exec, s[10:11]
	s_cbranch_vccnz .LBB100_37
; %bb.9:
	s_cmp_le_i32 s29, s28
	s_cbranch_scc1 .LBB100_36
; %bb.10:
	s_mov_b32 s6, 0
	v_cmp_neq_f64_e32 vcc, 0, v[10:11]
	v_cmp_neq_f64_e64 s[24:25], 0, v[12:13]
	s_brev_b32 s7, 1
	s_or_b64 s[48:49], vcc, s[24:25]
	v_mul_f64 v[6:7], v[16:17], s[6:7]
	s_movk_i32 s6, 0x80
	s_add_u32 s9, s36, 4
	v_subrev_u32_e32 v1, s34, v0
	v_mul_f64 v[8:9], v[14:15], 0
	v_lshlrev_b32_e32 v24, 4, v0
	v_cmp_gt_u32_e64 s[6:7], s6, v0
	v_cmp_gt_u32_e64 s[10:11], 64, v0
	;; [unrolled: 1-line block ×7, first 2 shown]
	v_cmp_eq_u32_e64 s[22:23], 0, v0
	s_addc_u32 s56, s37, 0
	v_mov_b32_e32 v25, s43
	v_mov_b32_e32 v26, 0
	s_mov_b32 s57, s35
	s_mov_b32 s50, s28
	s_branch .LBB100_13
.LBB100_11:                             ;   in Loop: Header=BB100_13 Depth=1
	s_or_b64 exec, exec, s[52:53]
	s_lshl_b64 s[52:53], s[50:51], 4
	s_add_u32 s52, s26, s52
	s_addc_u32 s53, s27, s53
	s_waitcnt lgkmcnt(0)
	global_store_dwordx4 v26, v[2:5], s[52:53]
.LBB100_12:                             ;   in Loop: Header=BB100_13 Depth=1
	s_or_b64 exec, exec, s[24:25]
	s_add_i32 s50, s50, 1
	s_cmp_ge_i32 s50, s29
	s_cbranch_scc1 .LBB100_36
.LBB100_13:                             ; =>This Loop Header: Depth=1
                                        ;     Child Loop BB100_15 Depth 2
	s_ashr_i32 s51, s50, 31
	s_lshl_b64 s[24:25], s[50:51], 2
	s_add_u32 s24, s9, s24
	s_addc_u32 s25, s56, s25
	s_mov_b32 s52, s57
	s_load_dword s57, s[24:25], 0x0
	v_pk_mov_b32 v[4:5], 0, 0
	v_add_u32_e32 v18, s52, v1
	v_pk_mov_b32 v[2:3], v[4:5], v[4:5] op_sel:[0,1]
	s_waitcnt lgkmcnt(0)
	s_sub_i32 s58, s57, s34
	v_cmp_gt_i32_e32 vcc, s58, v18
	s_and_saveexec_b64 s[52:53], vcc
	s_cbranch_execz .LBB100_17
; %bb.14:                               ;   in Loop: Header=BB100_13 Depth=1
	v_ashrrev_i32_e32 v19, 31, v18
	v_lshlrev_b64 v[2:3], 3, v[18:19]
	v_mov_b32_e32 v4, s41
	v_add_co_u32_e32 v20, vcc, s40, v2
	v_addc_co_u32_e32 v21, vcc, v4, v3, vcc
	v_lshlrev_b64 v[2:3], 2, v[18:19]
	v_mov_b32_e32 v4, s39
	v_add_co_u32_e32 v22, vcc, s38, v2
	v_addc_co_u32_e32 v23, vcc, v4, v3, vcc
	v_pk_mov_b32 v[4:5], 0, 0
	s_mov_b64 s[54:55], 0
	v_pk_mov_b32 v[2:3], v[4:5], v[4:5] op_sel:[0,1]
.LBB100_15:                             ;   Parent Loop BB100_13 Depth=1
                                        ; =>  This Inner Loop Header: Depth=2
	global_load_dword v19, v[22:23], off
	global_load_dwordx2 v[32:33], v[20:21], off
	v_add_u32_e32 v18, 0x100, v18
	v_cmp_le_i32_e64 s[24:25], s58, v18
	s_or_b64 s[54:55], s[24:25], s[54:55]
	s_waitcnt vmcnt(1)
	v_subrev_u32_e32 v28, s34, v19
	v_ashrrev_i32_e32 v29, 31, v28
	v_lshlrev_b64 v[28:29], 4, v[28:29]
	v_add_co_u32_e32 v28, vcc, s42, v28
	v_addc_co_u32_e32 v29, vcc, v25, v29, vcc
	global_load_dwordx4 v[28:31], v[28:29], off
	v_add_co_u32_e32 v20, vcc, 0x800, v20
	v_addc_co_u32_e32 v21, vcc, 0, v21, vcc
	s_waitcnt vmcnt(1)
	v_fma_f64 v[34:35], v[14:15], v[32:33], v[6:7]
	v_fma_f64 v[32:33], v[16:17], v[32:33], v[8:9]
	v_add_co_u32_e32 v22, vcc, 0x400, v22
	v_addc_co_u32_e32 v23, vcc, 0, v23, vcc
	s_waitcnt vmcnt(0)
	v_fmac_f64_e32 v[2:3], v[34:35], v[28:29]
	v_fmac_f64_e32 v[4:5], v[32:33], v[28:29]
	v_fma_f64 v[2:3], -v[32:33], v[30:31], v[2:3]
	v_fmac_f64_e32 v[4:5], v[34:35], v[30:31]
	s_andn2_b64 exec, exec, s[54:55]
	s_cbranch_execnz .LBB100_15
; %bb.16:                               ;   in Loop: Header=BB100_13 Depth=1
	s_or_b64 exec, exec, s[54:55]
.LBB100_17:                             ;   in Loop: Header=BB100_13 Depth=1
	s_or_b64 exec, exec, s[52:53]
	ds_write_b128 v24, v[2:5]
	s_waitcnt lgkmcnt(0)
	s_barrier
	s_and_saveexec_b64 s[24:25], s[6:7]
	s_cbranch_execz .LBB100_19
; %bb.18:                               ;   in Loop: Header=BB100_13 Depth=1
	ds_read_b128 v[2:5], v24 offset:2048
	ds_read_b128 v[18:21], v24
	s_waitcnt lgkmcnt(0)
	v_add_f64 v[2:3], v[2:3], v[18:19]
	v_add_f64 v[4:5], v[4:5], v[20:21]
	ds_write_b128 v24, v[2:5]
.LBB100_19:                             ;   in Loop: Header=BB100_13 Depth=1
	s_or_b64 exec, exec, s[24:25]
	s_waitcnt lgkmcnt(0)
	s_barrier
	s_and_saveexec_b64 s[24:25], s[10:11]
	s_cbranch_execz .LBB100_21
; %bb.20:                               ;   in Loop: Header=BB100_13 Depth=1
	ds_read_b128 v[2:5], v24 offset:1024
	ds_read_b128 v[18:21], v24
	s_waitcnt lgkmcnt(0)
	v_add_f64 v[2:3], v[2:3], v[18:19]
	v_add_f64 v[4:5], v[4:5], v[20:21]
	ds_write_b128 v24, v[2:5]
.LBB100_21:                             ;   in Loop: Header=BB100_13 Depth=1
	s_or_b64 exec, exec, s[24:25]
	;; [unrolled: 13-line block ×6, first 2 shown]
	s_waitcnt lgkmcnt(0)
	s_barrier
	s_and_saveexec_b64 s[24:25], s[20:21]
	s_cbranch_execz .LBB100_31
; %bb.30:                               ;   in Loop: Header=BB100_13 Depth=1
	ds_read_b128 v[2:5], v24
	ds_read_b128 v[18:21], v24 offset:32
	s_waitcnt lgkmcnt(0)
	v_add_f64 v[2:3], v[18:19], v[2:3]
	v_add_f64 v[4:5], v[20:21], v[4:5]
	ds_write_b128 v24, v[2:5]
.LBB100_31:                             ;   in Loop: Header=BB100_13 Depth=1
	s_or_b64 exec, exec, s[24:25]
	s_waitcnt lgkmcnt(0)
	s_barrier
	s_and_saveexec_b64 s[24:25], s[22:23]
	s_cbranch_execz .LBB100_33
; %bb.32:                               ;   in Loop: Header=BB100_13 Depth=1
	ds_read_b128 v[2:5], v26
	ds_read_b128 v[18:21], v26 offset:16
	s_waitcnt lgkmcnt(0)
	v_add_f64 v[2:3], v[18:19], v[2:3]
	v_add_f64 v[4:5], v[20:21], v[4:5]
	ds_write_b128 v26, v[2:5]
.LBB100_33:                             ;   in Loop: Header=BB100_13 Depth=1
	s_or_b64 exec, exec, s[24:25]
	s_waitcnt lgkmcnt(0)
	s_barrier
	s_and_saveexec_b64 s[24:25], s[22:23]
	s_cbranch_execz .LBB100_12
; %bb.34:                               ;   in Loop: Header=BB100_13 Depth=1
	ds_read_b128 v[2:5], v26
	s_and_saveexec_b64 s[52:53], s[48:49]
	s_cbranch_execz .LBB100_11
; %bb.35:                               ;   in Loop: Header=BB100_13 Depth=1
	s_lshl_b64 s[54:55], s[50:51], 4
	s_add_u32 s54, s26, s54
	s_addc_u32 s55, s27, s55
	global_load_dwordx4 v[18:21], v26, s[54:55]
	s_waitcnt vmcnt(0) lgkmcnt(0)
	v_fmac_f64_e32 v[2:3], v[10:11], v[18:19]
	v_fmac_f64_e32 v[4:5], v[12:13], v[18:19]
	v_fma_f64 v[2:3], -v[12:13], v[20:21], v[2:3]
	v_fmac_f64_e32 v[4:5], v[10:11], v[20:21]
	s_branch .LBB100_11
.LBB100_36:
	s_mov_b64 s[6:7], 0
.LBB100_37:
	s_andn2_b64 vcc, exec, s[6:7]
	s_cbranch_vccnz .LBB100_76
; %bb.38:
	s_load_dwordx2 s[10:11], s[4:5], 0x10
	s_sub_i32 s12, s8, s33
	v_or_b32_e32 v1, s33, v0
	v_pk_mov_b32 v[2:3], 0, 0
	v_cmp_eq_u32_e32 vcc, 0, v1
	s_waitcnt lgkmcnt(0)
	s_add_u32 s8, s10, s46
	s_addc_u32 s9, s11, s47
	s_load_dword s18, s[8:9], 0x0
	v_pk_mov_b32 v[4:5], v[2:3], v[2:3] op_sel:[0,1]
	s_and_saveexec_b64 s[6:7], vcc
	s_cbranch_execz .LBB100_42
; %bb.39:
	s_lshl_b64 s[16:17], s[44:45], 4
	s_add_u32 s16, s26, s16
	s_addc_u32 s17, s27, s17
	v_mov_b32_e32 v1, 0
	global_load_dwordx4 v[6:9], v1, s[16:17]
	s_mov_b64 s[14:15], exec
	v_mbcnt_lo_u32_b32 v2, s14, 0
	v_add_f64 v[18:19], v[10:11], -1.0
	v_mbcnt_hi_u32_b32 v20, s15, v2
	v_cmp_eq_u32_e32 vcc, 0, v20
	s_waitcnt vmcnt(0) expcnt(0) lgkmcnt(0)
	v_mul_f64 v[2:3], v[8:9], -v[12:13]
	v_mul_f64 v[4:5], v[18:19], v[8:9]
	s_and_saveexec_b64 s[16:17], vcc
	s_cbranch_execz .LBB100_41
; %bb.40:
	s_ashr_i32 s13, s12, 31
	s_lshl_b64 s[20:21], s[12:13], 2
	s_add_u32 s20, s10, s20
	s_addc_u32 s21, s11, s21
	s_bcnt1_i32_b64 s13, s[14:15]
	s_and_b32 s13, s13, 1
	v_mov_b32_e32 v8, s13
	global_atomic_xor v1, v8, s[20:21]
.LBB100_41:
	s_or_b64 exec, exec, s[16:17]
	v_fmac_f64_e32 v[2:3], v[18:19], v[6:7]
	v_fmac_f64_e32 v[4:5], v[12:13], v[6:7]
.LBB100_42:
	s_or_b64 exec, exec, s[6:7]
	s_load_dword s7, s[30:31], 0x4
	s_mul_i32 s6, s33, 0xc00
	s_sub_i32 s13, s35, s34
	s_add_i32 s6, s13, s6
	v_add_u32_e32 v6, s6, v0
	s_waitcnt lgkmcnt(0)
	s_sub_i32 s7, s7, s34
	v_cmp_gt_i32_e32 vcc, s7, v6
	s_and_saveexec_b64 s[14:15], vcc
	s_cbranch_execz .LBB100_46
; %bb.43:
	v_ashrrev_i32_e32 v7, 31, v6
	v_lshlrev_b64 v[20:21], 3, v[6:7]
	s_addk_i32 s6, 0xc00
	v_mov_b32_e32 v1, s41
	v_add_co_u32_e32 v20, vcc, s40, v20
	s_min_i32 s13, s6, s7
	s_mov_b32 s6, 0
	v_addc_co_u32_e32 v21, vcc, v1, v21, vcc
	v_lshlrev_b64 v[22:23], 2, v[6:7]
	s_brev_b32 s7, 1
	v_mov_b32_e32 v1, s39
	v_add_co_u32_e32 v22, vcc, s38, v22
	v_mul_f64 v[8:9], v[16:17], s[6:7]
	s_mov_b64 s[16:17], 0
	v_mul_f64 v[18:19], v[14:15], 0
	v_addc_co_u32_e32 v23, vcc, v1, v23, vcc
	v_mov_b32_e32 v1, s43
.LBB100_44:                             ; =>This Inner Loop Header: Depth=1
	global_load_dword v7, v[22:23], off
	global_load_dwordx2 v[28:29], v[20:21], off
	v_add_u32_e32 v6, 0x100, v6
	v_cmp_le_i32_e64 s[6:7], s13, v6
	s_or_b64 s[16:17], s[6:7], s[16:17]
	s_waitcnt vmcnt(1)
	v_subrev_u32_e32 v24, s34, v7
	v_ashrrev_i32_e32 v25, 31, v24
	v_lshlrev_b64 v[24:25], 4, v[24:25]
	v_add_co_u32_e32 v24, vcc, s42, v24
	v_addc_co_u32_e32 v25, vcc, v1, v25, vcc
	global_load_dwordx4 v[24:27], v[24:25], off
	v_add_co_u32_e32 v20, vcc, 0x800, v20
	v_addc_co_u32_e32 v21, vcc, 0, v21, vcc
	s_waitcnt vmcnt(1)
	v_fma_f64 v[30:31], v[14:15], v[28:29], v[8:9]
	v_fma_f64 v[28:29], v[16:17], v[28:29], v[18:19]
	v_add_co_u32_e32 v22, vcc, 0x400, v22
	v_addc_co_u32_e32 v23, vcc, 0, v23, vcc
	s_waitcnt vmcnt(0)
	v_fmac_f64_e32 v[2:3], v[30:31], v[24:25]
	v_fmac_f64_e32 v[4:5], v[28:29], v[24:25]
	v_fma_f64 v[2:3], -v[28:29], v[26:27], v[2:3]
	v_fmac_f64_e32 v[4:5], v[30:31], v[26:27]
	s_andn2_b64 exec, exec, s[16:17]
	s_cbranch_execnz .LBB100_44
; %bb.45:
	s_or_b64 exec, exec, s[16:17]
.LBB100_46:
	s_or_b64 exec, exec, s[14:15]
	s_movk_i32 s6, 0x80
	v_lshlrev_b32_e32 v1, 4, v0
	v_cmp_gt_u32_e32 vcc, s6, v0
	ds_write_b128 v1, v[2:5]
	s_waitcnt lgkmcnt(0)
	s_barrier
	s_and_saveexec_b64 s[6:7], vcc
	s_cbranch_execz .LBB100_48
; %bb.47:
	ds_read_b128 v[2:5], v1 offset:2048
	ds_read_b128 v[6:9], v1
	s_waitcnt lgkmcnt(0)
	v_add_f64 v[2:3], v[2:3], v[6:7]
	v_add_f64 v[4:5], v[4:5], v[8:9]
	ds_write_b128 v1, v[2:5]
.LBB100_48:
	s_or_b64 exec, exec, s[6:7]
	v_cmp_gt_u32_e32 vcc, 64, v0
	s_waitcnt lgkmcnt(0)
	s_barrier
	s_and_saveexec_b64 s[6:7], vcc
	s_cbranch_execz .LBB100_50
; %bb.49:
	ds_read_b128 v[2:5], v1 offset:1024
	ds_read_b128 v[6:9], v1
	s_waitcnt lgkmcnt(0)
	v_add_f64 v[2:3], v[2:3], v[6:7]
	v_add_f64 v[4:5], v[4:5], v[8:9]
	ds_write_b128 v1, v[2:5]
.LBB100_50:
	s_or_b64 exec, exec, s[6:7]
	v_cmp_gt_u32_e32 vcc, 32, v0
	;; [unrolled: 14-line block ×6, first 2 shown]
	s_waitcnt lgkmcnt(0)
	s_barrier
	s_and_saveexec_b64 s[6:7], vcc
	s_cbranch_execz .LBB100_60
; %bb.59:
	ds_read_b128 v[2:5], v1
	ds_read_b128 v[6:9], v1 offset:32
	s_waitcnt lgkmcnt(0)
	v_add_f64 v[2:3], v[6:7], v[2:3]
	v_add_f64 v[4:5], v[8:9], v[4:5]
	ds_write_b128 v1, v[2:5]
.LBB100_60:
	s_or_b64 exec, exec, s[6:7]
	v_cmp_eq_u32_e32 vcc, 0, v0
	s_waitcnt lgkmcnt(0)
	s_barrier
	s_and_saveexec_b64 s[6:7], vcc
	s_cbranch_execz .LBB100_62
; %bb.61:
	v_mov_b32_e32 v1, 0
	ds_read_b128 v[2:5], v1
	ds_read_b128 v[6:9], v1 offset:16
	s_waitcnt lgkmcnt(0)
	v_add_f64 v[2:3], v[6:7], v[2:3]
	v_add_f64 v[4:5], v[8:9], v[4:5]
	ds_write_b128 v1, v[2:5]
.LBB100_62:
	s_or_b64 exec, exec, s[6:7]
	s_waitcnt lgkmcnt(0)
	s_barrier
	s_and_saveexec_b64 s[6:7], vcc
	s_cbranch_execz .LBB100_75
; %bb.63:
	s_cmp_eq_u32 s33, 0
	s_cbranch_scc1 .LBB100_69
; %bb.64:
	s_ashr_i32 s13, s12, 31
	s_lshl_b64 s[12:13], s[12:13], 2
	s_add_u32 s10, s10, s12
	s_addc_u32 s11, s11, s13
	v_mov_b32_e32 v1, 0
	s_branch .LBB100_66
.LBB100_65:                             ;   in Loop: Header=BB100_66 Depth=1
	s_or_b64 exec, exec, s[12:13]
	s_waitcnt vmcnt(0)
	v_readfirstlane_b32 s12, v2
	s_cmp_eq_u32 s12, s18
	s_cbranch_scc0 .LBB100_68
.LBB100_66:                             ; =>This Inner Loop Header: Depth=1
	v_mbcnt_lo_u32_b32 v2, exec_lo, 0
	v_mbcnt_hi_u32_b32 v2, exec_hi, v2
	v_cmp_eq_u32_e32 vcc, 0, v2
                                        ; implicit-def: $vgpr2
	s_and_saveexec_b64 s[12:13], vcc
	s_cbranch_execz .LBB100_65
; %bb.67:                               ;   in Loop: Header=BB100_66 Depth=1
	global_load_dword v2, v1, s[10:11] glc
	s_branch .LBB100_65
.LBB100_68:
	v_mov_b32_e32 v1, 0
	global_load_dword v2, v1, s[8:9]
	s_waitcnt vmcnt(0)
	v_xor_b32_e32 v2, 1, v2
	global_store_dword v1, v2, s[8:9]
.LBB100_69:
	v_mov_b32_e32 v1, 0
	ds_read_b128 v[2:5], v1
	s_mov_b64 s[12:13], exec
	s_lshl_b64 s[8:9], s[44:45], 4
	v_mbcnt_lo_u32_b32 v6, s12, 0
	s_add_u32 s8, s26, s8
	v_mbcnt_hi_u32_b32 v6, s13, v6
	s_addc_u32 s9, s27, s9
	v_cmp_eq_u32_e32 vcc, 0, v6
	s_and_saveexec_b64 s[10:11], vcc
	s_cbranch_execz .LBB100_72
; %bb.70:
	global_load_dwordx2 v[8:9], v1, s[8:9]
	s_bcnt1_i32_b64 s12, s[12:13]
	v_cvt_f64_u32_e32 v[6:7], s12
	s_waitcnt lgkmcnt(0)
	v_mul_f64 v[2:3], v[2:3], v[6:7]
	s_mov_b64 s[12:13], 0
.LBB100_71:                             ; =>This Inner Loop Header: Depth=1
	s_waitcnt vmcnt(0)
	v_add_f64 v[6:7], v[8:9], v[2:3]
	global_atomic_cmpswap_x2 v[6:7], v1, v[6:9], s[8:9] glc
	s_waitcnt vmcnt(0)
	v_cmp_eq_u64_e32 vcc, v[6:7], v[8:9]
	s_or_b64 s[12:13], vcc, s[12:13]
	v_pk_mov_b32 v[8:9], v[6:7], v[6:7] op_sel:[0,1]
	s_andn2_b64 exec, exec, s[12:13]
	s_cbranch_execnz .LBB100_71
.LBB100_72:
	s_or_b64 exec, exec, s[10:11]
	s_mov_b64 s[10:11], exec
	v_mbcnt_lo_u32_b32 v1, s10, 0
	v_mbcnt_hi_u32_b32 v1, s11, v1
	v_cmp_eq_u32_e32 vcc, 0, v1
	s_and_b64 s[12:13], exec, vcc
	s_mov_b64 exec, s[12:13]
	s_cbranch_execz .LBB100_75
; %bb.73:
	v_mov_b32_e32 v1, 0
	global_load_dwordx2 v[6:7], v1, s[8:9] offset:8
	s_bcnt1_i32_b64 s10, s[10:11]
	s_waitcnt lgkmcnt(0)
	v_cvt_f64_u32_e32 v[2:3], s10
	v_mul_f64 v[2:3], v[4:5], v[2:3]
	s_mov_b64 s[10:11], 0
.LBB100_74:                             ; =>This Inner Loop Header: Depth=1
	s_waitcnt vmcnt(0)
	v_add_f64 v[4:5], v[6:7], v[2:3]
	global_atomic_cmpswap_x2 v[4:5], v1, v[4:7], s[8:9] offset:8 glc
	s_waitcnt vmcnt(0)
	v_cmp_eq_u64_e32 vcc, v[4:5], v[6:7]
	s_or_b64 s[10:11], vcc, s[10:11]
	v_pk_mov_b32 v[6:7], v[4:5], v[4:5] op_sel:[0,1]
	s_andn2_b64 exec, exec, s[10:11]
	s_cbranch_execnz .LBB100_74
.LBB100_75:
	s_or_b64 exec, exec, s[6:7]
.LBB100_76:
	s_mov_b64 s[6:7], 0
.LBB100_77:
	s_andn2_b64 vcc, exec, s[6:7]
	s_cbranch_vccnz .LBB100_121
; %bb.78:
	s_load_dword s4, s[4:5], 0x4
	v_subrev_u32_e32 v1, s34, v0
	s_waitcnt lgkmcnt(0)
	v_add_u32_e32 v2, s35, v1
	v_add_u32_e32 v1, 0x300, v2
	v_cmp_le_i32_e32 vcc, s4, v1
	s_and_saveexec_b64 s[4:5], vcc
	s_xor_b64 s[4:5], exec, s[4:5]
	s_cbranch_execz .LBB100_83
; %bb.79:
	s_ashr_i32 s7, s29, 31
	s_mov_b32 s6, s29
	s_lshl_b64 s[6:7], s[6:7], 2
	s_add_u32 s6, s36, s6
	s_addc_u32 s7, s37, s7
	s_load_dword s6, s[6:7], 0x0
	s_waitcnt lgkmcnt(0)
	s_sub_i32 s10, s6, s34
	v_cmp_gt_i32_e32 vcc, s10, v2
	s_and_saveexec_b64 s[6:7], vcc
	s_cbranch_execz .LBB100_82
; %bb.80:
	s_mov_b32 s8, 0
	s_brev_b32 s9, 1
	v_mul_f64 v[4:5], v[16:17], s[8:9]
	s_mov_b64 s[8:9], 0
	v_mul_f64 v[6:7], v[14:15], 0
	v_lshlrev_b32_e32 v1, 4, v0
	v_mov_b32_e32 v8, s41
	v_mov_b32_e32 v9, s39
	;; [unrolled: 1-line block ×3, first 2 shown]
.LBB100_81:                             ; =>This Inner Loop Header: Depth=1
	v_ashrrev_i32_e32 v3, 31, v2
	v_lshlrev_b64 v[20:21], 2, v[2:3]
	v_add_co_u32_e32 v20, vcc, s38, v20
	v_addc_co_u32_e32 v21, vcc, v9, v21, vcc
	global_load_dword v19, v[20:21], off
	v_lshlrev_b64 v[20:21], 3, v[2:3]
	v_add_co_u32_e32 v20, vcc, s40, v20
	v_addc_co_u32_e32 v21, vcc, v8, v21, vcc
	global_load_dwordx2 v[24:25], v[20:21], off
	v_add_u32_e32 v2, 0x100, v2
	s_waitcnt vmcnt(1)
	v_subrev_u32_e32 v20, s34, v19
	v_ashrrev_i32_e32 v21, 31, v20
	v_lshlrev_b64 v[20:21], 4, v[20:21]
	v_add_co_u32_e32 v20, vcc, s42, v20
	v_addc_co_u32_e32 v21, vcc, v18, v21, vcc
	global_load_dwordx4 v[20:23], v[20:21], off
	s_waitcnt vmcnt(1)
	v_fma_f64 v[28:29], v[14:15], v[24:25], v[4:5]
	v_fma_f64 v[30:31], v[16:17], v[24:25], v[6:7]
	v_cmp_le_i32_e32 vcc, s10, v2
	s_or_b64 s[8:9], vcc, s[8:9]
	s_waitcnt vmcnt(0)
	v_mul_f64 v[24:25], v[22:23], -v[30:31]
	v_mul_f64 v[26:27], v[28:29], v[22:23]
	v_fmac_f64_e32 v[24:25], v[28:29], v[20:21]
	v_fmac_f64_e32 v[26:27], v[30:31], v[20:21]
	ds_write_b128 v1, v[24:27]
	v_add_u32_e32 v1, 0x1000, v1
	s_andn2_b64 exec, exec, s[8:9]
	s_cbranch_execnz .LBB100_81
.LBB100_82:
	s_or_b64 exec, exec, s[6:7]
                                        ; implicit-def: $vgpr16_vgpr17
                                        ; implicit-def: $vgpr14_vgpr15
                                        ; implicit-def: $vgpr2
.LBB100_83:
	s_or_saveexec_b64 s[4:5], s[4:5]
	v_lshlrev_b32_e32 v18, 4, v0
	s_xor_b64 exec, exec, s[4:5]
	s_cbranch_execz .LBB100_85
; %bb.84:
	v_ashrrev_i32_e32 v3, 31, v2
	v_lshlrev_b64 v[4:5], 2, v[2:3]
	v_mov_b32_e32 v1, s39
	v_add_co_u32_e32 v4, vcc, s38, v4
	v_addc_co_u32_e32 v5, vcc, v1, v5, vcc
	global_load_dword v1, v[4:5], off
	global_load_dword v6, v[4:5], off offset:1024
	global_load_dword v7, v[4:5], off offset:2048
	;; [unrolled: 1-line block ×3, first 2 shown]
	v_lshlrev_b64 v[2:3], 3, v[2:3]
	v_mov_b32_e32 v4, s41
	v_add_co_u32_e32 v2, vcc, s40, v2
	s_movk_i32 s6, 0x1000
	v_addc_co_u32_e32 v3, vcc, v4, v3, vcc
	global_load_dwordx2 v[28:29], v[2:3], off
	global_load_dwordx2 v[30:31], v[2:3], off offset:2048
	v_add_co_u32_e32 v2, vcc, s6, v2
	v_addc_co_u32_e32 v3, vcc, 0, v3, vcc
	global_load_dwordx2 v[32:33], v[2:3], off
	global_load_dwordx2 v[34:35], v[2:3], off offset:2048
	v_mov_b32_e32 v19, s43
	s_mov_b32 s6, 0
	s_brev_b32 s7, 1
	v_mul_f64 v[40:41], v[14:15], 0
	v_mul_f64 v[42:43], v[16:17], s[6:7]
	s_waitcnt vmcnt(7)
	v_subrev_u32_e32 v2, s34, v1
	v_ashrrev_i32_e32 v3, 31, v2
	s_waitcnt vmcnt(6)
	v_subrev_u32_e32 v4, s34, v6
	v_lshlrev_b64 v[2:3], 4, v[2:3]
	v_ashrrev_i32_e32 v5, 31, v4
	v_add_co_u32_e32 v26, vcc, s42, v2
	s_waitcnt vmcnt(5)
	v_subrev_u32_e32 v6, s34, v7
	v_lshlrev_b64 v[4:5], 4, v[4:5]
	v_addc_co_u32_e32 v27, vcc, v19, v3, vcc
	v_ashrrev_i32_e32 v7, 31, v6
	v_add_co_u32_e32 v36, vcc, s42, v4
	s_waitcnt vmcnt(4)
	v_subrev_u32_e32 v8, s34, v8
	v_lshlrev_b64 v[6:7], 4, v[6:7]
	v_addc_co_u32_e32 v37, vcc, v19, v5, vcc
	v_ashrrev_i32_e32 v9, 31, v8
	v_add_co_u32_e32 v38, vcc, s42, v6
	v_lshlrev_b64 v[24:25], 4, v[8:9]
	v_addc_co_u32_e32 v39, vcc, v19, v7, vcc
	v_add_co_u32_e32 v24, vcc, s42, v24
	v_addc_co_u32_e32 v25, vcc, v19, v25, vcc
	global_load_dwordx4 v[2:5], v[26:27], off
	global_load_dwordx4 v[6:9], v[36:37], off
	;; [unrolled: 1-line block ×3, first 2 shown]
	s_waitcnt vmcnt(6)
	v_fma_f64 v[44:45], v[14:15], v[28:29], v[42:43]
	global_load_dwordx4 v[24:27], v[24:25], off
	v_fma_f64 v[46:47], v[16:17], v[28:29], v[40:41]
	s_waitcnt vmcnt(6)
	v_fma_f64 v[48:49], v[14:15], v[30:31], v[42:43]
	v_fma_f64 v[50:51], v[16:17], v[30:31], v[40:41]
	s_waitcnt vmcnt(5)
	v_fma_f64 v[52:53], v[14:15], v[32:33], v[42:43]
	v_fma_f64 v[54:55], v[16:17], v[32:33], v[40:41]
	s_waitcnt vmcnt(4)
	v_fmac_f64_e32 v[42:43], v[14:15], v[34:35]
	v_fmac_f64_e32 v[40:41], v[16:17], v[34:35]
	s_waitcnt vmcnt(3)
	v_mul_f64 v[14:15], v[4:5], -v[46:47]
	v_mul_f64 v[16:17], v[44:45], v[4:5]
	s_waitcnt vmcnt(2)
	v_mul_f64 v[28:29], v[8:9], -v[50:51]
	v_mul_f64 v[30:31], v[48:49], v[8:9]
	;; [unrolled: 3-line block ×4, first 2 shown]
	v_fmac_f64_e32 v[14:15], v[44:45], v[2:3]
	v_fmac_f64_e32 v[16:17], v[46:47], v[2:3]
	;; [unrolled: 1-line block ×8, first 2 shown]
	ds_write_b128 v18, v[14:17]
	ds_write_b128 v18, v[28:31] offset:4096
	ds_write_b128 v18, v[32:35] offset:8192
	ds_write_b128 v18, v[36:39] offset:12288
.LBB100_85:
	s_or_b64 exec, exec, s[4:5]
	s_cmp_lt_i32 s33, 2
	s_mov_b64 s[4:5], -1
	s_waitcnt lgkmcnt(0)
	s_barrier
	s_cbranch_scc0 .LBB100_96
; %bb.86:
	v_add_u32_e32 v6, s28, v0
	v_cmp_gt_i32_e32 vcc, s29, v6
	s_and_saveexec_b64 s[6:7], vcc
	s_cbranch_execz .LBB100_95
; %bb.87:
	v_cmp_neq_f64_e32 vcc, 0, v[10:11]
	v_cmp_neq_f64_e64 s[4:5], 0, v[12:13]
	s_lshl_b32 s10, s35, 4
	s_mov_b64 s[8:9], 0
	s_or_b64 s[4:5], vcc, s[4:5]
	s_sub_i32 s14, 0, s10
	v_mov_b32_e32 v1, s37
	v_mov_b32_e32 v14, s27
	s_branch .LBB100_89
.LBB100_88:                             ;   in Loop: Header=BB100_89 Depth=1
	s_or_b64 exec, exec, s[10:11]
	v_add_co_u32_e32 v8, vcc, s26, v8
	v_addc_co_u32_e32 v9, vcc, v14, v9, vcc
	v_add_u32_e32 v6, 0x100, v6
	v_cmp_le_i32_e32 vcc, s29, v6
	s_or_b64 s[8:9], vcc, s[8:9]
	global_store_dwordx4 v[8:9], v[2:5], off
	s_andn2_b64 exec, exec, s[8:9]
	s_cbranch_execz .LBB100_95
.LBB100_89:                             ; =>This Loop Header: Depth=1
                                        ;     Child Loop BB100_91 Depth 2
	v_ashrrev_i32_e32 v7, 31, v6
	v_lshlrev_b64 v[2:3], 2, v[6:7]
	v_add_co_u32_e32 v2, vcc, s36, v2
	v_addc_co_u32_e32 v3, vcc, v1, v3, vcc
	global_load_dwordx2 v[8:9], v[2:3], off
	v_pk_mov_b32 v[4:5], 0, 0
	v_pk_mov_b32 v[2:3], v[4:5], v[4:5] op_sel:[0,1]
	s_waitcnt vmcnt(0)
	v_cmp_lt_i32_e32 vcc, v8, v9
	s_and_saveexec_b64 s[10:11], vcc
	s_cbranch_execz .LBB100_93
; %bb.90:                               ;   in Loop: Header=BB100_89 Depth=1
	v_pk_mov_b32 v[4:5], 0, 0
	v_subrev_u32_e32 v9, s35, v9
	v_subrev_u32_e32 v15, s35, v8
	v_lshl_add_u32 v8, v8, 4, s14
	s_mov_b64 s[12:13], 0
	v_pk_mov_b32 v[2:3], v[4:5], v[4:5] op_sel:[0,1]
.LBB100_91:                             ;   Parent Loop BB100_89 Depth=1
                                        ; =>  This Inner Loop Header: Depth=2
	ds_read_b128 v[20:23], v8
	v_add_u32_e32 v15, 1, v15
	v_cmp_ge_i32_e32 vcc, v15, v9
	v_add_u32_e32 v8, 16, v8
	s_or_b64 s[12:13], vcc, s[12:13]
	s_waitcnt lgkmcnt(0)
	v_add_f64 v[2:3], v[2:3], v[20:21]
	v_add_f64 v[4:5], v[4:5], v[22:23]
	s_andn2_b64 exec, exec, s[12:13]
	s_cbranch_execnz .LBB100_91
; %bb.92:                               ;   in Loop: Header=BB100_89 Depth=1
	s_or_b64 exec, exec, s[12:13]
.LBB100_93:                             ;   in Loop: Header=BB100_89 Depth=1
	s_or_b64 exec, exec, s[10:11]
	v_lshlrev_b64 v[8:9], 4, v[6:7]
	s_and_saveexec_b64 s[10:11], s[4:5]
	s_cbranch_execz .LBB100_88
; %bb.94:                               ;   in Loop: Header=BB100_89 Depth=1
	v_mov_b32_e32 v7, s27
	v_add_co_u32_e32 v16, vcc, s26, v8
	v_addc_co_u32_e32 v17, vcc, v7, v9, vcc
	global_load_dwordx4 v[20:23], v[16:17], off
	s_waitcnt vmcnt(0)
	v_fmac_f64_e32 v[2:3], v[10:11], v[20:21]
	v_fmac_f64_e32 v[4:5], v[12:13], v[20:21]
	v_fma_f64 v[2:3], -v[12:13], v[22:23], v[2:3]
	v_fmac_f64_e32 v[4:5], v[10:11], v[22:23]
	s_branch .LBB100_88
.LBB100_95:
	s_or_b64 exec, exec, s[6:7]
	s_mov_b64 s[4:5], 0
.LBB100_96:
	s_andn2_b64 vcc, exec, s[4:5]
	s_cbranch_vccnz .LBB100_121
; %bb.97:
	s_flbit_i32_b32 s4, s33
	s_xor_b32 s4, s4, 31
	v_lshrrev_b32_e32 v6, s4, v0
	s_add_i32 s4, s33, -1
	v_add_u32_e32 v4, s28, v6
	v_and_b32_e32 v5, s4, v0
	v_pk_mov_b32 v[0:1], 0, 0
	v_cmp_le_i32_e32 vcc, s29, v4
	v_cmp_gt_i32_e64 s[4:5], s29, v4
	v_pk_mov_b32 v[2:3], v[0:1], v[0:1] op_sel:[0,1]
	s_and_saveexec_b64 s[6:7], s[4:5]
	s_cbranch_execz .LBB100_103
; %bb.98:
	v_lshlrev_b32_e32 v0, 2, v6
	global_load_dwordx2 v[0:1], v0, s[30:31]
	v_subrev_u32_e32 v7, s35, v5
	v_pk_mov_b32 v[2:3], 0, 0
	s_waitcnt vmcnt(0)
	v_subrev_u32_e32 v6, s35, v1
	v_add_u32_e32 v7, v0, v7
	v_cmp_lt_i32_e64 s[4:5], v7, v6
	v_pk_mov_b32 v[0:1], v[2:3], v[2:3] op_sel:[0,1]
	s_and_saveexec_b64 s[8:9], s[4:5]
	s_cbranch_execz .LBB100_102
; %bb.99:
	v_pk_mov_b32 v[2:3], 0, 0
	v_lshlrev_b32_e32 v8, 4, v7
	s_lshl_b32 s12, s33, 4
	s_mov_b64 s[10:11], 0
	v_pk_mov_b32 v[0:1], v[2:3], v[2:3] op_sel:[0,1]
.LBB100_100:                            ; =>This Inner Loop Header: Depth=1
	ds_read_b128 v[14:17], v8
	v_add_u32_e32 v7, s33, v7
	v_cmp_ge_i32_e64 s[4:5], v7, v6
	v_add_u32_e32 v8, s12, v8
	s_or_b64 s[10:11], s[4:5], s[10:11]
	s_waitcnt lgkmcnt(0)
	v_add_f64 v[0:1], v[0:1], v[14:15]
	v_add_f64 v[2:3], v[2:3], v[16:17]
	s_andn2_b64 exec, exec, s[10:11]
	s_cbranch_execnz .LBB100_100
; %bb.101:
	s_or_b64 exec, exec, s[10:11]
.LBB100_102:
	s_or_b64 exec, exec, s[8:9]
.LBB100_103:
	s_or_b64 exec, exec, s[6:7]
	s_cmpk_lt_i32 s33, 0x81
	s_barrier
	ds_write_b128 v18, v[0:3]
	s_waitcnt lgkmcnt(0)
	s_barrier
	s_cbranch_scc1 .LBB100_105
; %bb.104:
	ds_read_b128 v[6:9], v18 offset:2048
	s_waitcnt lgkmcnt(0)
	s_barrier
	v_add_f64 v[0:1], v[0:1], v[6:7]
	v_add_f64 v[2:3], v[2:3], v[8:9]
	ds_write_b128 v18, v[0:3]
.LBB100_105:
	s_cmpk_lt_i32 s33, 0x41
	s_waitcnt lgkmcnt(0)
	s_barrier
	s_cbranch_scc1 .LBB100_107
; %bb.106:
	ds_read_b128 v[6:9], v18 offset:1024
	s_waitcnt lgkmcnt(0)
	s_barrier
	v_add_f64 v[0:1], v[0:1], v[6:7]
	v_add_f64 v[2:3], v[2:3], v[8:9]
	ds_write_b128 v18, v[0:3]
.LBB100_107:
	s_cmp_lt_i32 s33, 33
	s_waitcnt lgkmcnt(0)
	s_barrier
	s_cbranch_scc1 .LBB100_109
; %bb.108:
	ds_read_b128 v[6:9], v18 offset:512
	s_waitcnt lgkmcnt(0)
	s_barrier
	v_add_f64 v[0:1], v[0:1], v[6:7]
	v_add_f64 v[2:3], v[2:3], v[8:9]
	ds_write_b128 v18, v[0:3]
.LBB100_109:
	s_cmp_lt_i32 s33, 17
	;; [unrolled: 12-line block ×4, first 2 shown]
	s_waitcnt lgkmcnt(0)
	s_barrier
	s_cbranch_scc1 .LBB100_115
; %bb.114:
	ds_read_b128 v[6:9], v18 offset:64
	s_waitcnt lgkmcnt(0)
	s_barrier
	v_add_f64 v[0:1], v[0:1], v[6:7]
	v_add_f64 v[2:3], v[2:3], v[8:9]
	ds_write_b128 v18, v[0:3]
.LBB100_115:
	s_cmp_eq_u32 s33, 2
	s_waitcnt lgkmcnt(0)
	s_barrier
	s_cbranch_scc1 .LBB100_117
; %bb.116:
	ds_read_b128 v[6:9], v18 offset:32
	s_waitcnt lgkmcnt(0)
	s_barrier
	v_add_f64 v[0:1], v[0:1], v[6:7]
	v_add_f64 v[2:3], v[2:3], v[8:9]
	ds_write_b128 v18, v[0:3]
.LBB100_117:
	s_waitcnt lgkmcnt(0)
	s_barrier
	ds_read_b128 v[6:9], v18 offset:16
	v_cmp_eq_u32_e64 s[4:5], 0, v5
	s_xor_b64 s[6:7], vcc, -1
	s_and_b64 s[4:5], s[4:5], s[6:7]
	s_waitcnt lgkmcnt(0)
	v_add_f64 v[0:1], v[0:1], v[6:7]
	v_add_f64 v[2:3], v[2:3], v[8:9]
	s_barrier
	ds_write_b128 v18, v[0:3]
	s_and_b64 exec, exec, s[4:5]
	s_cbranch_execz .LBB100_121
; %bb.118:
	v_ashrrev_i32_e32 v5, 31, v4
	v_cmp_neq_f64_e32 vcc, 0, v[10:11]
	v_cmp_neq_f64_e64 s[4:5], 0, v[12:13]
	s_or_b64 s[6:7], vcc, s[4:5]
	v_lshlrev_b64 v[4:5], 4, v[4:5]
	s_and_saveexec_b64 s[4:5], s[6:7]
	s_cbranch_execz .LBB100_120
; %bb.119:
	v_mov_b32_e32 v7, s27
	v_add_co_u32_e32 v6, vcc, s26, v4
	v_addc_co_u32_e32 v7, vcc, v7, v5, vcc
	global_load_dwordx4 v[6:9], v[6:7], off
	s_waitcnt vmcnt(0)
	v_fmac_f64_e32 v[0:1], v[10:11], v[6:7]
	v_fmac_f64_e32 v[2:3], v[12:13], v[6:7]
	v_fma_f64 v[0:1], -v[12:13], v[8:9], v[0:1]
	v_fmac_f64_e32 v[2:3], v[10:11], v[8:9]
.LBB100_120:
	s_or_b64 exec, exec, s[4:5]
	v_mov_b32_e32 v6, s27
	v_add_co_u32_e32 v4, vcc, s26, v4
	v_addc_co_u32_e32 v5, vcc, v6, v5, vcc
	global_store_dwordx4 v[4:5], v[0:3], off
.LBB100_121:
	s_endpgm
	.section	.rodata,"a",@progbits
	.p2align	6, 0x0
	.amdhsa_kernel _ZN9rocsparseL22csrmvn_adaptive_kernelIiid21rocsparse_complex_numIdES2_S2_EEvbT_PKS3_PjPKT0_NS_24const_host_device_scalarIT4_EES5_S9_PKT1_PKT2_SC_PT3_21rocsparse_index_base_b
		.amdhsa_group_segment_fixed_size 16384
		.amdhsa_private_segment_fixed_size 24
		.amdhsa_kernarg_size 112
		.amdhsa_user_sgpr_count 8
		.amdhsa_user_sgpr_private_segment_buffer 1
		.amdhsa_user_sgpr_dispatch_ptr 0
		.amdhsa_user_sgpr_queue_ptr 0
		.amdhsa_user_sgpr_kernarg_segment_ptr 1
		.amdhsa_user_sgpr_dispatch_id 0
		.amdhsa_user_sgpr_flat_scratch_init 1
		.amdhsa_user_sgpr_kernarg_preload_length 0
		.amdhsa_user_sgpr_kernarg_preload_offset 0
		.amdhsa_user_sgpr_private_segment_size 0
		.amdhsa_uses_dynamic_stack 0
		.amdhsa_system_sgpr_private_segment_wavefront_offset 1
		.amdhsa_system_sgpr_workgroup_id_x 1
		.amdhsa_system_sgpr_workgroup_id_y 0
		.amdhsa_system_sgpr_workgroup_id_z 0
		.amdhsa_system_sgpr_workgroup_info 0
		.amdhsa_system_vgpr_workitem_id 0
		.amdhsa_next_free_vgpr 56
		.amdhsa_next_free_sgpr 59
		.amdhsa_accum_offset 56
		.amdhsa_reserve_vcc 1
		.amdhsa_reserve_flat_scratch 1
		.amdhsa_float_round_mode_32 0
		.amdhsa_float_round_mode_16_64 0
		.amdhsa_float_denorm_mode_32 3
		.amdhsa_float_denorm_mode_16_64 3
		.amdhsa_dx10_clamp 1
		.amdhsa_ieee_mode 1
		.amdhsa_fp16_overflow 0
		.amdhsa_tg_split 0
		.amdhsa_exception_fp_ieee_invalid_op 0
		.amdhsa_exception_fp_denorm_src 0
		.amdhsa_exception_fp_ieee_div_zero 0
		.amdhsa_exception_fp_ieee_overflow 0
		.amdhsa_exception_fp_ieee_underflow 0
		.amdhsa_exception_fp_ieee_inexact 0
		.amdhsa_exception_int_div_zero 0
	.end_amdhsa_kernel
	.section	.text._ZN9rocsparseL22csrmvn_adaptive_kernelIiid21rocsparse_complex_numIdES2_S2_EEvbT_PKS3_PjPKT0_NS_24const_host_device_scalarIT4_EES5_S9_PKT1_PKT2_SC_PT3_21rocsparse_index_base_b,"axG",@progbits,_ZN9rocsparseL22csrmvn_adaptive_kernelIiid21rocsparse_complex_numIdES2_S2_EEvbT_PKS3_PjPKT0_NS_24const_host_device_scalarIT4_EES5_S9_PKT1_PKT2_SC_PT3_21rocsparse_index_base_b,comdat
.Lfunc_end100:
	.size	_ZN9rocsparseL22csrmvn_adaptive_kernelIiid21rocsparse_complex_numIdES2_S2_EEvbT_PKS3_PjPKT0_NS_24const_host_device_scalarIT4_EES5_S9_PKT1_PKT2_SC_PT3_21rocsparse_index_base_b, .Lfunc_end100-_ZN9rocsparseL22csrmvn_adaptive_kernelIiid21rocsparse_complex_numIdES2_S2_EEvbT_PKS3_PjPKT0_NS_24const_host_device_scalarIT4_EES5_S9_PKT1_PKT2_SC_PT3_21rocsparse_index_base_b
                                        ; -- End function
	.section	.AMDGPU.csdata,"",@progbits
; Kernel info:
; codeLenInByte = 5016
; NumSgprs: 65
; NumVgprs: 56
; NumAgprs: 0
; TotalNumVgprs: 56
; ScratchSize: 24
; MemoryBound: 0
; FloatMode: 240
; IeeeMode: 1
; LDSByteSize: 16384 bytes/workgroup (compile time only)
; SGPRBlocks: 8
; VGPRBlocks: 6
; NumSGPRsForWavesPerEU: 65
; NumVGPRsForWavesPerEU: 56
; AccumOffset: 56
; Occupancy: 4
; WaveLimiterHint : 1
; COMPUTE_PGM_RSRC2:SCRATCH_EN: 1
; COMPUTE_PGM_RSRC2:USER_SGPR: 8
; COMPUTE_PGM_RSRC2:TRAP_HANDLER: 0
; COMPUTE_PGM_RSRC2:TGID_X_EN: 1
; COMPUTE_PGM_RSRC2:TGID_Y_EN: 0
; COMPUTE_PGM_RSRC2:TGID_Z_EN: 0
; COMPUTE_PGM_RSRC2:TIDIG_COMP_CNT: 0
; COMPUTE_PGM_RSRC3_GFX90A:ACCUM_OFFSET: 13
; COMPUTE_PGM_RSRC3_GFX90A:TG_SPLIT: 0
	.section	.text._ZN9rocsparseL27csrmvn_symm_adaptive_kernelIiid21rocsparse_complex_numIdES2_S2_EEvbT_S3_PKS3_NS_24const_host_device_scalarIT4_EES5_PKT0_PKT1_PKT2_S8_PT3_21rocsparse_index_base_b,"axG",@progbits,_ZN9rocsparseL27csrmvn_symm_adaptive_kernelIiid21rocsparse_complex_numIdES2_S2_EEvbT_S3_PKS3_NS_24const_host_device_scalarIT4_EES5_PKT0_PKT1_PKT2_S8_PT3_21rocsparse_index_base_b,comdat
	.globl	_ZN9rocsparseL27csrmvn_symm_adaptive_kernelIiid21rocsparse_complex_numIdES2_S2_EEvbT_S3_PKS3_NS_24const_host_device_scalarIT4_EES5_PKT0_PKT1_PKT2_S8_PT3_21rocsparse_index_base_b ; -- Begin function _ZN9rocsparseL27csrmvn_symm_adaptive_kernelIiid21rocsparse_complex_numIdES2_S2_EEvbT_S3_PKS3_NS_24const_host_device_scalarIT4_EES5_PKT0_PKT1_PKT2_S8_PT3_21rocsparse_index_base_b
	.p2align	8
	.type	_ZN9rocsparseL27csrmvn_symm_adaptive_kernelIiid21rocsparse_complex_numIdES2_S2_EEvbT_S3_PKS3_NS_24const_host_device_scalarIT4_EES5_PKT0_PKT1_PKT2_S8_PT3_21rocsparse_index_base_b,@function
_ZN9rocsparseL27csrmvn_symm_adaptive_kernelIiid21rocsparse_complex_numIdES2_S2_EEvbT_S3_PKS3_NS_24const_host_device_scalarIT4_EES5_PKT0_PKT1_PKT2_S8_PT3_21rocsparse_index_base_b: ; @_ZN9rocsparseL27csrmvn_symm_adaptive_kernelIiid21rocsparse_complex_numIdES2_S2_EEvbT_S3_PKS3_NS_24const_host_device_scalarIT4_EES5_PKT0_PKT1_PKT2_S8_PT3_21rocsparse_index_base_b
; %bb.0:
	s_add_u32 flat_scratch_lo, s6, s9
	s_addc_u32 flat_scratch_hi, s7, 0
	s_load_dwordx2 s[30:31], s[4:5], 0x60
	s_load_dwordx4 s[16:19], s[4:5], 0x18
	s_load_dwordx4 s[12:15], s[4:5], 0x48
	s_add_u32 s0, s0, s9
	s_addc_u32 s1, s1, 0
	s_waitcnt lgkmcnt(0)
	s_bitcmp1_b32 s31, 0
	v_mov_b32_e32 v1, 0
	v_mov_b32_e32 v3, s16
	s_cselect_b64 s[6:7], -1, 0
	v_cndmask_b32_e64 v2, v3, v1, s[6:7]
	v_mov_b32_e32 v1, s17
	s_mov_b64 s[10:11], src_private_base
	s_and_b64 vcc, s[6:7], exec
	buffer_store_dword v1, off, s[0:3], 0 offset:4
	buffer_store_dword v3, off, s[0:3], 0
	v_mov_b32_e32 v1, s13
	s_cselect_b32 s9, s11, s17
	buffer_store_dword v1, off, s[0:3], 0 offset:12
	v_mov_b32_e32 v1, s12
	buffer_store_dword v1, off, s[0:3], 0 offset:8
	v_mov_b32_e32 v3, s9
	flat_load_dwordx2 v[12:13], v[2:3]
	s_xor_b64 s[20:21], s[6:7], -1
	v_pk_mov_b32 v[14:15], s[18:19], s[18:19] op_sel:[0,1]
	s_cbranch_vccnz .LBB101_2
; %bb.1:
	v_pk_mov_b32 v[2:3], s[16:17], s[16:17] op_sel:[0,1]
	flat_load_dwordx2 v[14:15], v[2:3] offset:8
.LBB101_2:
	s_and_b64 s[16:17], s[6:7], exec
	s_cselect_b32 s9, s11, s13
	v_mov_b32_e32 v1, 8
	v_mov_b32_e32 v2, s12
	v_cndmask_b32_e64 v2, v2, v1, s[6:7]
	v_mov_b32_e32 v3, s9
	flat_load_dwordx2 v[2:3], v[2:3]
	s_andn2_b64 vcc, exec, s[20:21]
	v_pk_mov_b32 v[4:5], s[14:15], s[14:15] op_sel:[0,1]
	s_cbranch_vccnz .LBB101_4
; %bb.3:
	v_pk_mov_b32 v[4:5], s[12:13], s[12:13] op_sel:[0,1]
	flat_load_dwordx2 v[4:5], v[4:5] offset:8
.LBB101_4:
	s_waitcnt vmcnt(0) lgkmcnt(0)
	v_cmp_eq_f64_e32 vcc, 0, v[12:13]
	v_cmp_eq_f64_e64 s[6:7], 0, v[14:15]
	s_and_b64 s[12:13], vcc, s[6:7]
	s_mov_b64 s[6:7], -1
	s_and_saveexec_b64 s[10:11], s[12:13]
; %bb.5:
	v_cmp_neq_f64_e32 vcc, 1.0, v[2:3]
	v_cmp_neq_f64_e64 s[6:7], 0, v[4:5]
	s_or_b64 s[6:7], vcc, s[6:7]
	s_orn2_b64 s[6:7], s[6:7], exec
; %bb.6:
	s_or_b64 exec, exec, s[10:11]
	s_and_saveexec_b64 s[10:11], s[6:7]
	s_cbranch_execz .LBB101_206
; %bb.7:
	s_load_dwordx2 s[6:7], s[4:5], 0x10
	s_mov_b32 s12, 0
	s_ashr_i32 s9, s8, 31
	s_mov_b32 s13, s12
	s_lshl_b64 s[8:9], s[8:9], 2
	s_mov_b32 s14, s12
	s_mov_b32 s15, s12
	v_pk_mov_b32 v[2:3], s[12:13], s[12:13] op_sel:[0,1]
	s_waitcnt lgkmcnt(0)
	s_add_u32 s6, s6, s8
	v_lshlrev_b32_e32 v1, 4, v0
	v_pk_mov_b32 v[4:5], s[14:15], s[14:15] op_sel:[0,1]
	s_addc_u32 s7, s7, s9
	ds_write_b128 v1, v[2:5]
	ds_write_b128 v1, v[2:5] offset:4096
	ds_write_b128 v1, v[2:5] offset:8192
	;; [unrolled: 1-line block ×3, first 2 shown]
	s_waitcnt lgkmcnt(0)
	s_barrier
	s_load_dwordx2 s[28:29], s[6:7], 0x0
	s_load_dwordx2 s[18:19], s[4:5], 0x58
	s_load_dwordx8 s[20:27], s[4:5], 0x28
	s_mov_b64 s[6:7], -1
	v_subrev_u32_e32 v28, s30, v0
	s_waitcnt lgkmcnt(0)
	s_sub_i32 s31, s29, s28
	s_cmp_gt_i32 s31, 2
	s_cbranch_scc1 .LBB101_53
; %bb.8:
	s_cmp_gt_i32 s29, s28
	s_cbranch_scc1 .LBB101_10
; %bb.9:
	s_ashr_i32 s7, s28, 31
	s_mov_b32 s6, s28
	s_lshl_b64 s[6:7], s[6:7], 2
	s_add_u32 s6, s20, s6
	s_addc_u32 s7, s21, s7
	s_load_dword s33, s[6:7], 0x0
	s_cbranch_execz .LBB101_11
	s_branch .LBB101_40
.LBB101_10:
                                        ; implicit-def: $sgpr33
	s_andn2_b64 vcc, exec, s[6:7]
	s_cbranch_vccnz .LBB101_40
.LBB101_11:
	s_ashr_i32 s17, s28, 31
	s_mov_b32 s16, s28
	s_lshl_b64 s[16:17], s[16:17], 2
	s_add_u32 s16, s20, s16
	s_addc_u32 s17, s21, s17
	s_waitcnt lgkmcnt(0)
	s_load_dword s33, s[16:17], 0x0
	s_movk_i32 s6, 0x100
	s_add_u32 s42, s20, 4
	v_cmp_gt_u32_e64 s[6:7], s6, v0
	v_cmp_gt_u32_e64 s[8:9], 64, v0
	;; [unrolled: 1-line block ×4, first 2 shown]
	v_cmp_eq_u32_e64 s[14:15], 0, v0
	s_addc_u32 s43, s21, 0
	v_mov_b32_e32 v16, s27
	v_mov_b32_e32 v17, 0
	s_waitcnt lgkmcnt(0)
	s_mov_b32 s44, s33
	s_mov_b32 s34, s28
	s_branch .LBB101_13
.LBB101_12:                             ;   in Loop: Header=BB101_13 Depth=1
	s_or_b64 exec, exec, s[16:17]
	s_add_i32 s34, s34, 1
	s_cmp_ge_i32 s34, s29
	s_cbranch_scc1 .LBB101_40
.LBB101_13:                             ; =>This Loop Header: Depth=1
                                        ;     Child Loop BB101_15 Depth 2
                                        ;     Child Loop BB101_29 Depth 2
	;; [unrolled: 1-line block ×5, first 2 shown]
	s_ashr_i32 s35, s34, 31
	s_lshl_b64 s[16:17], s[34:35], 2
	s_add_u32 s16, s42, s16
	s_addc_u32 s17, s43, s17
	s_mov_b32 s36, s44
	s_load_dword s44, s[16:17], 0x0
	v_pk_mov_b32 v[4:5], 0, 0
	v_add_u32_e32 v6, s36, v28
	v_pk_mov_b32 v[2:3], v[4:5], v[4:5] op_sel:[0,1]
	s_waitcnt lgkmcnt(0)
	s_sub_i32 s40, s44, s30
	v_cmp_gt_i32_e32 vcc, s40, v6
	s_and_saveexec_b64 s[36:37], vcc
	s_cbranch_execz .LBB101_17
; %bb.14:                               ;   in Loop: Header=BB101_13 Depth=1
	v_ashrrev_i32_e32 v7, 31, v6
	v_lshlrev_b64 v[2:3], 2, v[6:7]
	v_mov_b32_e32 v4, s23
	v_add_co_u32_e32 v8, vcc, s22, v2
	v_addc_co_u32_e32 v9, vcc, v4, v3, vcc
	v_lshlrev_b64 v[2:3], 3, v[6:7]
	v_mov_b32_e32 v4, s25
	v_add_co_u32_e32 v10, vcc, s24, v2
	v_addc_co_u32_e32 v11, vcc, v4, v3, vcc
	v_pk_mov_b32 v[4:5], 0, 0
	s_mov_b64 s[38:39], 0
	v_pk_mov_b32 v[2:3], v[4:5], v[4:5] op_sel:[0,1]
.LBB101_15:                             ;   Parent Loop BB101_13 Depth=1
                                        ; =>  This Inner Loop Header: Depth=2
	global_load_dword v7, v[8:9], off
	global_load_dwordx2 v[22:23], v[10:11], off
	v_add_u32_e32 v6, 0x100, v6
	v_cmp_le_i32_e64 s[16:17], s40, v6
	s_or_b64 s[38:39], s[16:17], s[38:39]
	s_waitcnt vmcnt(1)
	v_subrev_u32_e32 v18, s30, v7
	v_ashrrev_i32_e32 v19, 31, v18
	v_lshlrev_b64 v[18:19], 4, v[18:19]
	v_add_co_u32_e32 v18, vcc, s26, v18
	v_addc_co_u32_e32 v19, vcc, v16, v19, vcc
	global_load_dwordx4 v[18:21], v[18:19], off
	v_add_co_u32_e32 v8, vcc, 0x400, v8
	v_addc_co_u32_e32 v9, vcc, 0, v9, vcc
	v_add_co_u32_e32 v10, vcc, 0x800, v10
	v_addc_co_u32_e32 v11, vcc, 0, v11, vcc
	s_waitcnt vmcnt(0)
	v_fmac_f64_e32 v[2:3], v[22:23], v[18:19]
	v_fmac_f64_e32 v[4:5], 0, v[18:19]
	;; [unrolled: 1-line block ×4, first 2 shown]
	s_andn2_b64 exec, exec, s[38:39]
	s_cbranch_execnz .LBB101_15
; %bb.16:                               ;   in Loop: Header=BB101_13 Depth=1
	s_or_b64 exec, exec, s[38:39]
.LBB101_17:                             ;   in Loop: Header=BB101_13 Depth=1
	s_or_b64 exec, exec, s[36:37]
	ds_write_b128 v1, v[2:5]
	s_waitcnt lgkmcnt(0)
	s_barrier
	s_and_saveexec_b64 s[16:17], s[6:7]
	s_cbranch_execz .LBB101_19
; %bb.18:                               ;   in Loop: Header=BB101_13 Depth=1
	ds_read_b128 v[2:5], v1 offset:4096
	ds_read_b128 v[6:9], v1 offset:8192
	ds_read_b128 v[18:21], v1 offset:12288
	ds_read_b128 v[22:25], v1
	s_waitcnt lgkmcnt(2)
	v_add_f64 v[2:3], v[6:7], v[2:3]
	v_add_f64 v[4:5], v[8:9], v[4:5]
	s_waitcnt lgkmcnt(1)
	v_add_f64 v[2:3], v[2:3], v[18:19]
	v_add_f64 v[4:5], v[4:5], v[20:21]
	s_waitcnt lgkmcnt(0)
	v_add_f64 v[2:3], v[2:3], v[22:23]
	v_add_f64 v[4:5], v[4:5], v[24:25]
	ds_write_b128 v1, v[2:5]
.LBB101_19:                             ;   in Loop: Header=BB101_13 Depth=1
	s_or_b64 exec, exec, s[16:17]
	s_waitcnt lgkmcnt(0)
	s_barrier
	s_and_saveexec_b64 s[16:17], s[8:9]
	s_cbranch_execz .LBB101_21
; %bb.20:                               ;   in Loop: Header=BB101_13 Depth=1
	ds_read_b128 v[2:5], v1 offset:1024
	ds_read_b128 v[6:9], v1 offset:2048
	ds_read_b128 v[18:21], v1 offset:3072
	ds_read_b128 v[22:25], v1
	s_waitcnt lgkmcnt(2)
	v_add_f64 v[2:3], v[6:7], v[2:3]
	v_add_f64 v[4:5], v[8:9], v[4:5]
	s_waitcnt lgkmcnt(1)
	v_add_f64 v[2:3], v[2:3], v[18:19]
	v_add_f64 v[4:5], v[4:5], v[20:21]
	s_waitcnt lgkmcnt(0)
	v_add_f64 v[2:3], v[2:3], v[22:23]
	v_add_f64 v[4:5], v[4:5], v[24:25]
	ds_write_b128 v1, v[2:5]
.LBB101_21:                             ;   in Loop: Header=BB101_13 Depth=1
	s_or_b64 exec, exec, s[16:17]
	;; [unrolled: 21-line block ×5, first 2 shown]
	s_waitcnt lgkmcnt(0)
	s_barrier
	s_and_saveexec_b64 s[16:17], s[14:15]
	s_cbranch_execz .LBB101_12
; %bb.28:                               ;   in Loop: Header=BB101_13 Depth=1
	ds_read_b128 v[2:5], v17
	v_mov_b32_e32 v10, 0
	s_mov_b64 s[36:37], exec
	v_bfrev_b32_e32 v11, 1
	s_waitcnt lgkmcnt(0)
	v_mul_f64 v[6:7], v[4:5], -v[14:15]
	v_fmac_f64_e32 v[6:7], v[12:13], v[2:3]
.LBB101_29:                             ;   Parent Loop BB101_13 Depth=1
                                        ; =>  This Inner Loop Header: Depth=2
	s_ff1_i32_b64 s40, s[36:37]
	v_readlane_b32 s39, v7, s40
	v_readlane_b32 s38, v6, s40
	s_lshl_b64 s[40:41], 1, s40
	s_andn2_b64 s[36:37], s[36:37], s[40:41]
	s_cmp_lg_u64 s[36:37], 0
	v_add_f64 v[10:11], v[10:11], s[38:39]
	s_cbranch_scc1 .LBB101_29
; %bb.30:                               ;   in Loop: Header=BB101_13 Depth=1
	s_lshl_b64 s[36:37], s[34:35], 4
	v_mbcnt_lo_u32_b32 v6, exec_lo, 0
	s_add_u32 s36, s18, s36
	v_mbcnt_hi_u32_b32 v6, exec_hi, v6
	s_addc_u32 s37, s19, s37
	v_cmp_eq_u32_e32 vcc, 0, v6
	s_and_saveexec_b64 s[38:39], vcc
	s_xor_b64 s[38:39], exec, s[38:39]
	s_cbranch_execz .LBB101_34
; %bb.31:                               ;   in Loop: Header=BB101_13 Depth=1
	global_load_dwordx2 v[8:9], v17, s[36:37]
	s_mov_b64 s[40:41], 0
.LBB101_32:                             ;   Parent Loop BB101_13 Depth=1
                                        ; =>  This Inner Loop Header: Depth=2
	s_waitcnt vmcnt(0)
	v_add_f64 v[6:7], v[8:9], v[10:11]
	global_atomic_cmpswap_x2 v[6:7], v17, v[6:9], s[36:37] glc
	s_waitcnt vmcnt(0)
	v_cmp_eq_u64_e32 vcc, v[6:7], v[8:9]
	s_or_b64 s[40:41], vcc, s[40:41]
	v_pk_mov_b32 v[8:9], v[6:7], v[6:7] op_sel:[0,1]
	s_andn2_b64 exec, exec, s[40:41]
	s_cbranch_execnz .LBB101_32
; %bb.33:                               ;   in Loop: Header=BB101_13 Depth=1
	s_or_b64 exec, exec, s[40:41]
.LBB101_34:                             ;   in Loop: Header=BB101_13 Depth=1
	s_or_b64 exec, exec, s[38:39]
	v_mul_f64 v[4:5], v[12:13], v[4:5]
	v_mov_b32_e32 v6, 0
	s_mov_b64 s[38:39], exec
	v_fmac_f64_e32 v[4:5], v[14:15], v[2:3]
	v_bfrev_b32_e32 v7, 1
.LBB101_35:                             ;   Parent Loop BB101_13 Depth=1
                                        ; =>  This Inner Loop Header: Depth=2
	s_ff1_i32_b64 s35, s[38:39]
	s_lshl_b64 s[46:47], 1, s35
	v_readlane_b32 s41, v5, s35
	v_readlane_b32 s40, v4, s35
	s_andn2_b64 s[38:39], s[38:39], s[46:47]
	s_cmp_lg_u64 s[38:39], 0
	v_add_f64 v[6:7], v[6:7], s[40:41]
	s_cbranch_scc1 .LBB101_35
; %bb.36:                               ;   in Loop: Header=BB101_13 Depth=1
	v_mbcnt_lo_u32_b32 v2, exec_lo, 0
	v_mbcnt_hi_u32_b32 v2, exec_hi, v2
	v_cmp_eq_u32_e32 vcc, 0, v2
	s_and_saveexec_b64 s[38:39], vcc
	s_xor_b64 s[38:39], exec, s[38:39]
	s_cbranch_execz .LBB101_12
; %bb.37:                               ;   in Loop: Header=BB101_13 Depth=1
	global_load_dwordx2 v[4:5], v17, s[36:37] offset:8
	s_mov_b64 s[38:39], 0
.LBB101_38:                             ;   Parent Loop BB101_13 Depth=1
                                        ; =>  This Inner Loop Header: Depth=2
	s_waitcnt vmcnt(0)
	v_add_f64 v[2:3], v[4:5], v[6:7]
	global_atomic_cmpswap_x2 v[2:3], v17, v[2:5], s[36:37] offset:8 glc
	s_waitcnt vmcnt(0)
	v_cmp_eq_u64_e32 vcc, v[2:3], v[4:5]
	s_or_b64 s[38:39], vcc, s[38:39]
	v_pk_mov_b32 v[4:5], v[2:3], v[2:3] op_sel:[0,1]
	s_andn2_b64 exec, exec, s[38:39]
	s_cbranch_execnz .LBB101_38
; %bb.39:                               ;   in Loop: Header=BB101_13 Depth=1
	s_or_b64 exec, exec, s[38:39]
	s_branch .LBB101_12
.LBB101_40:
	s_ashr_i32 s7, s29, 31
	s_mov_b32 s6, s29
	s_lshl_b64 s[6:7], s[6:7], 2
	s_add_u32 s6, s20, s6
	s_addc_u32 s7, s21, s7
	s_load_dword s6, s[6:7], 0x0
	s_waitcnt lgkmcnt(0)
	v_add_u32_e32 v10, s33, v28
	s_sub_i32 s16, s6, s30
	v_cmp_gt_i32_e32 vcc, s16, v10
	s_and_saveexec_b64 s[10:11], vcc
	s_cbranch_execz .LBB101_52
; %bb.41:
	s_add_i32 s17, s29, -1
	s_cmp_gt_i32 s17, s28
	s_cselect_b64 s[6:7], -1, 0
	s_add_i32 s8, s29, -2
	s_cmp_lg_u32 s8, s28
	s_cselect_b64 s[8:9], -1, 0
	s_mov_b32 s12, 0
	s_and_b64 s[6:7], s[6:7], s[8:9]
	s_brev_b32 s13, 1
	v_cndmask_b32_e64 v2, 0, 1, s[6:7]
	v_mul_f64 v[16:17], v[14:15], s[12:13]
	s_mov_b64 s[12:13], 0
	v_mul_f64 v[18:19], v[12:13], 0
	v_cmp_ne_u32_e64 s[6:7], 1, v2
	v_mov_b32_e32 v29, s21
	v_mov_b32_e32 v30, s23
	s_branch .LBB101_43
.LBB101_42:                             ;   in Loop: Header=BB101_43 Depth=1
	s_or_b64 exec, exec, s[8:9]
	v_add_u32_e32 v10, 0x100, v10
	v_cmp_le_i32_e32 vcc, s16, v10
	s_or_b64 s[12:13], vcc, s[12:13]
	s_andn2_b64 exec, exec, s[12:13]
	s_cbranch_execz .LBB101_52
.LBB101_43:                             ; =>This Loop Header: Depth=1
                                        ;     Child Loop BB101_45 Depth 2
                                        ;     Child Loop BB101_49 Depth 2
	;; [unrolled: 1-line block ×3, first 2 shown]
	s_and_b64 vcc, exec, s[6:7]
	v_mov_b32_e32 v4, s28
	v_mov_b32_e32 v2, s17
	s_cbranch_vccnz .LBB101_47
; %bb.44:                               ;   in Loop: Header=BB101_43 Depth=1
	s_mov_b64 s[14:15], 0
	v_mov_b32_e32 v4, s28
	v_mov_b32_e32 v2, s17
.LBB101_45:                             ;   Parent Loop BB101_43 Depth=1
                                        ; =>  This Inner Loop Header: Depth=2
	v_add_u32_e32 v3, v2, v4
	v_lshrrev_b32_e32 v6, 31, v3
	v_add_u32_e32 v3, v3, v6
	v_ashrrev_i32_e32 v6, 1, v3
	v_ashrrev_i32_e32 v7, 31, v6
	v_lshlrev_b64 v[8:9], 2, v[6:7]
	v_mov_b32_e32 v5, s21
	v_add_co_u32_e32 v8, vcc, s20, v8
	v_addc_co_u32_e32 v9, vcc, v5, v9, vcc
	global_load_dword v3, v[8:9], off
	s_waitcnt vmcnt(0)
	v_subrev_u32_e32 v3, s30, v3
	v_cmp_gt_i32_e32 vcc, v3, v10
	v_cndmask_b32_e32 v2, v2, v6, vcc
	v_cndmask_b32_e32 v4, v6, v4, vcc
	v_add_u32_e32 v3, -1, v2
	v_cmp_ge_i32_e32 vcc, v4, v2
	v_cmp_eq_u32_e64 s[8:9], v4, v3
	s_or_b64 s[8:9], vcc, s[8:9]
	s_and_b64 s[8:9], exec, s[8:9]
	s_or_b64 s[14:15], s[8:9], s[14:15]
	s_andn2_b64 exec, exec, s[14:15]
	s_cbranch_execnz .LBB101_45
; %bb.46:                               ;   in Loop: Header=BB101_43 Depth=1
	s_or_b64 exec, exec, s[14:15]
.LBB101_47:                             ;   in Loop: Header=BB101_43 Depth=1
	v_ashrrev_i32_e32 v3, 31, v2
	v_lshlrev_b64 v[6:7], 2, v[2:3]
	v_add_co_u32_e32 v6, vcc, s20, v6
	v_addc_co_u32_e32 v7, vcc, v29, v7, vcc
	v_ashrrev_i32_e32 v11, 31, v10
	global_load_dword v3, v[6:7], off
	v_lshlrev_b64 v[6:7], 2, v[10:11]
	v_add_co_u32_e32 v6, vcc, s22, v6
	v_addc_co_u32_e32 v7, vcc, v30, v7, vcc
	global_load_dword v5, v[6:7], off
	s_waitcnt vmcnt(1)
	v_subrev_u32_e32 v3, s30, v3
	v_cmp_gt_i32_e32 vcc, v3, v10
	v_cndmask_b32_e32 v2, v2, v4, vcc
	s_waitcnt vmcnt(0)
	v_subrev_u32_e32 v4, s30, v5
	v_cmp_ne_u32_e32 vcc, v4, v2
	s_and_saveexec_b64 s[8:9], vcc
	s_cbranch_execz .LBB101_42
; %bb.48:                               ;   in Loop: Header=BB101_43 Depth=1
	v_ashrrev_i32_e32 v5, 31, v4
	v_lshlrev_b64 v[6:7], 4, v[4:5]
	v_lshlrev_b64 v[4:5], 3, v[10:11]
	v_mov_b32_e32 v3, s25
	v_add_co_u32_e32 v4, vcc, s24, v4
	v_addc_co_u32_e32 v5, vcc, v3, v5, vcc
	v_ashrrev_i32_e32 v3, 31, v2
	v_lshlrev_b64 v[2:3], 4, v[2:3]
	global_load_dwordx2 v[24:25], v[4:5], off
	v_mov_b32_e32 v4, s27
	v_add_co_u32_e32 v2, vcc, s26, v2
	v_addc_co_u32_e32 v3, vcc, v4, v3, vcc
	v_mov_b32_e32 v8, s19
	global_load_dwordx4 v[2:5], v[2:3], off
	v_add_co_u32_e32 v20, vcc, s18, v6
	v_addc_co_u32_e32 v21, vcc, v8, v7, vcc
	global_load_dwordx2 v[8:9], v[20:21], off
	s_mov_b64 s[14:15], 0
	s_waitcnt vmcnt(2)
	v_fma_f64 v[22:23], v[12:13], v[24:25], v[16:17]
	v_fma_f64 v[24:25], v[14:15], v[24:25], v[18:19]
	s_waitcnt vmcnt(1)
	v_mul_f64 v[26:27], v[4:5], -v[24:25]
	v_fmac_f64_e32 v[26:27], v[22:23], v[2:3]
.LBB101_49:                             ;   Parent Loop BB101_43 Depth=1
                                        ; =>  This Inner Loop Header: Depth=2
	s_waitcnt vmcnt(0)
	v_add_f64 v[6:7], v[8:9], v[26:27]
	global_atomic_cmpswap_x2 v[6:7], v[20:21], v[6:9], off glc
	s_waitcnt vmcnt(0)
	v_cmp_eq_u64_e32 vcc, v[6:7], v[8:9]
	s_or_b64 s[14:15], vcc, s[14:15]
	v_pk_mov_b32 v[8:9], v[6:7], v[6:7] op_sel:[0,1]
	s_andn2_b64 exec, exec, s[14:15]
	s_cbranch_execnz .LBB101_49
; %bb.50:                               ;   in Loop: Header=BB101_43 Depth=1
	s_or_b64 exec, exec, s[14:15]
	global_load_dwordx2 v[6:7], v[20:21], off offset:8
	v_mul_f64 v[8:9], v[22:23], v[4:5]
	v_fmac_f64_e32 v[8:9], v[24:25], v[2:3]
	s_mov_b64 s[14:15], 0
.LBB101_51:                             ;   Parent Loop BB101_43 Depth=1
                                        ; =>  This Inner Loop Header: Depth=2
	s_waitcnt vmcnt(0)
	v_add_f64 v[4:5], v[6:7], v[8:9]
	global_atomic_cmpswap_x2 v[2:3], v[20:21], v[4:7], off offset:8 glc
	s_waitcnt vmcnt(0)
	v_cmp_eq_u64_e32 vcc, v[2:3], v[6:7]
	s_or_b64 s[14:15], vcc, s[14:15]
	v_pk_mov_b32 v[6:7], v[2:3], v[2:3] op_sel:[0,1]
	s_andn2_b64 exec, exec, s[14:15]
	s_cbranch_execnz .LBB101_51
	s_branch .LBB101_42
.LBB101_52:
	s_or_b64 exec, exec, s[10:11]
	s_mov_b64 s[6:7], 0
.LBB101_53:
	s_and_b64 vcc, exec, s[6:7]
	s_cbranch_vccz .LBB101_206
; %bb.54:
	v_cvt_f32_u32_e32 v2, s31
	s_ashr_i32 s7, s28, 31
	s_mov_b32 s6, s28
	s_sub_i32 s12, 0, s31
	v_rcp_iflag_f32_e32 v2, v2
	s_lshl_b64 s[6:7], s[6:7], 2
	s_add_u32 s8, s20, s6
	s_addc_u32 s9, s21, s7
	v_mul_f32_e32 v2, 0x4f7ffffe, v2
	v_cvt_u32_f32_e32 v2, v2
	s_load_dword s33, s[8:9], 0x0
	s_load_dwordx2 s[10:11], s[4:5], 0x4
	s_load_dword s16, s[4:5], 0x74
	s_waitcnt lgkmcnt(0)
	v_add_u32_e32 v10, s33, v28
	v_readfirstlane_b32 s17, v2
	s_mul_i32 s12, s12, s17
	v_add_u32_e32 v22, 0x300, v10
	s_mul_hi_u32 s34, s17, s12
	v_cmp_le_i32_e32 vcc, s10, v22
	s_and_saveexec_b64 s[4:5], vcc
	s_xor_b64 s[6:7], exec, s[4:5]
	s_cbranch_execz .LBB101_59
; %bb.55:
	s_ashr_i32 s5, s29, 31
	s_mov_b32 s4, s29
	s_lshl_b64 s[4:5], s[4:5], 2
	s_add_u32 s4, s20, s4
	s_addc_u32 s5, s21, s5
	s_load_dword s4, s[4:5], 0x0
	s_waitcnt lgkmcnt(0)
	s_sub_i32 s10, s4, s33
	v_cmp_gt_i32_e64 s[4:5], s10, v0
	s_and_saveexec_b64 s[12:13], s[4:5]
	s_cbranch_execz .LBB101_58
; %bb.56:
	s_mov_b32 s4, 0
	s_brev_b32 s5, 1
	v_mul_f64 v[2:3], v[14:15], s[4:5]
	s_mov_b64 s[14:15], 0
	v_mul_f64 v[4:5], v[12:13], 0
	s_sub_i32 s35, s33, s30
	v_mov_b32_e32 v6, s25
	v_mov_b32_e32 v7, v0
	;; [unrolled: 1-line block ×3, first 2 shown]
.LBB101_57:                             ; =>This Inner Loop Header: Depth=1
	v_add_u32_e32 v16, s35, v7
	v_ashrrev_i32_e32 v17, 31, v16
	v_lshlrev_b64 v[16:17], 3, v[16:17]
	v_add_co_u32_e64 v16, s[4:5], s24, v16
	v_addc_co_u32_e64 v17, s[4:5], v6, v17, s[4:5]
	global_load_dwordx2 v[18:19], v[16:17], off
	v_add_u32_e32 v7, 0x100, v7
	v_cmp_le_i32_e64 s[4:5], s10, v7
	s_or_b64 s[14:15], s[4:5], s[14:15]
	s_waitcnt vmcnt(0)
	v_fma_f64 v[16:17], v[12:13], v[18:19], v[2:3]
	v_fma_f64 v[18:19], v[14:15], v[18:19], v[4:5]
	ds_write_b128 v8, v[16:19]
	v_add_u32_e32 v8, 0x1000, v8
	s_andn2_b64 exec, exec, s[14:15]
	s_cbranch_execnz .LBB101_57
.LBB101_58:
	s_or_b64 exec, exec, s[12:13]
                                        ; implicit-def: $vgpr14_vgpr15
                                        ; implicit-def: $vgpr12_vgpr13
.LBB101_59:
	s_or_saveexec_b64 s[6:7], s[6:7]
	s_and_b32 s36, s16, 0xffff
	s_add_i32 s17, s17, s34
	v_ashrrev_i32_e32 v11, 31, v10
	s_xor_b64 exec, exec, s[6:7]
	s_cbranch_execz .LBB101_61
; %bb.60:
	v_lshlrev_b64 v[2:3], 3, v[10:11]
	v_mov_b32_e32 v4, s25
	v_add_co_u32_e64 v2, s[4:5], s24, v2
	v_addc_co_u32_e64 v3, s[4:5], v4, v3, s[4:5]
	s_movk_i32 s4, 0x1000
	global_load_dwordx2 v[8:9], v[2:3], off
	global_load_dwordx2 v[18:19], v[2:3], off offset:2048
	v_add_co_u32_e64 v2, s[4:5], s4, v2
	v_addc_co_u32_e64 v3, s[4:5], 0, v3, s[4:5]
	global_load_dwordx2 v[20:21], v[2:3], off
	global_load_dwordx2 v[24:25], v[2:3], off offset:2048
	s_mov_b32 s4, 0
	s_brev_b32 s5, 1
	v_mul_f64 v[4:5], v[12:13], 0
	v_mul_f64 v[2:3], v[14:15], s[4:5]
	s_waitcnt vmcnt(3)
	v_fma_f64 v[6:7], v[12:13], v[8:9], v[2:3]
	v_fma_f64 v[8:9], v[14:15], v[8:9], v[4:5]
	s_waitcnt vmcnt(2)
	v_fma_f64 v[16:17], v[12:13], v[18:19], v[2:3]
	v_fma_f64 v[18:19], v[14:15], v[18:19], v[4:5]
	ds_write_b128 v1, v[6:9]
	ds_write_b128 v1, v[16:19] offset:4096
	s_waitcnt vmcnt(1)
	v_fma_f64 v[6:7], v[12:13], v[20:21], v[2:3]
	v_fma_f64 v[8:9], v[14:15], v[20:21], v[4:5]
	s_waitcnt vmcnt(0)
	v_fmac_f64_e32 v[2:3], v[12:13], v[24:25]
	v_fmac_f64_e32 v[4:5], v[14:15], v[24:25]
	ds_write_b128 v1, v[6:9] offset:8192
	ds_write_b128 v1, v[2:5] offset:12288
.LBB101_61:
	s_or_b64 exec, exec, s[6:7]
	s_mul_hi_u32 s37, s36, s17
	v_cmp_gt_i32_e64 s[4:5], s11, v0
	s_and_saveexec_b64 s[6:7], s[4:5]
	s_cbranch_execz .LBB101_64
; %bb.62:
	s_mov_b32 s4, 0
	v_mov_b32_e32 v2, 0x4000
	s_mov_b32 s5, s4
	s_mov_b32 s14, s4
	;; [unrolled: 1-line block ×3, first 2 shown]
	v_lshl_add_u32 v6, v0, 4, v2
	s_mov_b64 s[12:13], 0
	v_pk_mov_b32 v[2:3], s[4:5], s[4:5] op_sel:[0,1]
	v_pk_mov_b32 v[4:5], s[14:15], s[14:15] op_sel:[0,1]
	v_mov_b32_e32 v7, v0
.LBB101_63:                             ; =>This Inner Loop Header: Depth=1
	v_add_u32_e32 v7, 0x100, v7
	v_cmp_le_i32_e64 s[4:5], s11, v7
	ds_write2_b64 v6, v[2:3], v[4:5] offset1:1
	s_or_b64 s[12:13], s[4:5], s[12:13]
	v_add_u32_e32 v6, 0x1000, v6
	s_andn2_b64 exec, exec, s[12:13]
	s_cbranch_execnz .LBB101_63
.LBB101_64:
	s_or_b64 exec, exec, s[6:7]
	s_sub_i32 s4, s29, s11
	s_cmp_ge_i32 s29, s11
	s_cselect_b32 s38, s4, 0
	s_waitcnt lgkmcnt(0)
	s_barrier
	s_and_saveexec_b64 s[4:5], vcc
	s_xor_b64 s[12:13], exec, s[4:5]
	s_cbranch_execz .LBB101_85
; %bb.65:
	s_ashr_i32 s5, s29, 31
	s_mov_b32 s4, s29
	s_lshl_b64 s[4:5], s[4:5], 2
	s_add_u32 s4, s20, s4
	s_addc_u32 s5, s21, s5
	s_load_dword s4, s[4:5], 0x0
	s_waitcnt lgkmcnt(0)
	s_sub_i32 s10, s4, s33
	v_cmp_gt_i32_e32 vcc, s10, v0
	s_and_saveexec_b64 s[14:15], vcc
	s_cbranch_execz .LBB101_84
; %bb.66:
	s_add_i32 s39, s29, -1
	s_cmp_gt_i32 s39, s28
	s_cselect_b64 s[6:7], -1, 0
	s_add_i32 s5, s29, -2
	s_cmp_lg_u32 s5, s28
	s_cselect_b64 s[24:25], -1, 0
	s_sub_i32 s40, s4, s30
	s_and_b64 s[4:5], s[6:7], s[24:25]
	v_cndmask_b32_e64 v2, 0, 1, s[4:5]
	s_mov_b32 s41, 0
	s_mov_b64 s[16:17], 0
	v_cmp_ne_u32_e64 s[4:5], 1, v2
	v_mov_b32_e32 v11, s21
	v_mov_b32_e32 v22, s23
	;; [unrolled: 1-line block ×3, first 2 shown]
	s_branch .LBB101_69
.LBB101_67:                             ;   in Loop: Header=BB101_69 Depth=1
	s_or_b64 exec, exec, s[6:7]
.LBB101_68:                             ;   in Loop: Header=BB101_69 Depth=1
	s_or_b64 exec, exec, s[24:25]
	v_ashrrev_i32_e32 v13, 31, v12
	v_lshlrev_b64 v[6:7], 4, v[12:13]
	v_mov_b32_e32 v8, s27
	v_add_co_u32_e32 v6, vcc, s26, v6
	v_addc_co_u32_e32 v7, vcc, v8, v7, vcc
	global_load_dwordx4 v[6:9], v[6:7], off
	s_addk_i32 s41, 0x100
	v_add_u32_e32 v12, s41, v0
	v_cmp_le_i32_e32 vcc, s10, v12
	s_or_b64 s[16:17], vcc, s[16:17]
	s_waitcnt vmcnt(0)
	v_mul_f64 v[12:13], v[8:9], v[14:15]
	v_mul_f64 v[14:15], v[8:9], v[2:3]
	v_fmac_f64_e32 v[12:13], v[2:3], v[6:7]
	v_fmac_f64_e32 v[14:15], v[4:5], v[6:7]
	ds_write_b128 v24, v[12:15]
	s_andn2_b64 exec, exec, s[16:17]
	s_cbranch_execz .LBB101_84
.LBB101_69:                             ; =>This Loop Header: Depth=1
                                        ;     Child Loop BB101_71 Depth 2
                                        ;     Child Loop BB101_78 Depth 2
                                        ;     Child Loop BB101_80 Depth 2
	v_add_u32_e32 v2, s41, v10
	s_and_b64 vcc, exec, s[4:5]
	v_mov_b32_e32 v6, s28
	v_mov_b32_e32 v4, s39
	s_cbranch_vccnz .LBB101_73
; %bb.70:                               ;   in Loop: Header=BB101_69 Depth=1
	s_mov_b64 s[24:25], 0
	v_mov_b32_e32 v6, s28
	v_mov_b32_e32 v4, s39
.LBB101_71:                             ;   Parent Loop BB101_69 Depth=1
                                        ; =>  This Inner Loop Header: Depth=2
	v_add_u32_e32 v3, v4, v6
	v_lshrrev_b32_e32 v7, 31, v3
	v_add_u32_e32 v3, v3, v7
	v_ashrrev_i32_e32 v8, 1, v3
	v_ashrrev_i32_e32 v9, 31, v8
	v_lshlrev_b64 v[12:13], 2, v[8:9]
	v_mov_b32_e32 v5, s21
	v_add_co_u32_e32 v12, vcc, s20, v12
	v_addc_co_u32_e32 v13, vcc, v5, v13, vcc
	global_load_dword v3, v[12:13], off
	s_waitcnt vmcnt(0)
	v_subrev_u32_e32 v3, s30, v3
	v_cmp_gt_i32_e32 vcc, v3, v2
	v_cndmask_b32_e32 v4, v4, v8, vcc
	v_cndmask_b32_e32 v6, v8, v6, vcc
	v_add_u32_e32 v3, -1, v4
	v_cmp_ge_i32_e32 vcc, v6, v4
	v_cmp_eq_u32_e64 s[6:7], v6, v3
	s_or_b64 s[6:7], vcc, s[6:7]
	s_and_b64 s[6:7], exec, s[6:7]
	s_or_b64 s[24:25], s[6:7], s[24:25]
	s_andn2_b64 exec, exec, s[24:25]
	s_cbranch_execnz .LBB101_71
; %bb.72:                               ;   in Loop: Header=BB101_69 Depth=1
	s_or_b64 exec, exec, s[24:25]
.LBB101_73:                             ;   in Loop: Header=BB101_69 Depth=1
	v_ashrrev_i32_e32 v5, 31, v4
	v_lshlrev_b64 v[8:9], 2, v[4:5]
	v_add_co_u32_e32 v8, vcc, s20, v8
	v_addc_co_u32_e32 v9, vcc, v11, v9, vcc
	v_ashrrev_i32_e32 v3, 31, v2
	global_load_dword v5, v[8:9], off
	v_lshlrev_b64 v[8:9], 2, v[2:3]
	v_add_co_u32_e32 v8, vcc, s22, v8
	v_addc_co_u32_e32 v9, vcc, v22, v9, vcc
	global_load_dword v3, v[8:9], off
	v_cmp_le_i32_e32 vcc, s40, v2
	v_lshl_add_u32 v24, s41, 4, v1
                                        ; implicit-def: $vgpr14_vgpr15
	s_waitcnt vmcnt(1)
	v_subrev_u32_e32 v5, s30, v5
	v_cmp_gt_i32_e64 s[6:7], v5, v2
	v_cndmask_b32_e64 v6, v4, v6, s[6:7]
	s_waitcnt vmcnt(0)
	v_subrev_u32_e32 v12, s30, v3
	v_cmp_eq_u32_e64 s[6:7], v12, v6
	s_or_b64 s[6:7], s[6:7], vcc
                                        ; implicit-def: $vgpr2_vgpr3
	s_and_saveexec_b64 s[24:25], s[6:7]
	s_xor_b64 s[6:7], exec, s[24:25]
	s_cbranch_execz .LBB101_75
; %bb.74:                               ;   in Loop: Header=BB101_69 Depth=1
	ds_read_b128 v[2:5], v24
                                        ; implicit-def: $vgpr6
	s_waitcnt lgkmcnt(0)
	v_xor_b32_e32 v15, 0x80000000, v5
	v_mov_b32_e32 v14, v4
.LBB101_75:                             ;   in Loop: Header=BB101_69 Depth=1
	s_andn2_saveexec_b64 s[24:25], s[6:7]
	s_cbranch_execz .LBB101_68
; %bb.76:                               ;   in Loop: Header=BB101_69 Depth=1
	v_ashrrev_i32_e32 v7, 31, v6
	v_lshlrev_b64 v[2:3], 4, v[6:7]
	v_mov_b32_e32 v4, s27
	v_add_co_u32_e32 v2, vcc, s26, v2
	v_addc_co_u32_e32 v3, vcc, v4, v3, vcc
	global_load_dwordx4 v[6:9], v[2:3], off
	ds_read_b128 v[2:5], v24
	v_cmp_gt_i32_e32 vcc, s38, v12
	v_cmp_le_i32_e64 s[6:7], s29, v12
	s_or_b64 s[6:7], vcc, s[6:7]
	s_waitcnt lgkmcnt(0)
	v_xor_b32_e32 v15, 0x80000000, v5
	v_mov_b32_e32 v14, v4
	s_waitcnt vmcnt(0)
	v_mul_f64 v[18:19], v[8:9], -v[4:5]
	v_mul_f64 v[16:17], v[8:9], v[2:3]
	v_fmac_f64_e32 v[18:19], v[2:3], v[6:7]
	v_fmac_f64_e32 v[16:17], v[4:5], v[6:7]
	s_and_saveexec_b64 s[34:35], s[6:7]
	s_xor_b64 s[6:7], exec, s[34:35]
	s_cbranch_execz .LBB101_82
; %bb.77:                               ;   in Loop: Header=BB101_69 Depth=1
	v_ashrrev_i32_e32 v13, 31, v12
	v_lshlrev_b64 v[6:7], 4, v[12:13]
	v_mov_b32_e32 v8, s19
	v_add_co_u32_e32 v20, vcc, s18, v6
	v_addc_co_u32_e32 v21, vcc, v8, v7, vcc
	global_load_dwordx2 v[8:9], v[20:21], off
	s_mov_b64 s[34:35], 0
.LBB101_78:                             ;   Parent Loop BB101_69 Depth=1
                                        ; =>  This Inner Loop Header: Depth=2
	s_waitcnt vmcnt(0)
	v_add_f64 v[6:7], v[8:9], v[18:19]
	global_atomic_cmpswap_x2 v[6:7], v[20:21], v[6:9], off glc
	s_waitcnt vmcnt(0)
	v_cmp_eq_u64_e32 vcc, v[6:7], v[8:9]
	s_or_b64 s[34:35], vcc, s[34:35]
	v_pk_mov_b32 v[8:9], v[6:7], v[6:7] op_sel:[0,1]
	s_andn2_b64 exec, exec, s[34:35]
	s_cbranch_execnz .LBB101_78
; %bb.79:                               ;   in Loop: Header=BB101_69 Depth=1
	s_or_b64 exec, exec, s[34:35]
	global_load_dwordx2 v[8:9], v[20:21], off offset:8
	s_mov_b64 s[34:35], 0
.LBB101_80:                             ;   Parent Loop BB101_69 Depth=1
                                        ; =>  This Inner Loop Header: Depth=2
	s_waitcnt vmcnt(0)
	v_add_f64 v[6:7], v[8:9], v[16:17]
	global_atomic_cmpswap_x2 v[6:7], v[20:21], v[6:9], off offset:8 glc
	s_waitcnt vmcnt(0)
	v_cmp_eq_u64_e32 vcc, v[6:7], v[8:9]
	s_or_b64 s[34:35], vcc, s[34:35]
	v_pk_mov_b32 v[8:9], v[6:7], v[6:7] op_sel:[0,1]
	s_andn2_b64 exec, exec, s[34:35]
	s_cbranch_execnz .LBB101_80
; %bb.81:                               ;   in Loop: Header=BB101_69 Depth=1
	s_or_b64 exec, exec, s[34:35]
                                        ; implicit-def: $vgpr18_vgpr19
                                        ; implicit-def: $vgpr16_vgpr17
.LBB101_82:                             ;   in Loop: Header=BB101_69 Depth=1
	s_andn2_saveexec_b64 s[6:7], s[6:7]
	s_cbranch_execz .LBB101_67
; %bb.83:                               ;   in Loop: Header=BB101_69 Depth=1
	v_subrev_u32_e32 v6, s38, v12
	v_lshl_add_u32 v6, v6, 4, v23
	ds_add_f64 v6, v[18:19]
	ds_add_f64 v6, v[16:17] offset:8
	s_branch .LBB101_67
.LBB101_84:
	s_or_b64 exec, exec, s[14:15]
                                        ; implicit-def: $vgpr22
                                        ; implicit-def: $vgpr10
.LBB101_85:
	s_andn2_saveexec_b64 s[12:13], s[12:13]
	s_cbranch_execz .LBB101_159
; %bb.86:
	s_add_i32 s10, s29, -1
	s_cmp_le_i32 s10, s28
	s_cselect_b64 s[4:5], -1, 0
	s_add_i32 s6, s29, -2
	s_cmp_eq_u32 s6, s28
	s_cselect_b64 s[6:7], -1, 0
	s_or_b64 s[6:7], s[4:5], s[6:7]
	s_and_b64 vcc, exec, s[6:7]
	v_mov_b32_e32 v4, s28
	v_mov_b32_e32 v2, s10
	s_cbranch_vccnz .LBB101_90
; %bb.87:
	s_mov_b64 s[14:15], 0
	v_mov_b32_e32 v4, s28
	v_mov_b32_e32 v2, s10
	;; [unrolled: 1-line block ×3, first 2 shown]
.LBB101_88:                             ; =>This Inner Loop Header: Depth=1
	v_add_u32_e32 v5, v2, v4
	v_lshrrev_b32_e32 v6, 31, v5
	v_add_u32_e32 v5, v5, v6
	v_ashrrev_i32_e32 v6, 1, v5
	v_ashrrev_i32_e32 v7, 31, v6
	v_lshlrev_b64 v[8:9], 2, v[6:7]
	v_add_co_u32_e32 v8, vcc, s20, v8
	v_addc_co_u32_e32 v9, vcc, v3, v9, vcc
	global_load_dword v5, v[8:9], off
	s_waitcnt vmcnt(0)
	v_subrev_u32_e32 v5, s30, v5
	v_cmp_gt_i32_e32 vcc, v5, v10
	v_cndmask_b32_e32 v2, v2, v6, vcc
	v_cndmask_b32_e32 v4, v6, v4, vcc
	v_add_u32_e32 v5, -1, v2
	v_cmp_ge_i32_e32 vcc, v4, v2
	v_cmp_eq_u32_e64 s[4:5], v4, v5
	s_or_b64 s[4:5], vcc, s[4:5]
	s_and_b64 s[4:5], exec, s[4:5]
	s_or_b64 s[14:15], s[4:5], s[14:15]
	s_andn2_b64 exec, exec, s[14:15]
	s_cbranch_execnz .LBB101_88
; %bb.89:
	s_or_b64 exec, exec, s[14:15]
.LBB101_90:
	v_ashrrev_i32_e32 v3, 31, v2
	v_lshlrev_b64 v[6:7], 2, v[2:3]
	v_mov_b32_e32 v3, s21
	v_add_co_u32_e32 v6, vcc, s20, v6
	v_addc_co_u32_e32 v7, vcc, v3, v7, vcc
	global_load_dword v3, v[6:7], off
	v_lshlrev_b64 v[6:7], 2, v[10:11]
	v_mov_b32_e32 v5, s23
	v_add_co_u32_e32 v12, vcc, s22, v6
	v_addc_co_u32_e32 v13, vcc, v5, v7, vcc
	global_load_dword v5, v[12:13], off
	s_ashr_i32 s5, s29, 31
	s_mov_b32 s4, s29
	s_xor_b64 s[6:7], s[6:7], -1
	s_lshl_b64 s[4:5], s[4:5], 2
	s_add_u32 s14, s20, s4
	s_addc_u32 s15, s21, s5
	s_waitcnt vmcnt(1)
	v_subrev_u32_e32 v3, s30, v3
	v_cmp_gt_i32_e32 vcc, v3, v10
	v_cndmask_b32_e32 v6, v2, v4, vcc
                                        ; implicit-def: $vgpr2_vgpr3
	s_waitcnt vmcnt(0)
	v_subrev_u32_e32 v14, s30, v5
	v_cmp_ne_u32_e32 vcc, v14, v6
	s_and_saveexec_b64 s[4:5], vcc
	s_xor_b64 s[16:17], exec, s[4:5]
	s_cbranch_execz .LBB101_102
; %bb.91:
	s_load_dword s4, s[14:15], 0x0
	ds_read_b128 v[2:5], v1
	s_waitcnt lgkmcnt(0)
	s_sub_i32 s4, s4, s30
	v_cmp_gt_i32_e32 vcc, s4, v10
	s_and_saveexec_b64 s[22:23], vcc
	s_cbranch_execz .LBB101_101
; %bb.92:
	v_ashrrev_i32_e32 v7, 31, v6
	v_lshlrev_b64 v[6:7], 4, v[6:7]
	v_mov_b32_e32 v8, s27
	v_add_co_u32_e32 v6, vcc, s26, v6
	v_addc_co_u32_e32 v7, vcc, v8, v7, vcc
	global_load_dwordx4 v[6:9], v[6:7], off
	v_cmp_gt_i32_e32 vcc, s38, v14
	v_cmp_le_i32_e64 s[4:5], s29, v14
	s_or_b64 s[4:5], vcc, s[4:5]
	s_waitcnt vmcnt(0)
	v_mul_f64 v[18:19], v[8:9], -v[4:5]
	v_mul_f64 v[16:17], v[8:9], v[2:3]
	v_fmac_f64_e32 v[18:19], v[2:3], v[6:7]
	v_fmac_f64_e32 v[16:17], v[4:5], v[6:7]
	s_and_saveexec_b64 s[24:25], s[4:5]
	s_xor_b64 s[4:5], exec, s[24:25]
	s_cbranch_execz .LBB101_98
; %bb.93:
	v_ashrrev_i32_e32 v15, 31, v14
	v_lshlrev_b64 v[6:7], 4, v[14:15]
	v_mov_b32_e32 v8, s19
	v_add_co_u32_e32 v20, vcc, s18, v6
	v_addc_co_u32_e32 v21, vcc, v8, v7, vcc
	global_load_dwordx2 v[8:9], v[20:21], off
	s_mov_b64 s[24:25], 0
.LBB101_94:                             ; =>This Inner Loop Header: Depth=1
	s_waitcnt vmcnt(0)
	v_add_f64 v[6:7], v[8:9], v[18:19]
	global_atomic_cmpswap_x2 v[6:7], v[20:21], v[6:9], off glc
	s_waitcnt vmcnt(0)
	v_cmp_eq_u64_e32 vcc, v[6:7], v[8:9]
	s_or_b64 s[24:25], vcc, s[24:25]
	v_pk_mov_b32 v[8:9], v[6:7], v[6:7] op_sel:[0,1]
	s_andn2_b64 exec, exec, s[24:25]
	s_cbranch_execnz .LBB101_94
; %bb.95:
	s_or_b64 exec, exec, s[24:25]
	global_load_dwordx2 v[8:9], v[20:21], off offset:8
	s_mov_b64 s[24:25], 0
.LBB101_96:                             ; =>This Inner Loop Header: Depth=1
	s_waitcnt vmcnt(0)
	v_add_f64 v[6:7], v[8:9], v[16:17]
	global_atomic_cmpswap_x2 v[6:7], v[20:21], v[6:9], off offset:8 glc
	s_waitcnt vmcnt(0)
	v_cmp_eq_u64_e32 vcc, v[6:7], v[8:9]
	s_or_b64 s[24:25], vcc, s[24:25]
	v_pk_mov_b32 v[8:9], v[6:7], v[6:7] op_sel:[0,1]
	s_andn2_b64 exec, exec, s[24:25]
	s_cbranch_execnz .LBB101_96
; %bb.97:
	s_or_b64 exec, exec, s[24:25]
                                        ; implicit-def: $vgpr18_vgpr19
                                        ; implicit-def: $vgpr16_vgpr17
.LBB101_98:
	s_andn2_saveexec_b64 s[4:5], s[4:5]
	s_cbranch_execz .LBB101_100
; %bb.99:
	v_subrev_u32_e32 v6, s38, v14
	v_mov_b32_e32 v7, 0x4000
	v_lshl_add_u32 v6, v6, 4, v7
	ds_add_f64 v6, v[18:19]
	ds_add_f64 v6, v[16:17] offset:8
.LBB101_100:
	s_or_b64 exec, exec, s[4:5]
.LBB101_101:
	s_or_b64 exec, exec, s[22:23]
.LBB101_102:
	s_andn2_saveexec_b64 s[4:5], s[16:17]
	s_cbranch_execz .LBB101_104
; %bb.103:
	ds_read_b128 v[2:5], v1
.LBB101_104:
	s_or_b64 exec, exec, s[4:5]
	v_ashrrev_i32_e32 v15, 31, v14
	v_lshlrev_b64 v[6:7], 4, v[14:15]
	v_mov_b32_e32 v8, s27
	v_add_co_u32_e32 v6, vcc, s26, v6
	v_addc_co_u32_e32 v7, vcc, v8, v7, vcc
	global_load_dwordx4 v[14:17], v[6:7], off
	v_cndmask_b32_e64 v8, 0, 1, s[6:7]
	v_add_u32_e32 v7, 0x100, v10
	v_mov_b32_e32 v6, s28
	v_cmp_ne_u32_e64 s[4:5], 1, v8
	s_andn2_b64 vcc, exec, s[6:7]
	s_waitcnt vmcnt(0) lgkmcnt(0)
	v_mul_f64 v[18:19], v[16:17], -v[4:5]
	v_mul_f64 v[20:21], v[16:17], v[2:3]
	v_fmac_f64_e32 v[18:19], v[2:3], v[14:15]
	v_fmac_f64_e32 v[20:21], v[4:5], v[14:15]
	v_mov_b32_e32 v2, s10
	ds_write_b128 v1, v[18:21]
	s_cbranch_vccnz .LBB101_108
; %bb.105:
	s_mov_b64 s[16:17], 0
	v_mov_b32_e32 v6, s28
	v_mov_b32_e32 v2, s10
	;; [unrolled: 1-line block ×3, first 2 shown]
.LBB101_106:                            ; =>This Inner Loop Header: Depth=1
	v_add_u32_e32 v4, v2, v6
	v_lshrrev_b32_e32 v5, 31, v4
	v_add_u32_e32 v4, v4, v5
	v_ashrrev_i32_e32 v4, 1, v4
	v_ashrrev_i32_e32 v5, 31, v4
	v_lshlrev_b64 v[8:9], 2, v[4:5]
	v_add_co_u32_e32 v8, vcc, s20, v8
	v_addc_co_u32_e32 v9, vcc, v3, v9, vcc
	global_load_dword v5, v[8:9], off
	s_waitcnt vmcnt(0)
	v_subrev_u32_e32 v5, s30, v5
	v_cmp_gt_i32_e32 vcc, v5, v7
	v_cndmask_b32_e32 v2, v2, v4, vcc
	v_cndmask_b32_e32 v6, v4, v6, vcc
	v_add_u32_e32 v4, -1, v2
	v_cmp_ge_i32_e32 vcc, v6, v2
	v_cmp_eq_u32_e64 s[6:7], v6, v4
	s_or_b64 s[6:7], vcc, s[6:7]
	s_and_b64 s[6:7], exec, s[6:7]
	s_or_b64 s[16:17], s[6:7], s[16:17]
	s_andn2_b64 exec, exec, s[16:17]
	s_cbranch_execnz .LBB101_106
; %bb.107:
	s_or_b64 exec, exec, s[16:17]
.LBB101_108:
	v_ashrrev_i32_e32 v3, 31, v2
	v_lshlrev_b64 v[4:5], 2, v[2:3]
	v_mov_b32_e32 v3, s21
	v_add_co_u32_e32 v4, vcc, s20, v4
	v_addc_co_u32_e32 v5, vcc, v3, v5, vcc
	global_load_dword v3, v[4:5], off
	global_load_dword v8, v[12:13], off offset:1024
	s_waitcnt vmcnt(1)
	v_subrev_u32_e32 v3, s30, v3
	v_cmp_gt_i32_e32 vcc, v3, v7
	v_cndmask_b32_e32 v6, v2, v6, vcc
	s_waitcnt vmcnt(0)
	v_subrev_u32_e32 v14, s30, v8
	v_cmp_ne_u32_e32 vcc, v14, v6
                                        ; implicit-def: $vgpr2_vgpr3
	s_and_saveexec_b64 s[6:7], vcc
	s_xor_b64 s[16:17], exec, s[6:7]
	s_cbranch_execz .LBB101_120
; %bb.109:
	s_load_dword s6, s[14:15], 0x0
	ds_read_b128 v[2:5], v1 offset:4096
	s_waitcnt lgkmcnt(0)
	s_sub_i32 s6, s6, s30
	v_cmp_gt_i32_e32 vcc, s6, v7
	s_and_saveexec_b64 s[22:23], vcc
	s_cbranch_execz .LBB101_119
; %bb.110:
	v_ashrrev_i32_e32 v7, 31, v6
	v_lshlrev_b64 v[6:7], 4, v[6:7]
	v_mov_b32_e32 v8, s27
	v_add_co_u32_e32 v6, vcc, s26, v6
	v_addc_co_u32_e32 v7, vcc, v8, v7, vcc
	global_load_dwordx4 v[6:9], v[6:7], off
	v_cmp_gt_i32_e32 vcc, s38, v14
	v_cmp_le_i32_e64 s[6:7], s29, v14
	s_or_b64 s[6:7], vcc, s[6:7]
	s_waitcnt vmcnt(0)
	v_mul_f64 v[18:19], v[8:9], -v[4:5]
	v_mul_f64 v[16:17], v[8:9], v[2:3]
	v_fmac_f64_e32 v[18:19], v[2:3], v[6:7]
	v_fmac_f64_e32 v[16:17], v[4:5], v[6:7]
	s_and_saveexec_b64 s[24:25], s[6:7]
	s_xor_b64 s[6:7], exec, s[24:25]
	s_cbranch_execz .LBB101_116
; %bb.111:
	v_ashrrev_i32_e32 v15, 31, v14
	v_lshlrev_b64 v[6:7], 4, v[14:15]
	v_mov_b32_e32 v8, s19
	v_add_co_u32_e32 v20, vcc, s18, v6
	v_addc_co_u32_e32 v21, vcc, v8, v7, vcc
	global_load_dwordx2 v[8:9], v[20:21], off
	s_mov_b64 s[24:25], 0
.LBB101_112:                            ; =>This Inner Loop Header: Depth=1
	s_waitcnt vmcnt(0)
	v_add_f64 v[6:7], v[8:9], v[18:19]
	global_atomic_cmpswap_x2 v[6:7], v[20:21], v[6:9], off glc
	s_waitcnt vmcnt(0)
	v_cmp_eq_u64_e32 vcc, v[6:7], v[8:9]
	s_or_b64 s[24:25], vcc, s[24:25]
	v_pk_mov_b32 v[8:9], v[6:7], v[6:7] op_sel:[0,1]
	s_andn2_b64 exec, exec, s[24:25]
	s_cbranch_execnz .LBB101_112
; %bb.113:
	s_or_b64 exec, exec, s[24:25]
	global_load_dwordx2 v[8:9], v[20:21], off offset:8
	s_mov_b64 s[24:25], 0
.LBB101_114:                            ; =>This Inner Loop Header: Depth=1
	s_waitcnt vmcnt(0)
	v_add_f64 v[6:7], v[8:9], v[16:17]
	global_atomic_cmpswap_x2 v[6:7], v[20:21], v[6:9], off offset:8 glc
	s_waitcnt vmcnt(0)
	v_cmp_eq_u64_e32 vcc, v[6:7], v[8:9]
	s_or_b64 s[24:25], vcc, s[24:25]
	v_pk_mov_b32 v[8:9], v[6:7], v[6:7] op_sel:[0,1]
	s_andn2_b64 exec, exec, s[24:25]
	s_cbranch_execnz .LBB101_114
; %bb.115:
	s_or_b64 exec, exec, s[24:25]
                                        ; implicit-def: $vgpr18_vgpr19
                                        ; implicit-def: $vgpr16_vgpr17
.LBB101_116:
	s_andn2_saveexec_b64 s[6:7], s[6:7]
	s_cbranch_execz .LBB101_118
; %bb.117:
	v_subrev_u32_e32 v6, s38, v14
	v_mov_b32_e32 v7, 0x4000
	v_lshl_add_u32 v6, v6, 4, v7
	ds_add_f64 v6, v[18:19]
	ds_add_f64 v6, v[16:17] offset:8
.LBB101_118:
	s_or_b64 exec, exec, s[6:7]
.LBB101_119:
	s_or_b64 exec, exec, s[22:23]
.LBB101_120:
	s_andn2_saveexec_b64 s[6:7], s[16:17]
	s_cbranch_execz .LBB101_122
; %bb.121:
	ds_read_b128 v[2:5], v1 offset:4096
.LBB101_122:
	s_or_b64 exec, exec, s[6:7]
	v_ashrrev_i32_e32 v15, 31, v14
	v_lshlrev_b64 v[6:7], 4, v[14:15]
	v_mov_b32_e32 v8, s27
	v_add_co_u32_e32 v6, vcc, s26, v6
	v_addc_co_u32_e32 v7, vcc, v8, v7, vcc
	global_load_dwordx4 v[14:17], v[6:7], off
	v_add_u32_e32 v7, 0x200, v10
	s_and_b64 vcc, exec, s[4:5]
	v_mov_b32_e32 v6, s28
	s_waitcnt vmcnt(0) lgkmcnt(0)
	v_mul_f64 v[8:9], v[16:17], -v[4:5]
	v_mul_f64 v[10:11], v[16:17], v[2:3]
	v_fmac_f64_e32 v[8:9], v[2:3], v[14:15]
	v_fmac_f64_e32 v[10:11], v[4:5], v[14:15]
	v_mov_b32_e32 v2, s10
	ds_write_b128 v1, v[8:11] offset:4096
	s_cbranch_vccnz .LBB101_126
; %bb.123:
	s_mov_b64 s[16:17], 0
	v_mov_b32_e32 v6, s28
	v_mov_b32_e32 v2, s10
	v_mov_b32_e32 v3, s21
.LBB101_124:                            ; =>This Inner Loop Header: Depth=1
	v_add_u32_e32 v4, v2, v6
	v_lshrrev_b32_e32 v5, 31, v4
	v_add_u32_e32 v4, v4, v5
	v_ashrrev_i32_e32 v4, 1, v4
	v_ashrrev_i32_e32 v5, 31, v4
	v_lshlrev_b64 v[8:9], 2, v[4:5]
	v_add_co_u32_e32 v8, vcc, s20, v8
	v_addc_co_u32_e32 v9, vcc, v3, v9, vcc
	global_load_dword v5, v[8:9], off
	s_waitcnt vmcnt(0)
	v_subrev_u32_e32 v5, s30, v5
	v_cmp_gt_i32_e32 vcc, v5, v7
	v_cndmask_b32_e32 v2, v2, v4, vcc
	v_cndmask_b32_e32 v6, v4, v6, vcc
	v_add_u32_e32 v4, -1, v2
	v_cmp_ge_i32_e32 vcc, v6, v2
	v_cmp_eq_u32_e64 s[6:7], v6, v4
	s_or_b64 s[6:7], vcc, s[6:7]
	s_and_b64 s[6:7], exec, s[6:7]
	s_or_b64 s[16:17], s[6:7], s[16:17]
	s_andn2_b64 exec, exec, s[16:17]
	s_cbranch_execnz .LBB101_124
; %bb.125:
	s_or_b64 exec, exec, s[16:17]
.LBB101_126:
	v_ashrrev_i32_e32 v3, 31, v2
	v_lshlrev_b64 v[4:5], 2, v[2:3]
	v_mov_b32_e32 v3, s21
	v_add_co_u32_e32 v4, vcc, s20, v4
	v_addc_co_u32_e32 v5, vcc, v3, v5, vcc
	global_load_dword v3, v[4:5], off
	global_load_dword v8, v[12:13], off offset:2048
	s_waitcnt vmcnt(1)
	v_subrev_u32_e32 v3, s30, v3
	v_cmp_gt_i32_e32 vcc, v3, v7
	v_cndmask_b32_e32 v6, v2, v6, vcc
	s_waitcnt vmcnt(0)
	v_subrev_u32_e32 v10, s30, v8
	v_cmp_ne_u32_e32 vcc, v10, v6
                                        ; implicit-def: $vgpr2_vgpr3
	s_and_saveexec_b64 s[6:7], vcc
	s_xor_b64 s[16:17], exec, s[6:7]
	s_cbranch_execz .LBB101_138
; %bb.127:
	s_load_dword s6, s[14:15], 0x0
	ds_read_b128 v[2:5], v1 offset:8192
	s_waitcnt lgkmcnt(0)
	s_sub_i32 s6, s6, s30
	v_cmp_gt_i32_e32 vcc, s6, v7
	s_and_saveexec_b64 s[22:23], vcc
	s_cbranch_execz .LBB101_137
; %bb.128:
	v_ashrrev_i32_e32 v7, 31, v6
	v_lshlrev_b64 v[6:7], 4, v[6:7]
	v_mov_b32_e32 v8, s27
	v_add_co_u32_e32 v6, vcc, s26, v6
	v_addc_co_u32_e32 v7, vcc, v8, v7, vcc
	global_load_dwordx4 v[6:9], v[6:7], off
	v_cmp_gt_i32_e32 vcc, s38, v10
	v_cmp_le_i32_e64 s[6:7], s29, v10
	s_or_b64 s[6:7], vcc, s[6:7]
	s_waitcnt vmcnt(0)
	v_mul_f64 v[16:17], v[8:9], -v[4:5]
	v_mul_f64 v[14:15], v[8:9], v[2:3]
	v_fmac_f64_e32 v[16:17], v[2:3], v[6:7]
	v_fmac_f64_e32 v[14:15], v[4:5], v[6:7]
	s_and_saveexec_b64 s[24:25], s[6:7]
	s_xor_b64 s[6:7], exec, s[24:25]
	s_cbranch_execz .LBB101_134
; %bb.129:
	v_ashrrev_i32_e32 v11, 31, v10
	v_lshlrev_b64 v[6:7], 4, v[10:11]
	v_mov_b32_e32 v8, s19
	v_add_co_u32_e32 v18, vcc, s18, v6
	v_addc_co_u32_e32 v19, vcc, v8, v7, vcc
	global_load_dwordx2 v[8:9], v[18:19], off
	s_mov_b64 s[24:25], 0
.LBB101_130:                            ; =>This Inner Loop Header: Depth=1
	s_waitcnt vmcnt(0)
	v_add_f64 v[6:7], v[8:9], v[16:17]
	global_atomic_cmpswap_x2 v[6:7], v[18:19], v[6:9], off glc
	s_waitcnt vmcnt(0)
	v_cmp_eq_u64_e32 vcc, v[6:7], v[8:9]
	s_or_b64 s[24:25], vcc, s[24:25]
	v_pk_mov_b32 v[8:9], v[6:7], v[6:7] op_sel:[0,1]
	s_andn2_b64 exec, exec, s[24:25]
	s_cbranch_execnz .LBB101_130
; %bb.131:
	s_or_b64 exec, exec, s[24:25]
	global_load_dwordx2 v[8:9], v[18:19], off offset:8
	s_mov_b64 s[24:25], 0
.LBB101_132:                            ; =>This Inner Loop Header: Depth=1
	s_waitcnt vmcnt(0)
	v_add_f64 v[6:7], v[8:9], v[14:15]
	global_atomic_cmpswap_x2 v[6:7], v[18:19], v[6:9], off offset:8 glc
	s_waitcnt vmcnt(0)
	v_cmp_eq_u64_e32 vcc, v[6:7], v[8:9]
	s_or_b64 s[24:25], vcc, s[24:25]
	v_pk_mov_b32 v[8:9], v[6:7], v[6:7] op_sel:[0,1]
	s_andn2_b64 exec, exec, s[24:25]
	s_cbranch_execnz .LBB101_132
; %bb.133:
	s_or_b64 exec, exec, s[24:25]
                                        ; implicit-def: $vgpr16_vgpr17
                                        ; implicit-def: $vgpr14_vgpr15
.LBB101_134:
	s_andn2_saveexec_b64 s[6:7], s[6:7]
	s_cbranch_execz .LBB101_136
; %bb.135:
	v_subrev_u32_e32 v6, s38, v10
	v_mov_b32_e32 v7, 0x4000
	v_lshl_add_u32 v6, v6, 4, v7
	ds_add_f64 v6, v[16:17]
	ds_add_f64 v6, v[14:15] offset:8
.LBB101_136:
	s_or_b64 exec, exec, s[6:7]
.LBB101_137:
	s_or_b64 exec, exec, s[22:23]
.LBB101_138:
	s_andn2_saveexec_b64 s[6:7], s[16:17]
	s_cbranch_execz .LBB101_140
; %bb.139:
	ds_read_b128 v[2:5], v1 offset:8192
.LBB101_140:
	s_or_b64 exec, exec, s[6:7]
	v_ashrrev_i32_e32 v11, 31, v10
	v_lshlrev_b64 v[6:7], 4, v[10:11]
	v_mov_b32_e32 v8, s27
	v_add_co_u32_e32 v6, vcc, s26, v6
	v_addc_co_u32_e32 v7, vcc, v8, v7, vcc
	global_load_dwordx4 v[8:11], v[6:7], off
	s_and_b64 vcc, exec, s[4:5]
	v_mov_b32_e32 v6, s28
	s_waitcnt vmcnt(0) lgkmcnt(0)
	v_mul_f64 v[14:15], v[10:11], -v[4:5]
	v_mul_f64 v[16:17], v[10:11], v[2:3]
	v_fmac_f64_e32 v[14:15], v[2:3], v[8:9]
	v_fmac_f64_e32 v[16:17], v[4:5], v[8:9]
	v_mov_b32_e32 v2, s10
	ds_write_b128 v1, v[14:17] offset:8192
	s_cbranch_vccnz .LBB101_144
; %bb.141:
	s_mov_b64 s[6:7], 0
	v_mov_b32_e32 v6, s28
	v_mov_b32_e32 v2, s10
	;; [unrolled: 1-line block ×3, first 2 shown]
.LBB101_142:                            ; =>This Inner Loop Header: Depth=1
	v_add_u32_e32 v4, v2, v6
	v_lshrrev_b32_e32 v5, 31, v4
	v_add_u32_e32 v4, v4, v5
	v_ashrrev_i32_e32 v4, 1, v4
	v_ashrrev_i32_e32 v5, 31, v4
	v_lshlrev_b64 v[8:9], 2, v[4:5]
	v_add_co_u32_e32 v8, vcc, s20, v8
	v_addc_co_u32_e32 v9, vcc, v3, v9, vcc
	global_load_dword v5, v[8:9], off
	s_waitcnt vmcnt(0)
	v_subrev_u32_e32 v5, s30, v5
	v_cmp_gt_i32_e32 vcc, v5, v22
	v_cndmask_b32_e32 v2, v2, v4, vcc
	v_cndmask_b32_e32 v6, v4, v6, vcc
	v_add_u32_e32 v4, -1, v2
	v_cmp_ge_i32_e32 vcc, v6, v2
	v_cmp_eq_u32_e64 s[4:5], v6, v4
	s_or_b64 s[4:5], vcc, s[4:5]
	s_and_b64 s[4:5], exec, s[4:5]
	s_or_b64 s[6:7], s[4:5], s[6:7]
	s_andn2_b64 exec, exec, s[6:7]
	s_cbranch_execnz .LBB101_142
; %bb.143:
	s_or_b64 exec, exec, s[6:7]
.LBB101_144:
	v_ashrrev_i32_e32 v3, 31, v2
	v_lshlrev_b64 v[4:5], 2, v[2:3]
	v_mov_b32_e32 v3, s21
	v_add_co_u32_e32 v4, vcc, s20, v4
	v_addc_co_u32_e32 v5, vcc, v3, v5, vcc
	global_load_dword v3, v[4:5], off
	global_load_dword v7, v[12:13], off offset:3072
	s_waitcnt vmcnt(1)
	v_subrev_u32_e32 v3, s30, v3
	v_cmp_gt_i32_e32 vcc, v3, v22
	v_cndmask_b32_e32 v6, v2, v6, vcc
	s_waitcnt vmcnt(0)
	v_subrev_u32_e32 v10, s30, v7
	v_cmp_ne_u32_e32 vcc, v10, v6
                                        ; implicit-def: $vgpr2_vgpr3
	s_and_saveexec_b64 s[4:5], vcc
	s_xor_b64 s[6:7], exec, s[4:5]
	s_cbranch_execz .LBB101_156
; %bb.145:
	s_load_dword s4, s[14:15], 0x0
	ds_read_b128 v[2:5], v1 offset:12288
	s_waitcnt lgkmcnt(0)
	s_sub_i32 s4, s4, s30
	v_cmp_gt_i32_e32 vcc, s4, v22
	s_and_saveexec_b64 s[14:15], vcc
	s_cbranch_execz .LBB101_155
; %bb.146:
	v_ashrrev_i32_e32 v7, 31, v6
	v_lshlrev_b64 v[6:7], 4, v[6:7]
	v_mov_b32_e32 v8, s27
	v_add_co_u32_e32 v6, vcc, s26, v6
	v_addc_co_u32_e32 v7, vcc, v8, v7, vcc
	global_load_dwordx4 v[6:9], v[6:7], off
	v_cmp_gt_i32_e32 vcc, s38, v10
	v_cmp_le_i32_e64 s[4:5], s29, v10
	s_or_b64 s[4:5], vcc, s[4:5]
	s_waitcnt vmcnt(0)
	v_mul_f64 v[14:15], v[8:9], -v[4:5]
	v_mul_f64 v[12:13], v[8:9], v[2:3]
	v_fmac_f64_e32 v[14:15], v[2:3], v[6:7]
	v_fmac_f64_e32 v[12:13], v[4:5], v[6:7]
	s_and_saveexec_b64 s[16:17], s[4:5]
	s_xor_b64 s[4:5], exec, s[16:17]
	s_cbranch_execz .LBB101_152
; %bb.147:
	v_ashrrev_i32_e32 v11, 31, v10
	v_lshlrev_b64 v[6:7], 4, v[10:11]
	v_mov_b32_e32 v8, s19
	v_add_co_u32_e32 v16, vcc, s18, v6
	v_addc_co_u32_e32 v17, vcc, v8, v7, vcc
	global_load_dwordx2 v[8:9], v[16:17], off
	s_mov_b64 s[16:17], 0
.LBB101_148:                            ; =>This Inner Loop Header: Depth=1
	s_waitcnt vmcnt(0)
	v_add_f64 v[6:7], v[8:9], v[14:15]
	global_atomic_cmpswap_x2 v[6:7], v[16:17], v[6:9], off glc
	s_waitcnt vmcnt(0)
	v_cmp_eq_u64_e32 vcc, v[6:7], v[8:9]
	s_or_b64 s[16:17], vcc, s[16:17]
	v_pk_mov_b32 v[8:9], v[6:7], v[6:7] op_sel:[0,1]
	s_andn2_b64 exec, exec, s[16:17]
	s_cbranch_execnz .LBB101_148
; %bb.149:
	s_or_b64 exec, exec, s[16:17]
	global_load_dwordx2 v[8:9], v[16:17], off offset:8
	s_mov_b64 s[16:17], 0
.LBB101_150:                            ; =>This Inner Loop Header: Depth=1
	s_waitcnt vmcnt(0)
	v_add_f64 v[6:7], v[8:9], v[12:13]
	global_atomic_cmpswap_x2 v[6:7], v[16:17], v[6:9], off offset:8 glc
	s_waitcnt vmcnt(0)
	v_cmp_eq_u64_e32 vcc, v[6:7], v[8:9]
	s_or_b64 s[16:17], vcc, s[16:17]
	v_pk_mov_b32 v[8:9], v[6:7], v[6:7] op_sel:[0,1]
	s_andn2_b64 exec, exec, s[16:17]
	s_cbranch_execnz .LBB101_150
; %bb.151:
	s_or_b64 exec, exec, s[16:17]
                                        ; implicit-def: $vgpr14_vgpr15
                                        ; implicit-def: $vgpr12_vgpr13
.LBB101_152:
	s_andn2_saveexec_b64 s[4:5], s[4:5]
	s_cbranch_execz .LBB101_154
; %bb.153:
	v_subrev_u32_e32 v6, s38, v10
	v_mov_b32_e32 v7, 0x4000
	v_lshl_add_u32 v6, v6, 4, v7
	ds_add_f64 v6, v[14:15]
	ds_add_f64 v6, v[12:13] offset:8
.LBB101_154:
	s_or_b64 exec, exec, s[4:5]
.LBB101_155:
	s_or_b64 exec, exec, s[14:15]
.LBB101_156:
	s_andn2_saveexec_b64 s[4:5], s[6:7]
	s_cbranch_execz .LBB101_158
; %bb.157:
	ds_read_b128 v[2:5], v1 offset:12288
.LBB101_158:
	s_or_b64 exec, exec, s[4:5]
	v_ashrrev_i32_e32 v11, 31, v10
	v_lshlrev_b64 v[6:7], 4, v[10:11]
	v_mov_b32_e32 v8, s27
	v_add_co_u32_e32 v6, vcc, s26, v6
	v_addc_co_u32_e32 v7, vcc, v8, v7, vcc
	global_load_dwordx4 v[6:9], v[6:7], off
	s_waitcnt vmcnt(0) lgkmcnt(0)
	v_mul_f64 v[10:11], v[8:9], -v[4:5]
	v_mul_f64 v[12:13], v[8:9], v[2:3]
	v_fmac_f64_e32 v[10:11], v[2:3], v[6:7]
	v_fmac_f64_e32 v[12:13], v[4:5], v[6:7]
	ds_write_b128 v1, v[10:13] offset:12288
.LBB101_159:
	s_or_b64 exec, exec, s[12:13]
	s_min_i32 s12, s29, s11
	s_sub_i32 s14, s12, s31
	v_cmp_gt_i32_e32 vcc, s14, v0
	s_waitcnt lgkmcnt(0)
	s_barrier
	s_and_saveexec_b64 s[4:5], vcc
	s_cbranch_execz .LBB101_166
; %bb.160:
	s_mov_b64 s[6:7], 0
	v_mov_b32_e32 v12, s19
	v_mov_b32_e32 v13, 0x4000
	;; [unrolled: 1-line block ×3, first 2 shown]
.LBB101_161:                            ; =>This Loop Header: Depth=1
                                        ;     Child Loop BB101_162 Depth 2
                                        ;     Child Loop BB101_164 Depth 2
	v_add_u32_e32 v2, s38, v14
	v_ashrrev_i32_e32 v3, 31, v2
	v_lshlrev_b64 v[2:3], 4, v[2:3]
	v_add_co_u32_e32 v10, vcc, s18, v2
	v_addc_co_u32_e32 v11, vcc, v12, v3, vcc
	global_load_dwordx2 v[8:9], v[10:11], off
	v_lshl_add_u32 v2, v14, 4, v13
	ds_read2_b64 v[2:5], v2 offset1:1
	s_mov_b64 s[10:11], 0
.LBB101_162:                            ;   Parent Loop BB101_161 Depth=1
                                        ; =>  This Inner Loop Header: Depth=2
	s_waitcnt vmcnt(0) lgkmcnt(0)
	v_add_f64 v[6:7], v[8:9], v[2:3]
	global_atomic_cmpswap_x2 v[6:7], v[10:11], v[6:9], off glc
	s_waitcnt vmcnt(0)
	v_cmp_eq_u64_e32 vcc, v[6:7], v[8:9]
	s_or_b64 s[10:11], vcc, s[10:11]
	v_pk_mov_b32 v[8:9], v[6:7], v[6:7] op_sel:[0,1]
	s_andn2_b64 exec, exec, s[10:11]
	s_cbranch_execnz .LBB101_162
; %bb.163:                              ;   in Loop: Header=BB101_161 Depth=1
	s_or_b64 exec, exec, s[10:11]
	global_load_dwordx2 v[8:9], v[10:11], off offset:8
	s_mov_b64 s[10:11], 0
.LBB101_164:                            ;   Parent Loop BB101_161 Depth=1
                                        ; =>  This Inner Loop Header: Depth=2
	s_waitcnt vmcnt(0)
	v_add_f64 v[6:7], v[8:9], v[4:5]
	global_atomic_cmpswap_x2 v[2:3], v[10:11], v[6:9], off offset:8 glc
	s_waitcnt vmcnt(0)
	v_cmp_eq_u64_e32 vcc, v[2:3], v[8:9]
	s_or_b64 s[10:11], vcc, s[10:11]
	v_pk_mov_b32 v[8:9], v[2:3], v[2:3] op_sel:[0,1]
	s_andn2_b64 exec, exec, s[10:11]
	s_cbranch_execnz .LBB101_164
; %bb.165:                              ;   in Loop: Header=BB101_161 Depth=1
	s_or_b64 exec, exec, s[10:11]
	v_add_u32_e32 v14, 0x100, v14
	v_cmp_le_i32_e32 vcc, s14, v14
	s_or_b64 s[6:7], vcc, s[6:7]
	s_andn2_b64 exec, exec, s[6:7]
	s_cbranch_execnz .LBB101_161
.LBB101_166:
	s_or_b64 exec, exec, s[4:5]
	s_mul_i32 s4, s37, s31
	s_sub_i32 s4, s36, s4
	s_add_i32 s5, s37, 1
	s_sub_i32 s6, s4, s31
	s_cmp_ge_u32 s4, s31
	s_cselect_b32 s5, s5, s37
	s_cselect_b32 s4, s6, s4
	s_add_i32 s6, s5, 1
	s_cmp_ge_u32 s4, s31
	s_cselect_b32 s4, s6, s5
	s_add_i32 s4, s4, -1
	s_ashr_i32 s5, s4, 1
	s_or_b32 s4, s5, s4
	s_ashr_i32 s5, s4, 2
	s_or_b32 s4, s5, s4
	;; [unrolled: 2-line block ×5, first 2 shown]
	s_add_i32 s15, s15, 1
	s_ashr_i32 s16, s15, 1
	v_add_u32_e32 v10, s28, v0
	s_cmp_gt_i32 s16, 1
	s_mov_b64 s[4:5], -1
	s_barrier
	s_cbranch_scc1 .LBB101_179
; %bb.167:
	v_cmp_gt_i32_e32 vcc, s29, v10
	s_and_saveexec_b64 s[4:5], vcc
	s_cbranch_execz .LBB101_178
; %bb.168:
	s_sub_i32 s6, s12, s29
	s_lshl_b32 s6, s6, 4
	s_add_i32 s17, s6, 0x4000
	s_lshl_b32 s6, s33, 4
	s_sub_i32 s22, 0, s6
	s_mov_b64 s[6:7], 0
	v_mov_b32_e32 v11, s21
	v_mov_b32_e32 v18, s19
	;; [unrolled: 1-line block ×3, first 2 shown]
.LBB101_169:                            ; =>This Loop Header: Depth=1
                                        ;     Child Loop BB101_171 Depth 2
                                        ;     Child Loop BB101_174 Depth 2
	;; [unrolled: 1-line block ×3, first 2 shown]
	v_ashrrev_i32_e32 v13, 31, v12
	v_lshlrev_b64 v[2:3], 2, v[12:13]
	v_add_co_u32_e32 v2, vcc, s20, v2
	v_addc_co_u32_e32 v3, vcc, v11, v3, vcc
	global_load_dwordx2 v[2:3], v[2:3], off
	v_pk_mov_b32 v[14:15], 0, 0
	v_pk_mov_b32 v[6:7], v[14:15], v[14:15] op_sel:[0,1]
	s_waitcnt vmcnt(0)
	v_cmp_lt_i32_e32 vcc, v2, v3
	s_and_saveexec_b64 s[10:11], vcc
	s_cbranch_execz .LBB101_173
; %bb.170:                              ;   in Loop: Header=BB101_169 Depth=1
	v_pk_mov_b32 v[14:15], 0, 0
	v_subrev_u32_e32 v3, s33, v3
	v_subrev_u32_e32 v4, s33, v2
	v_lshl_add_u32 v2, v2, 4, s22
	s_mov_b64 s[12:13], 0
	v_pk_mov_b32 v[6:7], v[14:15], v[14:15] op_sel:[0,1]
.LBB101_171:                            ;   Parent Loop BB101_169 Depth=1
                                        ; =>  This Inner Loop Header: Depth=2
	ds_read_b128 v[20:23], v2
	v_add_u32_e32 v4, 1, v4
	v_cmp_ge_i32_e32 vcc, v4, v3
	v_add_u32_e32 v2, 16, v2
	s_or_b64 s[12:13], vcc, s[12:13]
	s_waitcnt lgkmcnt(0)
	v_add_f64 v[6:7], v[6:7], v[20:21]
	v_add_f64 v[14:15], v[14:15], v[22:23]
	s_andn2_b64 exec, exec, s[12:13]
	s_cbranch_execnz .LBB101_171
; %bb.172:                              ;   in Loop: Header=BB101_169 Depth=1
	s_or_b64 exec, exec, s[12:13]
.LBB101_173:                            ;   in Loop: Header=BB101_169 Depth=1
	s_or_b64 exec, exec, s[10:11]
	v_lshlrev_b64 v[2:3], 4, v[12:13]
	v_add_co_u32_e32 v16, vcc, s18, v2
	v_addc_co_u32_e32 v17, vcc, v18, v3, vcc
	global_load_dwordx2 v[8:9], v[16:17], off
	v_lshl_add_u32 v2, v12, 4, s17
	ds_read2_b64 v[2:5], v2 offset1:1
	s_mov_b64 s[10:11], 0
	s_waitcnt lgkmcnt(0)
	v_add_f64 v[2:3], v[6:7], v[2:3]
.LBB101_174:                            ;   Parent Loop BB101_169 Depth=1
                                        ; =>  This Inner Loop Header: Depth=2
	s_waitcnt vmcnt(0)
	v_add_f64 v[6:7], v[8:9], v[2:3]
	global_atomic_cmpswap_x2 v[6:7], v[16:17], v[6:9], off glc
	s_waitcnt vmcnt(0)
	v_cmp_eq_u64_e32 vcc, v[6:7], v[8:9]
	s_or_b64 s[10:11], vcc, s[10:11]
	v_pk_mov_b32 v[8:9], v[6:7], v[6:7] op_sel:[0,1]
	s_andn2_b64 exec, exec, s[10:11]
	s_cbranch_execnz .LBB101_174
; %bb.175:                              ;   in Loop: Header=BB101_169 Depth=1
	s_or_b64 exec, exec, s[10:11]
	global_load_dwordx2 v[6:7], v[16:17], off offset:8
	v_add_f64 v[2:3], v[14:15], v[4:5]
	s_mov_b64 s[10:11], 0
.LBB101_176:                            ;   Parent Loop BB101_169 Depth=1
                                        ; =>  This Inner Loop Header: Depth=2
	s_waitcnt vmcnt(0)
	v_add_f64 v[4:5], v[6:7], v[2:3]
	global_atomic_cmpswap_x2 v[4:5], v[16:17], v[4:7], off offset:8 glc
	s_waitcnt vmcnt(0)
	v_cmp_eq_u64_e32 vcc, v[4:5], v[6:7]
	s_or_b64 s[10:11], vcc, s[10:11]
	v_pk_mov_b32 v[6:7], v[4:5], v[4:5] op_sel:[0,1]
	s_andn2_b64 exec, exec, s[10:11]
	s_cbranch_execnz .LBB101_176
; %bb.177:                              ;   in Loop: Header=BB101_169 Depth=1
	s_or_b64 exec, exec, s[10:11]
	v_add_u32_e32 v12, s36, v12
	v_cmp_le_i32_e32 vcc, s29, v12
	s_or_b64 s[6:7], vcc, s[6:7]
	s_andn2_b64 exec, exec, s[6:7]
	s_cbranch_execnz .LBB101_169
.LBB101_178:
	s_or_b64 exec, exec, s[4:5]
	s_mov_b64 s[4:5], 0
.LBB101_179:
	s_andn2_b64 vcc, exec, s[4:5]
	s_cbranch_vccnz .LBB101_206
; %bb.180:
	v_cvt_f32_u32_e32 v2, s16
	s_sub_i32 s4, 0, s16
	v_rcp_iflag_f32_e32 v2, v2
	v_mul_f32_e32 v2, 0x4f7ffffe, v2
	v_cvt_u32_f32_e32 v2, v2
	v_mul_lo_u32 v3, s4, v2
	v_mul_hi_u32 v3, v2, v3
	v_add_u32_e32 v2, v2, v3
	v_mul_hi_u32 v2, v0, v2
	v_mul_lo_u32 v3, v2, s16
	v_sub_u32_e32 v3, v0, v3
	v_add_u32_e32 v4, 1, v2
	v_cmp_le_u32_e32 vcc, s16, v3
	v_cndmask_b32_e32 v2, v2, v4, vcc
	v_subrev_u32_e32 v4, s16, v3
	v_cndmask_b32_e32 v3, v3, v4, vcc
	v_add_u32_e32 v4, 1, v2
	v_cmp_le_u32_e32 vcc, s16, v3
	v_cndmask_b32_e32 v2, v2, v4, vcc
	v_lshlrev_b32_e32 v3, 2, v2
	global_load_dwordx2 v[8:9], v3, s[8:9]
	v_pk_mov_b32 v[4:5], 0, 0
	v_cmp_gt_i32_e32 vcc, s31, v2
	v_pk_mov_b32 v[2:3], v[4:5], v[4:5] op_sel:[0,1]
	s_and_saveexec_b64 s[4:5], vcc
	s_cbranch_execz .LBB101_194
; %bb.181:
	s_abs_i32 s8, s16
	v_cvt_f32_u32_e32 v2, s8
	s_waitcnt vmcnt(0)
	v_subrev_u32_e32 v6, s33, v8
	v_subrev_u32_e32 v9, s33, v9
	v_sub_u32_e32 v3, v9, v6
	v_rcp_iflag_f32_e32 v2, v2
	s_sub_i32 s6, 0, s8
	v_sub_u32_e32 v5, 0, v3
	v_ashrrev_i32_e32 v4, 31, v3
	v_mul_f32_e32 v2, 0x4f7ffffe, v2
	v_cvt_u32_f32_e32 v2, v2
	v_max_i32_e32 v5, v3, v5
	s_ashr_i32 s9, s16, 31
	v_mul_lo_u32 v3, s6, v2
	v_mul_hi_u32 v3, v2, v3
	v_add_u32_e32 v2, v2, v3
	v_mad_u64_u32 v[2:3], s[6:7], v5, v2, 0
	v_xor_b32_e32 v2, s9, v4
	v_mul_lo_u32 v4, v3, s8
	v_sub_u32_e32 v4, v5, v4
	v_add_u32_e32 v5, 1, v3
	v_cmp_le_u32_e32 vcc, s8, v4
	v_cndmask_b32_e32 v3, v3, v5, vcc
	v_subrev_u32_e32 v5, s8, v4
	v_cndmask_b32_e32 v4, v4, v5, vcc
	v_add_u32_e32 v5, 1, v3
	v_cmp_le_u32_e32 vcc, s8, v4
	v_cndmask_b32_e32 v3, v3, v5, vcc
	v_xor_b32_e32 v3, v3, v2
	v_sub_u32_e32 v7, v3, v2
	s_add_i32 s6, s16, -1
	v_pk_mov_b32 v[4:5], 0, 0
	v_and_b32_e32 v11, s6, v0
	v_cmp_lt_i32_e32 vcc, 0, v7
	v_pk_mov_b32 v[2:3], v[4:5], v[4:5] op_sel:[0,1]
	s_and_saveexec_b64 s[6:7], vcc
	s_cbranch_execz .LBB101_191
; %bb.182:
	v_pk_mov_b32 v[2:3], 0, 0
	v_cmp_lt_u32_e32 vcc, 7, v7
	v_mov_b32_e32 v12, 0
	v_pk_mov_b32 v[4:5], v[2:3], v[2:3] op_sel:[0,1]
	s_and_saveexec_b64 s[8:9], vcc
	s_cbranch_execz .LBB101_186
; %bb.183:
	v_add_u32_e32 v2, v8, v11
	v_subrev_u32_e32 v2, s33, v2
	v_pk_mov_b32 v[4:5], 0, 0
	v_and_b32_e32 v12, 0x7ffffff8, v7
	v_lshlrev_b32_e32 v13, 4, v2
	s_lshl_b32 s12, s16, 7
	s_lshl_b32 s13, s16, 4
	s_mov_b64 s[10:11], 0
	s_mov_b32 s17, 0
	v_pk_mov_b32 v[2:3], v[4:5], v[4:5] op_sel:[0,1]
.LBB101_184:                            ; =>This Inner Loop Header: Depth=1
	ds_read_b128 v[14:17], v13
	v_add_u32_e32 v18, s13, v13
	v_add_u32_e32 v26, s13, v18
	ds_read_b128 v[18:21], v18
	ds_read_b128 v[22:25], v26
	v_add_u32_e32 v26, s13, v26
	v_add_u32_e32 v34, s13, v26
	ds_read_b128 v[26:29], v26
	ds_read_b128 v[30:33], v34
	v_add_u32_e32 v34, s13, v34
	s_waitcnt lgkmcnt(4)
	v_add_f64 v[14:15], v[2:3], v[14:15]
	v_add_f64 v[16:17], v[4:5], v[16:17]
	ds_read_b128 v[2:5], v34
	v_add_u32_e32 v34, s13, v34
	s_waitcnt lgkmcnt(4)
	v_add_f64 v[18:19], v[14:15], v[18:19]
	v_add_f64 v[20:21], v[16:17], v[20:21]
	ds_read2_b64 v[14:17], v34 offset1:1
	v_add_u32_e32 v34, s13, v34
	s_waitcnt lgkmcnt(4)
	v_add_f64 v[22:23], v[18:19], v[22:23]
	v_add_f64 v[24:25], v[20:21], v[24:25]
	ds_read2_b64 v[18:21], v34 offset1:1
	s_waitcnt lgkmcnt(4)
	v_add_f64 v[22:23], v[22:23], v[26:27]
	v_add_f64 v[24:25], v[24:25], v[28:29]
	s_waitcnt lgkmcnt(3)
	v_add_f64 v[22:23], v[22:23], v[30:31]
	v_add_f64 v[24:25], v[24:25], v[32:33]
	s_add_i32 s17, s17, 8
	s_waitcnt lgkmcnt(2)
	v_add_f64 v[2:3], v[22:23], v[2:3]
	v_add_f64 v[4:5], v[24:25], v[4:5]
	v_cmp_eq_u32_e32 vcc, s17, v12
	s_waitcnt lgkmcnt(1)
	v_add_f64 v[2:3], v[2:3], v[14:15]
	v_add_f64 v[4:5], v[4:5], v[16:17]
	v_add_u32_e32 v13, s12, v13
	s_or_b64 s[10:11], vcc, s[10:11]
	s_waitcnt lgkmcnt(0)
	v_add_f64 v[2:3], v[2:3], v[18:19]
	v_add_f64 v[4:5], v[4:5], v[20:21]
	s_andn2_b64 exec, exec, s[10:11]
	s_cbranch_execnz .LBB101_184
; %bb.185:
	s_or_b64 exec, exec, s[10:11]
.LBB101_186:
	s_or_b64 exec, exec, s[8:9]
	v_and_b32_e32 v13, 7, v7
	v_cmp_ne_u32_e32 vcc, 0, v13
	s_and_saveexec_b64 s[8:9], vcc
	s_cbranch_execz .LBB101_190
; %bb.187:
	v_mul_lo_u32 v12, v12, s16
	v_add3_u32 v8, v8, v11, v12
	v_subrev_u32_e32 v8, s33, v8
	v_lshlrev_b32_e32 v8, 4, v8
	s_lshl_b32 s12, s16, 4
	s_mov_b64 s[10:11], 0
.LBB101_188:                            ; =>This Inner Loop Header: Depth=1
	ds_read_b128 v[14:17], v8
	v_add_u32_e32 v13, -1, v13
	v_cmp_eq_u32_e32 vcc, 0, v13
	v_add_u32_e32 v8, s12, v8
	s_or_b64 s[10:11], vcc, s[10:11]
	s_waitcnt lgkmcnt(0)
	v_add_f64 v[2:3], v[2:3], v[14:15]
	v_add_f64 v[4:5], v[4:5], v[16:17]
	s_andn2_b64 exec, exec, s[10:11]
	s_cbranch_execnz .LBB101_188
; %bb.189:
	s_or_b64 exec, exec, s[10:11]
.LBB101_190:
	s_or_b64 exec, exec, s[8:9]
.LBB101_191:
	s_or_b64 exec, exec, s[6:7]
	v_mad_u64_u32 v[6:7], s[6:7], v7, s16, v[6:7]
	v_sub_u32_e32 v7, v9, v6
	v_cmp_lt_i32_e32 vcc, v11, v7
	s_and_saveexec_b64 s[6:7], vcc
	s_cbranch_execz .LBB101_193
; %bb.192:
	v_add_lshl_u32 v6, v6, v11, 4
	ds_read_b128 v[6:9], v6
	s_waitcnt lgkmcnt(0)
	v_add_f64 v[2:3], v[2:3], v[6:7]
	v_add_f64 v[4:5], v[4:5], v[8:9]
.LBB101_193:
	s_or_b64 exec, exec, s[6:7]
.LBB101_194:
	s_or_b64 exec, exec, s[4:5]
	v_cmp_gt_i32_e32 vcc, s31, v0
	s_barrier
	ds_write_b128 v1, v[2:5]
	s_waitcnt lgkmcnt(0)
	s_barrier
	s_and_b64 exec, exec, vcc
	s_cbranch_execz .LBB101_206
; %bb.195:
	v_mul_lo_u32 v1, s16, v0
	s_cmp_lt_u32 s16, 8
	v_pk_mov_b32 v[4:5], 0, 0
	s_cbranch_scc1 .LBB101_198
; %bb.196:
	s_waitcnt vmcnt(0)
	v_pk_mov_b32 v[8:9], 0, 0
	s_and_b32 s4, s16, 0x7ffffff8
	v_lshlrev_b32_e32 v2, 4, v1
	s_mov_b32 s5, 0
	v_pk_mov_b32 v[4:5], v[8:9], v[8:9] op_sel:[0,1]
.LBB101_197:                            ; =>This Inner Loop Header: Depth=1
	ds_read_b128 v[12:15], v2
	ds_read_b128 v[16:19], v2 offset:16
	ds_read_b128 v[20:23], v2 offset:32
	;; [unrolled: 1-line block ×7, first 2 shown]
	s_waitcnt lgkmcnt(7)
	v_add_f64 v[4:5], v[4:5], v[12:13]
	v_add_f64 v[6:7], v[8:9], v[14:15]
	s_waitcnt lgkmcnt(6)
	v_add_f64 v[4:5], v[4:5], v[16:17]
	v_add_f64 v[6:7], v[6:7], v[18:19]
	;; [unrolled: 3-line block ×6, first 2 shown]
	s_add_i32 s5, s5, 8
	s_waitcnt lgkmcnt(1)
	v_add_f64 v[4:5], v[4:5], v[36:37]
	v_add_f64 v[6:7], v[6:7], v[38:39]
	v_add_u32_e32 v2, 0x80, v2
	s_cmp_eq_u32 s4, s5
	s_waitcnt lgkmcnt(0)
	v_add_f64 v[4:5], v[4:5], v[40:41]
	v_add_f64 v[8:9], v[6:7], v[42:43]
	s_cbranch_scc0 .LBB101_197
	s_branch .LBB101_199
.LBB101_198:
	s_mov_b32 s4, 0
	s_waitcnt vmcnt(0)
	v_pk_mov_b32 v[8:9], v[4:5], v[4:5] op_sel:[0,1]
.LBB101_199:
	s_bfe_u32 s5, s15, 0x30001
	s_cmp_eq_u32 s5, 0
	s_cbranch_scc1 .LBB101_202
; %bb.200:
	v_add_lshl_u32 v1, s4, v1, 4
.LBB101_201:                            ; =>This Inner Loop Header: Depth=1
	ds_read_b128 v[12:15], v1
	s_add_i32 s5, s5, -1
	v_add_u32_e32 v1, 16, v1
	s_cmp_lg_u32 s5, 0
	s_waitcnt lgkmcnt(0)
	v_add_f64 v[4:5], v[4:5], v[12:13]
	v_add_f64 v[8:9], v[8:9], v[14:15]
	s_cbranch_scc1 .LBB101_201
.LBB101_202:
	v_ashrrev_i32_e32 v11, 31, v10
	v_lshlrev_b64 v[2:3], 4, v[10:11]
	v_mov_b32_e32 v1, s19
	v_add_co_u32_e32 v10, vcc, s18, v2
	v_addc_co_u32_e32 v11, vcc, v1, v3, vcc
	global_load_dwordx2 v[6:7], v[10:11], off
	s_lshl_b32 s4, s14, 4
	s_addk_i32 s4, 0x4000
	v_lshl_add_u32 v0, v0, 4, s4
	ds_read2_b64 v[0:3], v0 offset1:1
	s_mov_b64 s[4:5], 0
	s_waitcnt lgkmcnt(0)
	v_add_f64 v[0:1], v[4:5], v[0:1]
.LBB101_203:                            ; =>This Inner Loop Header: Depth=1
	s_waitcnt vmcnt(0)
	v_add_f64 v[4:5], v[6:7], v[0:1]
	global_atomic_cmpswap_x2 v[4:5], v[10:11], v[4:7], off glc
	s_waitcnt vmcnt(0)
	v_cmp_eq_u64_e32 vcc, v[4:5], v[6:7]
	s_or_b64 s[4:5], vcc, s[4:5]
	v_pk_mov_b32 v[6:7], v[4:5], v[4:5] op_sel:[0,1]
	s_andn2_b64 exec, exec, s[4:5]
	s_cbranch_execnz .LBB101_203
; %bb.204:
	s_or_b64 exec, exec, s[4:5]
	global_load_dwordx2 v[4:5], v[10:11], off offset:8
	v_add_f64 v[0:1], v[8:9], v[2:3]
	s_mov_b64 s[4:5], 0
.LBB101_205:                            ; =>This Inner Loop Header: Depth=1
	s_waitcnt vmcnt(0)
	v_add_f64 v[2:3], v[4:5], v[0:1]
	global_atomic_cmpswap_x2 v[2:3], v[10:11], v[2:5], off offset:8 glc
	s_waitcnt vmcnt(0)
	v_cmp_eq_u64_e32 vcc, v[2:3], v[4:5]
	s_or_b64 s[4:5], vcc, s[4:5]
	v_pk_mov_b32 v[4:5], v[2:3], v[2:3] op_sel:[0,1]
	s_andn2_b64 exec, exec, s[4:5]
	s_cbranch_execnz .LBB101_205
.LBB101_206:
	s_endpgm
	.section	.rodata,"a",@progbits
	.p2align	6, 0x0
	.amdhsa_kernel _ZN9rocsparseL27csrmvn_symm_adaptive_kernelIiid21rocsparse_complex_numIdES2_S2_EEvbT_S3_PKS3_NS_24const_host_device_scalarIT4_EES5_PKT0_PKT1_PKT2_S8_PT3_21rocsparse_index_base_b
		.amdhsa_group_segment_fixed_size 16384
		.amdhsa_private_segment_fixed_size 24
		.amdhsa_kernarg_size 360
		.amdhsa_user_sgpr_count 8
		.amdhsa_user_sgpr_private_segment_buffer 1
		.amdhsa_user_sgpr_dispatch_ptr 0
		.amdhsa_user_sgpr_queue_ptr 0
		.amdhsa_user_sgpr_kernarg_segment_ptr 1
		.amdhsa_user_sgpr_dispatch_id 0
		.amdhsa_user_sgpr_flat_scratch_init 1
		.amdhsa_user_sgpr_kernarg_preload_length 0
		.amdhsa_user_sgpr_kernarg_preload_offset 0
		.amdhsa_user_sgpr_private_segment_size 0
		.amdhsa_uses_dynamic_stack 0
		.amdhsa_system_sgpr_private_segment_wavefront_offset 1
		.amdhsa_system_sgpr_workgroup_id_x 1
		.amdhsa_system_sgpr_workgroup_id_y 0
		.amdhsa_system_sgpr_workgroup_id_z 0
		.amdhsa_system_sgpr_workgroup_info 0
		.amdhsa_system_vgpr_workitem_id 0
		.amdhsa_next_free_vgpr 44
		.amdhsa_next_free_sgpr 48
		.amdhsa_accum_offset 44
		.amdhsa_reserve_vcc 1
		.amdhsa_reserve_flat_scratch 1
		.amdhsa_float_round_mode_32 0
		.amdhsa_float_round_mode_16_64 0
		.amdhsa_float_denorm_mode_32 3
		.amdhsa_float_denorm_mode_16_64 3
		.amdhsa_dx10_clamp 1
		.amdhsa_ieee_mode 1
		.amdhsa_fp16_overflow 0
		.amdhsa_tg_split 0
		.amdhsa_exception_fp_ieee_invalid_op 0
		.amdhsa_exception_fp_denorm_src 0
		.amdhsa_exception_fp_ieee_div_zero 0
		.amdhsa_exception_fp_ieee_overflow 0
		.amdhsa_exception_fp_ieee_underflow 0
		.amdhsa_exception_fp_ieee_inexact 0
		.amdhsa_exception_int_div_zero 0
	.end_amdhsa_kernel
	.section	.text._ZN9rocsparseL27csrmvn_symm_adaptive_kernelIiid21rocsparse_complex_numIdES2_S2_EEvbT_S3_PKS3_NS_24const_host_device_scalarIT4_EES5_PKT0_PKT1_PKT2_S8_PT3_21rocsparse_index_base_b,"axG",@progbits,_ZN9rocsparseL27csrmvn_symm_adaptive_kernelIiid21rocsparse_complex_numIdES2_S2_EEvbT_S3_PKS3_NS_24const_host_device_scalarIT4_EES5_PKT0_PKT1_PKT2_S8_PT3_21rocsparse_index_base_b,comdat
.Lfunc_end101:
	.size	_ZN9rocsparseL27csrmvn_symm_adaptive_kernelIiid21rocsparse_complex_numIdES2_S2_EEvbT_S3_PKS3_NS_24const_host_device_scalarIT4_EES5_PKT0_PKT1_PKT2_S8_PT3_21rocsparse_index_base_b, .Lfunc_end101-_ZN9rocsparseL27csrmvn_symm_adaptive_kernelIiid21rocsparse_complex_numIdES2_S2_EEvbT_S3_PKS3_NS_24const_host_device_scalarIT4_EES5_PKT0_PKT1_PKT2_S8_PT3_21rocsparse_index_base_b
                                        ; -- End function
	.section	.AMDGPU.csdata,"",@progbits
; Kernel info:
; codeLenInByte = 8992
; NumSgprs: 54
; NumVgprs: 44
; NumAgprs: 0
; TotalNumVgprs: 44
; ScratchSize: 24
; MemoryBound: 0
; FloatMode: 240
; IeeeMode: 1
; LDSByteSize: 16384 bytes/workgroup (compile time only)
; SGPRBlocks: 6
; VGPRBlocks: 5
; NumSGPRsForWavesPerEU: 54
; NumVGPRsForWavesPerEU: 44
; AccumOffset: 44
; Occupancy: 4
; WaveLimiterHint : 1
; COMPUTE_PGM_RSRC2:SCRATCH_EN: 1
; COMPUTE_PGM_RSRC2:USER_SGPR: 8
; COMPUTE_PGM_RSRC2:TRAP_HANDLER: 0
; COMPUTE_PGM_RSRC2:TGID_X_EN: 1
; COMPUTE_PGM_RSRC2:TGID_Y_EN: 0
; COMPUTE_PGM_RSRC2:TGID_Z_EN: 0
; COMPUTE_PGM_RSRC2:TIDIG_COMP_CNT: 0
; COMPUTE_PGM_RSRC3_GFX90A:ACCUM_OFFSET: 10
; COMPUTE_PGM_RSRC3_GFX90A:TG_SPLIT: 0
	.section	.text._ZL33csrmvn_symm_large_adaptive_kernelIiid21rocsparse_complex_numIdES1_S1_EvbT_PKS2_N9rocsparse24const_host_device_scalarIT4_EES4_PKT0_PKT1_PKT2_S8_PT3_21rocsparse_index_base_b,"axG",@progbits,_ZL33csrmvn_symm_large_adaptive_kernelIiid21rocsparse_complex_numIdES1_S1_EvbT_PKS2_N9rocsparse24const_host_device_scalarIT4_EES4_PKT0_PKT1_PKT2_S8_PT3_21rocsparse_index_base_b,comdat
	.globl	_ZL33csrmvn_symm_large_adaptive_kernelIiid21rocsparse_complex_numIdES1_S1_EvbT_PKS2_N9rocsparse24const_host_device_scalarIT4_EES4_PKT0_PKT1_PKT2_S8_PT3_21rocsparse_index_base_b ; -- Begin function _ZL33csrmvn_symm_large_adaptive_kernelIiid21rocsparse_complex_numIdES1_S1_EvbT_PKS2_N9rocsparse24const_host_device_scalarIT4_EES4_PKT0_PKT1_PKT2_S8_PT3_21rocsparse_index_base_b
	.p2align	8
	.type	_ZL33csrmvn_symm_large_adaptive_kernelIiid21rocsparse_complex_numIdES1_S1_EvbT_PKS2_N9rocsparse24const_host_device_scalarIT4_EES4_PKT0_PKT1_PKT2_S8_PT3_21rocsparse_index_base_b,@function
_ZL33csrmvn_symm_large_adaptive_kernelIiid21rocsparse_complex_numIdES1_S1_EvbT_PKS2_N9rocsparse24const_host_device_scalarIT4_EES4_PKT0_PKT1_PKT2_S8_PT3_21rocsparse_index_base_b: ; @_ZL33csrmvn_symm_large_adaptive_kernelIiid21rocsparse_complex_numIdES1_S1_EvbT_PKS2_N9rocsparse24const_host_device_scalarIT4_EES4_PKT0_PKT1_PKT2_S8_PT3_21rocsparse_index_base_b
; %bb.0:
	s_add_u32 flat_scratch_lo, s6, s9
	s_addc_u32 flat_scratch_hi, s7, 0
	s_load_dwordx2 s[24:25], s[4:5], 0x58
	s_load_dwordx4 s[16:19], s[4:5], 0x10
	s_load_dwordx4 s[12:15], s[4:5], 0x40
	s_add_u32 s0, s0, s9
	s_addc_u32 s1, s1, 0
	s_waitcnt lgkmcnt(0)
	s_bitcmp1_b32 s25, 0
	v_mov_b32_e32 v1, 0
	v_mov_b32_e32 v3, s16
	s_cselect_b64 s[6:7], -1, 0
	v_cndmask_b32_e64 v2, v3, v1, s[6:7]
	v_mov_b32_e32 v1, s17
	s_mov_b64 s[10:11], src_private_base
	s_and_b64 vcc, s[6:7], exec
	buffer_store_dword v1, off, s[0:3], 0 offset:4
	buffer_store_dword v3, off, s[0:3], 0
	v_mov_b32_e32 v1, s13
	s_cselect_b32 s9, s11, s17
	buffer_store_dword v1, off, s[0:3], 0 offset:12
	v_mov_b32_e32 v1, s12
	buffer_store_dword v1, off, s[0:3], 0 offset:8
	v_mov_b32_e32 v3, s9
	flat_load_dwordx2 v[8:9], v[2:3]
	s_xor_b64 s[20:21], s[6:7], -1
	v_pk_mov_b32 v[10:11], s[18:19], s[18:19] op_sel:[0,1]
	s_cbranch_vccnz .LBB102_2
; %bb.1:
	v_pk_mov_b32 v[2:3], s[16:17], s[16:17] op_sel:[0,1]
	flat_load_dwordx2 v[10:11], v[2:3] offset:8
.LBB102_2:
	s_and_b64 s[16:17], s[6:7], exec
	s_cselect_b32 s9, s11, s13
	v_mov_b32_e32 v1, 8
	v_mov_b32_e32 v2, s12
	v_cndmask_b32_e64 v2, v2, v1, s[6:7]
	v_mov_b32_e32 v3, s9
	flat_load_dwordx2 v[2:3], v[2:3]
	s_andn2_b64 vcc, exec, s[20:21]
	v_pk_mov_b32 v[4:5], s[14:15], s[14:15] op_sel:[0,1]
	s_cbranch_vccnz .LBB102_4
; %bb.3:
	v_pk_mov_b32 v[4:5], s[12:13], s[12:13] op_sel:[0,1]
	flat_load_dwordx2 v[4:5], v[4:5] offset:8
.LBB102_4:
	s_waitcnt vmcnt(0) lgkmcnt(0)
	v_cmp_eq_f64_e32 vcc, 0, v[8:9]
	v_cmp_eq_f64_e64 s[6:7], 0, v[10:11]
	s_and_b64 s[12:13], vcc, s[6:7]
	s_mov_b64 s[6:7], -1
	s_and_saveexec_b64 s[10:11], s[12:13]
; %bb.5:
	v_cmp_neq_f64_e32 vcc, 1.0, v[2:3]
	v_cmp_neq_f64_e64 s[6:7], 0, v[4:5]
	s_or_b64 s[6:7], vcc, s[6:7]
	s_orn2_b64 s[6:7], s[6:7], exec
; %bb.6:
	s_or_b64 exec, exec, s[10:11]
	s_and_saveexec_b64 s[10:11], s[6:7]
	s_cbranch_execz .LBB102_51
; %bb.7:
	s_load_dwordx2 s[6:7], s[4:5], 0x8
	s_mov_b32 s12, 0
	s_ashr_i32 s9, s8, 31
	s_mov_b32 s13, s12
	s_lshl_b64 s[8:9], s[8:9], 2
	s_mov_b32 s14, s12
	s_mov_b32 s15, s12
	v_pk_mov_b32 v[2:3], s[12:13], s[12:13] op_sel:[0,1]
	s_waitcnt lgkmcnt(0)
	s_add_u32 s6, s6, s8
	v_lshlrev_b32_e32 v14, 4, v0
	v_pk_mov_b32 v[4:5], s[14:15], s[14:15] op_sel:[0,1]
	s_addc_u32 s7, s7, s9
	ds_write_b128 v14, v[2:5]
	ds_write_b128 v14, v[2:5] offset:4096
	ds_write_b128 v14, v[2:5] offset:8192
	ds_write_b128 v14, v[2:5] offset:12288
	s_waitcnt lgkmcnt(0)
	s_barrier
	s_load_dwordx2 s[26:27], s[6:7], 0x0
	s_load_dwordx2 s[28:29], s[4:5], 0x50
	s_load_dwordx8 s[16:23], s[4:5], 0x20
	s_waitcnt lgkmcnt(0)
	s_cmp_lt_i32 s26, s27
	s_cbranch_scc1 .LBB102_9
; %bb.8:
	s_ashr_i32 s5, s26, 31
	s_mov_b32 s4, s26
	s_lshl_b64 s[4:5], s[4:5], 2
	s_add_u32 s4, s16, s4
	s_addc_u32 s5, s17, s5
	s_load_dword s25, s[4:5], 0x0
	v_subrev_u32_e32 v15, s24, v0
	s_cbranch_execz .LBB102_10
	s_branch .LBB102_39
.LBB102_9:
                                        ; implicit-def: $sgpr25
	v_subrev_u32_e32 v15, s24, v0
.LBB102_10:
	s_ashr_i32 s15, s26, 31
	s_mov_b32 s14, s26
	s_lshl_b64 s[14:15], s[14:15], 2
	s_add_u32 s14, s16, s14
	s_addc_u32 s15, s17, s15
	s_waitcnt lgkmcnt(0)
	s_load_dword s25, s[14:15], 0x0
	s_movk_i32 s4, 0x100
	s_add_u32 s33, s16, 4
	v_cmp_gt_u32_e64 s[4:5], s4, v0
	v_cmp_gt_u32_e64 s[6:7], 64, v0
	;; [unrolled: 1-line block ×4, first 2 shown]
	v_cmp_eq_u32_e64 s[12:13], 0, v0
	s_addc_u32 s40, s17, 0
	v_mov_b32_e32 v16, s23
	v_mov_b32_e32 v17, 0
	s_waitcnt lgkmcnt(0)
	s_mov_b32 s41, s25
	s_mov_b32 s30, s26
	s_branch .LBB102_12
.LBB102_11:                             ;   in Loop: Header=BB102_12 Depth=1
	s_or_b64 exec, exec, s[14:15]
	s_add_i32 s30, s30, 1
	s_cmp_ge_i32 s30, s27
	s_cbranch_scc1 .LBB102_39
.LBB102_12:                             ; =>This Loop Header: Depth=1
                                        ;     Child Loop BB102_14 Depth 2
                                        ;     Child Loop BB102_28 Depth 2
	;; [unrolled: 1-line block ×5, first 2 shown]
	s_ashr_i32 s31, s30, 31
	s_lshl_b64 s[14:15], s[30:31], 2
	s_add_u32 s14, s33, s14
	s_addc_u32 s15, s40, s15
	s_mov_b32 s34, s41
	s_load_dword s41, s[14:15], 0x0
	v_pk_mov_b32 v[2:3], 0, 0
	v_add_u32_e32 v4, s34, v15
	v_pk_mov_b32 v[0:1], v[2:3], v[2:3] op_sel:[0,1]
	s_waitcnt lgkmcnt(0)
	s_sub_i32 s38, s41, s24
	v_cmp_gt_i32_e32 vcc, s38, v4
	s_and_saveexec_b64 s[34:35], vcc
	s_cbranch_execz .LBB102_16
; %bb.13:                               ;   in Loop: Header=BB102_12 Depth=1
	v_ashrrev_i32_e32 v5, 31, v4
	v_lshlrev_b64 v[0:1], 2, v[4:5]
	v_mov_b32_e32 v2, s19
	v_add_co_u32_e32 v6, vcc, s18, v0
	v_addc_co_u32_e32 v7, vcc, v2, v1, vcc
	v_lshlrev_b64 v[0:1], 3, v[4:5]
	v_mov_b32_e32 v2, s21
	v_add_co_u32_e32 v12, vcc, s20, v0
	v_addc_co_u32_e32 v13, vcc, v2, v1, vcc
	v_pk_mov_b32 v[2:3], 0, 0
	s_mov_b64 s[36:37], 0
	v_pk_mov_b32 v[0:1], v[2:3], v[2:3] op_sel:[0,1]
.LBB102_14:                             ;   Parent Loop BB102_12 Depth=1
                                        ; =>  This Inner Loop Header: Depth=2
	global_load_dword v5, v[6:7], off
	global_load_dwordx2 v[22:23], v[12:13], off
	v_add_u32_e32 v4, 0x100, v4
	v_cmp_le_i32_e64 s[14:15], s38, v4
	s_or_b64 s[36:37], s[14:15], s[36:37]
	s_waitcnt vmcnt(1)
	v_subrev_u32_e32 v18, s24, v5
	v_ashrrev_i32_e32 v19, 31, v18
	v_lshlrev_b64 v[18:19], 4, v[18:19]
	v_add_co_u32_e32 v18, vcc, s22, v18
	v_addc_co_u32_e32 v19, vcc, v16, v19, vcc
	global_load_dwordx4 v[18:21], v[18:19], off
	v_add_co_u32_e32 v6, vcc, 0x400, v6
	v_addc_co_u32_e32 v7, vcc, 0, v7, vcc
	v_add_co_u32_e32 v12, vcc, 0x800, v12
	v_addc_co_u32_e32 v13, vcc, 0, v13, vcc
	s_waitcnt vmcnt(0)
	v_fmac_f64_e32 v[0:1], v[22:23], v[18:19]
	v_fmac_f64_e32 v[2:3], 0, v[18:19]
	;; [unrolled: 1-line block ×4, first 2 shown]
	s_andn2_b64 exec, exec, s[36:37]
	s_cbranch_execnz .LBB102_14
; %bb.15:                               ;   in Loop: Header=BB102_12 Depth=1
	s_or_b64 exec, exec, s[36:37]
.LBB102_16:                             ;   in Loop: Header=BB102_12 Depth=1
	s_or_b64 exec, exec, s[34:35]
	ds_write_b128 v14, v[0:3]
	s_waitcnt lgkmcnt(0)
	s_barrier
	s_and_saveexec_b64 s[14:15], s[4:5]
	s_cbranch_execz .LBB102_18
; %bb.17:                               ;   in Loop: Header=BB102_12 Depth=1
	ds_read_b128 v[0:3], v14 offset:4096
	ds_read_b128 v[4:7], v14 offset:8192
	ds_read_b128 v[18:21], v14 offset:12288
	ds_read_b128 v[22:25], v14
	s_waitcnt lgkmcnt(2)
	v_add_f64 v[0:1], v[4:5], v[0:1]
	v_add_f64 v[2:3], v[6:7], v[2:3]
	s_waitcnt lgkmcnt(1)
	v_add_f64 v[0:1], v[0:1], v[18:19]
	v_add_f64 v[2:3], v[2:3], v[20:21]
	s_waitcnt lgkmcnt(0)
	v_add_f64 v[0:1], v[0:1], v[22:23]
	v_add_f64 v[2:3], v[2:3], v[24:25]
	ds_write_b128 v14, v[0:3]
.LBB102_18:                             ;   in Loop: Header=BB102_12 Depth=1
	s_or_b64 exec, exec, s[14:15]
	s_waitcnt lgkmcnt(0)
	s_barrier
	s_and_saveexec_b64 s[14:15], s[6:7]
	s_cbranch_execz .LBB102_20
; %bb.19:                               ;   in Loop: Header=BB102_12 Depth=1
	ds_read_b128 v[0:3], v14 offset:1024
	ds_read_b128 v[4:7], v14 offset:2048
	ds_read_b128 v[18:21], v14 offset:3072
	ds_read_b128 v[22:25], v14
	s_waitcnt lgkmcnt(2)
	v_add_f64 v[0:1], v[4:5], v[0:1]
	v_add_f64 v[2:3], v[6:7], v[2:3]
	s_waitcnt lgkmcnt(1)
	v_add_f64 v[0:1], v[0:1], v[18:19]
	v_add_f64 v[2:3], v[2:3], v[20:21]
	s_waitcnt lgkmcnt(0)
	v_add_f64 v[0:1], v[0:1], v[22:23]
	v_add_f64 v[2:3], v[2:3], v[24:25]
	ds_write_b128 v14, v[0:3]
.LBB102_20:                             ;   in Loop: Header=BB102_12 Depth=1
	s_or_b64 exec, exec, s[14:15]
	;; [unrolled: 21-line block ×5, first 2 shown]
	s_waitcnt lgkmcnt(0)
	s_barrier
	s_and_saveexec_b64 s[14:15], s[12:13]
	s_cbranch_execz .LBB102_11
; %bb.27:                               ;   in Loop: Header=BB102_12 Depth=1
	ds_read_b128 v[0:3], v17
	v_mov_b32_e32 v12, 0
	s_mov_b64 s[34:35], exec
	v_bfrev_b32_e32 v13, 1
	s_waitcnt lgkmcnt(0)
	v_mul_f64 v[4:5], v[2:3], -v[10:11]
	v_fmac_f64_e32 v[4:5], v[8:9], v[0:1]
.LBB102_28:                             ;   Parent Loop BB102_12 Depth=1
                                        ; =>  This Inner Loop Header: Depth=2
	s_ff1_i32_b64 s38, s[34:35]
	v_readlane_b32 s37, v5, s38
	v_readlane_b32 s36, v4, s38
	s_lshl_b64 s[38:39], 1, s38
	s_andn2_b64 s[34:35], s[34:35], s[38:39]
	s_cmp_lg_u64 s[34:35], 0
	v_add_f64 v[12:13], v[12:13], s[36:37]
	s_cbranch_scc1 .LBB102_28
; %bb.29:                               ;   in Loop: Header=BB102_12 Depth=1
	s_lshl_b64 s[34:35], s[30:31], 4
	v_mbcnt_lo_u32_b32 v4, exec_lo, 0
	s_add_u32 s34, s28, s34
	v_mbcnt_hi_u32_b32 v4, exec_hi, v4
	s_addc_u32 s35, s29, s35
	v_cmp_eq_u32_e32 vcc, 0, v4
	s_and_saveexec_b64 s[36:37], vcc
	s_xor_b64 s[36:37], exec, s[36:37]
	s_cbranch_execz .LBB102_33
; %bb.30:                               ;   in Loop: Header=BB102_12 Depth=1
	global_load_dwordx2 v[6:7], v17, s[34:35]
	s_mov_b64 s[38:39], 0
.LBB102_31:                             ;   Parent Loop BB102_12 Depth=1
                                        ; =>  This Inner Loop Header: Depth=2
	s_waitcnt vmcnt(0)
	v_add_f64 v[4:5], v[6:7], v[12:13]
	global_atomic_cmpswap_x2 v[4:5], v17, v[4:7], s[34:35] glc
	s_waitcnt vmcnt(0)
	v_cmp_eq_u64_e32 vcc, v[4:5], v[6:7]
	s_or_b64 s[38:39], vcc, s[38:39]
	v_pk_mov_b32 v[6:7], v[4:5], v[4:5] op_sel:[0,1]
	s_andn2_b64 exec, exec, s[38:39]
	s_cbranch_execnz .LBB102_31
; %bb.32:                               ;   in Loop: Header=BB102_12 Depth=1
	s_or_b64 exec, exec, s[38:39]
.LBB102_33:                             ;   in Loop: Header=BB102_12 Depth=1
	s_or_b64 exec, exec, s[36:37]
	v_mul_f64 v[2:3], v[8:9], v[2:3]
	v_mov_b32_e32 v4, 0
	s_mov_b64 s[36:37], exec
	v_fmac_f64_e32 v[2:3], v[10:11], v[0:1]
	v_bfrev_b32_e32 v5, 1
.LBB102_34:                             ;   Parent Loop BB102_12 Depth=1
                                        ; =>  This Inner Loop Header: Depth=2
	s_ff1_i32_b64 s31, s[36:37]
	s_lshl_b64 s[42:43], 1, s31
	v_readlane_b32 s39, v3, s31
	v_readlane_b32 s38, v2, s31
	s_andn2_b64 s[36:37], s[36:37], s[42:43]
	s_cmp_lg_u64 s[36:37], 0
	v_add_f64 v[4:5], v[4:5], s[38:39]
	s_cbranch_scc1 .LBB102_34
; %bb.35:                               ;   in Loop: Header=BB102_12 Depth=1
	v_mbcnt_lo_u32_b32 v0, exec_lo, 0
	v_mbcnt_hi_u32_b32 v0, exec_hi, v0
	v_cmp_eq_u32_e32 vcc, 0, v0
	s_and_saveexec_b64 s[36:37], vcc
	s_xor_b64 s[36:37], exec, s[36:37]
	s_cbranch_execz .LBB102_11
; %bb.36:                               ;   in Loop: Header=BB102_12 Depth=1
	global_load_dwordx2 v[2:3], v17, s[34:35] offset:8
	s_mov_b64 s[36:37], 0
.LBB102_37:                             ;   Parent Loop BB102_12 Depth=1
                                        ; =>  This Inner Loop Header: Depth=2
	s_waitcnt vmcnt(0)
	v_add_f64 v[0:1], v[2:3], v[4:5]
	global_atomic_cmpswap_x2 v[0:1], v17, v[0:3], s[34:35] offset:8 glc
	s_waitcnt vmcnt(0)
	v_cmp_eq_u64_e32 vcc, v[0:1], v[2:3]
	s_or_b64 s[36:37], vcc, s[36:37]
	v_pk_mov_b32 v[2:3], v[0:1], v[0:1] op_sel:[0,1]
	s_andn2_b64 exec, exec, s[36:37]
	s_cbranch_execnz .LBB102_37
; %bb.38:                               ;   in Loop: Header=BB102_12 Depth=1
	s_or_b64 exec, exec, s[36:37]
	s_branch .LBB102_11
.LBB102_39:
	s_ashr_i32 s5, s27, 31
	s_mov_b32 s4, s27
	s_lshl_b64 s[4:5], s[4:5], 2
	s_add_u32 s4, s16, s4
	s_addc_u32 s5, s17, s5
	s_load_dword s4, s[4:5], 0x0
	s_waitcnt lgkmcnt(0)
	v_add_u32_e32 v12, s25, v15
	s_sub_i32 s12, s4, s24
	v_cmp_gt_i32_e32 vcc, s12, v12
	s_and_b64 exec, exec, vcc
	s_cbranch_execz .LBB102_51
; %bb.40:
	s_add_i32 s13, s27, -1
	s_cmp_gt_i32 s13, s26
	s_cselect_b64 s[4:5], -1, 0
	s_add_i32 s6, s27, -2
	s_cmp_lg_u32 s6, s26
	s_cselect_b64 s[6:7], -1, 0
	s_mov_b32 s8, 0
	s_and_b64 s[4:5], s[4:5], s[6:7]
	s_brev_b32 s9, 1
	v_cndmask_b32_e64 v0, 0, 1, s[4:5]
	v_mul_f64 v[14:15], v[10:11], s[8:9]
	s_mov_b64 s[8:9], 0
	v_mul_f64 v[16:17], v[8:9], 0
	v_cmp_ne_u32_e64 s[4:5], 1, v0
	v_mov_b32_e32 v26, s17
	v_mov_b32_e32 v27, s19
	s_branch .LBB102_42
.LBB102_41:                             ;   in Loop: Header=BB102_42 Depth=1
	s_or_b64 exec, exec, s[6:7]
	v_add_u32_e32 v12, 0x100, v12
	v_cmp_le_i32_e32 vcc, s12, v12
	s_or_b64 s[8:9], vcc, s[8:9]
	s_andn2_b64 exec, exec, s[8:9]
	s_cbranch_execz .LBB102_51
.LBB102_42:                             ; =>This Loop Header: Depth=1
                                        ;     Child Loop BB102_44 Depth 2
                                        ;     Child Loop BB102_48 Depth 2
	;; [unrolled: 1-line block ×3, first 2 shown]
	s_and_b64 vcc, exec, s[4:5]
	v_mov_b32_e32 v2, s26
	v_mov_b32_e32 v0, s13
	s_cbranch_vccnz .LBB102_46
; %bb.43:                               ;   in Loop: Header=BB102_42 Depth=1
	s_mov_b64 s[10:11], 0
	v_mov_b32_e32 v2, s26
	v_mov_b32_e32 v0, s13
.LBB102_44:                             ;   Parent Loop BB102_42 Depth=1
                                        ; =>  This Inner Loop Header: Depth=2
	v_add_u32_e32 v1, v0, v2
	v_lshrrev_b32_e32 v4, 31, v1
	v_add_u32_e32 v1, v1, v4
	v_ashrrev_i32_e32 v4, 1, v1
	v_ashrrev_i32_e32 v5, 31, v4
	v_lshlrev_b64 v[6:7], 2, v[4:5]
	v_mov_b32_e32 v3, s17
	v_add_co_u32_e32 v6, vcc, s16, v6
	v_addc_co_u32_e32 v7, vcc, v3, v7, vcc
	global_load_dword v1, v[6:7], off
	s_waitcnt vmcnt(0)
	v_subrev_u32_e32 v1, s24, v1
	v_cmp_gt_i32_e32 vcc, v1, v12
	v_cndmask_b32_e32 v0, v0, v4, vcc
	v_cndmask_b32_e32 v2, v4, v2, vcc
	v_add_u32_e32 v1, -1, v0
	v_cmp_ge_i32_e32 vcc, v2, v0
	v_cmp_eq_u32_e64 s[6:7], v2, v1
	s_or_b64 s[6:7], vcc, s[6:7]
	s_and_b64 s[6:7], exec, s[6:7]
	s_or_b64 s[10:11], s[6:7], s[10:11]
	s_andn2_b64 exec, exec, s[10:11]
	s_cbranch_execnz .LBB102_44
; %bb.45:                               ;   in Loop: Header=BB102_42 Depth=1
	s_or_b64 exec, exec, s[10:11]
.LBB102_46:                             ;   in Loop: Header=BB102_42 Depth=1
	v_ashrrev_i32_e32 v1, 31, v0
	v_lshlrev_b64 v[4:5], 2, v[0:1]
	v_add_co_u32_e32 v4, vcc, s16, v4
	v_addc_co_u32_e32 v5, vcc, v26, v5, vcc
	v_ashrrev_i32_e32 v13, 31, v12
	global_load_dword v1, v[4:5], off
	v_lshlrev_b64 v[4:5], 2, v[12:13]
	v_add_co_u32_e32 v4, vcc, s18, v4
	v_addc_co_u32_e32 v5, vcc, v27, v5, vcc
	global_load_dword v3, v[4:5], off
	s_waitcnt vmcnt(1)
	v_subrev_u32_e32 v1, s24, v1
	v_cmp_gt_i32_e32 vcc, v1, v12
	v_cndmask_b32_e32 v0, v0, v2, vcc
	s_waitcnt vmcnt(0)
	v_subrev_u32_e32 v2, s24, v3
	v_cmp_ne_u32_e32 vcc, v2, v0
	s_and_saveexec_b64 s[6:7], vcc
	s_cbranch_execz .LBB102_41
; %bb.47:                               ;   in Loop: Header=BB102_42 Depth=1
	v_ashrrev_i32_e32 v3, 31, v2
	v_lshlrev_b64 v[4:5], 4, v[2:3]
	v_lshlrev_b64 v[2:3], 3, v[12:13]
	v_mov_b32_e32 v1, s21
	v_add_co_u32_e32 v2, vcc, s20, v2
	v_addc_co_u32_e32 v3, vcc, v1, v3, vcc
	v_ashrrev_i32_e32 v1, 31, v0
	v_lshlrev_b64 v[0:1], 4, v[0:1]
	global_load_dwordx2 v[22:23], v[2:3], off
	v_mov_b32_e32 v2, s23
	v_add_co_u32_e32 v0, vcc, s22, v0
	v_addc_co_u32_e32 v1, vcc, v2, v1, vcc
	v_mov_b32_e32 v6, s29
	global_load_dwordx4 v[0:3], v[0:1], off
	v_add_co_u32_e32 v18, vcc, s28, v4
	v_addc_co_u32_e32 v19, vcc, v6, v5, vcc
	global_load_dwordx2 v[6:7], v[18:19], off
	s_mov_b64 s[10:11], 0
	s_waitcnt vmcnt(2)
	v_fma_f64 v[20:21], v[8:9], v[22:23], v[14:15]
	v_fma_f64 v[22:23], v[10:11], v[22:23], v[16:17]
	s_waitcnt vmcnt(1)
	v_mul_f64 v[24:25], v[2:3], -v[22:23]
	v_fmac_f64_e32 v[24:25], v[20:21], v[0:1]
.LBB102_48:                             ;   Parent Loop BB102_42 Depth=1
                                        ; =>  This Inner Loop Header: Depth=2
	s_waitcnt vmcnt(0)
	v_add_f64 v[4:5], v[6:7], v[24:25]
	global_atomic_cmpswap_x2 v[4:5], v[18:19], v[4:7], off glc
	s_waitcnt vmcnt(0)
	v_cmp_eq_u64_e32 vcc, v[4:5], v[6:7]
	s_or_b64 s[10:11], vcc, s[10:11]
	v_pk_mov_b32 v[6:7], v[4:5], v[4:5] op_sel:[0,1]
	s_andn2_b64 exec, exec, s[10:11]
	s_cbranch_execnz .LBB102_48
; %bb.49:                               ;   in Loop: Header=BB102_42 Depth=1
	s_or_b64 exec, exec, s[10:11]
	global_load_dwordx2 v[4:5], v[18:19], off offset:8
	v_mul_f64 v[6:7], v[20:21], v[2:3]
	v_fmac_f64_e32 v[6:7], v[22:23], v[0:1]
	s_mov_b64 s[10:11], 0
.LBB102_50:                             ;   Parent Loop BB102_42 Depth=1
                                        ; =>  This Inner Loop Header: Depth=2
	s_waitcnt vmcnt(0)
	v_add_f64 v[2:3], v[4:5], v[6:7]
	global_atomic_cmpswap_x2 v[0:1], v[18:19], v[2:5], off offset:8 glc
	s_waitcnt vmcnt(0)
	v_cmp_eq_u64_e32 vcc, v[0:1], v[4:5]
	s_or_b64 s[10:11], vcc, s[10:11]
	v_pk_mov_b32 v[4:5], v[0:1], v[0:1] op_sel:[0,1]
	s_andn2_b64 exec, exec, s[10:11]
	s_cbranch_execnz .LBB102_50
	s_branch .LBB102_41
.LBB102_51:
	s_endpgm
	.section	.rodata,"a",@progbits
	.p2align	6, 0x0
	.amdhsa_kernel _ZL33csrmvn_symm_large_adaptive_kernelIiid21rocsparse_complex_numIdES1_S1_EvbT_PKS2_N9rocsparse24const_host_device_scalarIT4_EES4_PKT0_PKT1_PKT2_S8_PT3_21rocsparse_index_base_b
		.amdhsa_group_segment_fixed_size 16384
		.amdhsa_private_segment_fixed_size 24
		.amdhsa_kernarg_size 96
		.amdhsa_user_sgpr_count 8
		.amdhsa_user_sgpr_private_segment_buffer 1
		.amdhsa_user_sgpr_dispatch_ptr 0
		.amdhsa_user_sgpr_queue_ptr 0
		.amdhsa_user_sgpr_kernarg_segment_ptr 1
		.amdhsa_user_sgpr_dispatch_id 0
		.amdhsa_user_sgpr_flat_scratch_init 1
		.amdhsa_user_sgpr_kernarg_preload_length 0
		.amdhsa_user_sgpr_kernarg_preload_offset 0
		.amdhsa_user_sgpr_private_segment_size 0
		.amdhsa_uses_dynamic_stack 0
		.amdhsa_system_sgpr_private_segment_wavefront_offset 1
		.amdhsa_system_sgpr_workgroup_id_x 1
		.amdhsa_system_sgpr_workgroup_id_y 0
		.amdhsa_system_sgpr_workgroup_id_z 0
		.amdhsa_system_sgpr_workgroup_info 0
		.amdhsa_system_vgpr_workitem_id 0
		.amdhsa_next_free_vgpr 28
		.amdhsa_next_free_sgpr 44
		.amdhsa_accum_offset 28
		.amdhsa_reserve_vcc 1
		.amdhsa_reserve_flat_scratch 1
		.amdhsa_float_round_mode_32 0
		.amdhsa_float_round_mode_16_64 0
		.amdhsa_float_denorm_mode_32 3
		.amdhsa_float_denorm_mode_16_64 3
		.amdhsa_dx10_clamp 1
		.amdhsa_ieee_mode 1
		.amdhsa_fp16_overflow 0
		.amdhsa_tg_split 0
		.amdhsa_exception_fp_ieee_invalid_op 0
		.amdhsa_exception_fp_denorm_src 0
		.amdhsa_exception_fp_ieee_div_zero 0
		.amdhsa_exception_fp_ieee_overflow 0
		.amdhsa_exception_fp_ieee_underflow 0
		.amdhsa_exception_fp_ieee_inexact 0
		.amdhsa_exception_int_div_zero 0
	.end_amdhsa_kernel
	.section	.text._ZL33csrmvn_symm_large_adaptive_kernelIiid21rocsparse_complex_numIdES1_S1_EvbT_PKS2_N9rocsparse24const_host_device_scalarIT4_EES4_PKT0_PKT1_PKT2_S8_PT3_21rocsparse_index_base_b,"axG",@progbits,_ZL33csrmvn_symm_large_adaptive_kernelIiid21rocsparse_complex_numIdES1_S1_EvbT_PKS2_N9rocsparse24const_host_device_scalarIT4_EES4_PKT0_PKT1_PKT2_S8_PT3_21rocsparse_index_base_b,comdat
.Lfunc_end102:
	.size	_ZL33csrmvn_symm_large_adaptive_kernelIiid21rocsparse_complex_numIdES1_S1_EvbT_PKS2_N9rocsparse24const_host_device_scalarIT4_EES4_PKT0_PKT1_PKT2_S8_PT3_21rocsparse_index_base_b, .Lfunc_end102-_ZL33csrmvn_symm_large_adaptive_kernelIiid21rocsparse_complex_numIdES1_S1_EvbT_PKS2_N9rocsparse24const_host_device_scalarIT4_EES4_PKT0_PKT1_PKT2_S8_PT3_21rocsparse_index_base_b
                                        ; -- End function
	.section	.AMDGPU.csdata,"",@progbits
; Kernel info:
; codeLenInByte = 2512
; NumSgprs: 50
; NumVgprs: 28
; NumAgprs: 0
; TotalNumVgprs: 28
; ScratchSize: 24
; MemoryBound: 0
; FloatMode: 240
; IeeeMode: 1
; LDSByteSize: 16384 bytes/workgroup (compile time only)
; SGPRBlocks: 6
; VGPRBlocks: 3
; NumSGPRsForWavesPerEU: 50
; NumVGPRsForWavesPerEU: 28
; AccumOffset: 28
; Occupancy: 4
; WaveLimiterHint : 1
; COMPUTE_PGM_RSRC2:SCRATCH_EN: 1
; COMPUTE_PGM_RSRC2:USER_SGPR: 8
; COMPUTE_PGM_RSRC2:TRAP_HANDLER: 0
; COMPUTE_PGM_RSRC2:TGID_X_EN: 1
; COMPUTE_PGM_RSRC2:TGID_Y_EN: 0
; COMPUTE_PGM_RSRC2:TGID_Z_EN: 0
; COMPUTE_PGM_RSRC2:TIDIG_COMP_CNT: 0
; COMPUTE_PGM_RSRC3_GFX90A:ACCUM_OFFSET: 6
; COMPUTE_PGM_RSRC3_GFX90A:TG_SPLIT: 0
	.section	.text._ZN9rocsparseL22csrmvn_adaptive_kernelIlid21rocsparse_complex_numIdES2_S2_EEvbT_PKS3_PjPKT0_NS_24const_host_device_scalarIT4_EES5_S9_PKT1_PKT2_SC_PT3_21rocsparse_index_base_b,"axG",@progbits,_ZN9rocsparseL22csrmvn_adaptive_kernelIlid21rocsparse_complex_numIdES2_S2_EEvbT_PKS3_PjPKT0_NS_24const_host_device_scalarIT4_EES5_S9_PKT1_PKT2_SC_PT3_21rocsparse_index_base_b,comdat
	.globl	_ZN9rocsparseL22csrmvn_adaptive_kernelIlid21rocsparse_complex_numIdES2_S2_EEvbT_PKS3_PjPKT0_NS_24const_host_device_scalarIT4_EES5_S9_PKT1_PKT2_SC_PT3_21rocsparse_index_base_b ; -- Begin function _ZN9rocsparseL22csrmvn_adaptive_kernelIlid21rocsparse_complex_numIdES2_S2_EEvbT_PKS3_PjPKT0_NS_24const_host_device_scalarIT4_EES5_S9_PKT1_PKT2_SC_PT3_21rocsparse_index_base_b
	.p2align	8
	.type	_ZN9rocsparseL22csrmvn_adaptive_kernelIlid21rocsparse_complex_numIdES2_S2_EEvbT_PKS3_PjPKT0_NS_24const_host_device_scalarIT4_EES5_S9_PKT1_PKT2_SC_PT3_21rocsparse_index_base_b,@function
_ZN9rocsparseL22csrmvn_adaptive_kernelIlid21rocsparse_complex_numIdES2_S2_EEvbT_PKS3_PjPKT0_NS_24const_host_device_scalarIT4_EES5_S9_PKT1_PKT2_SC_PT3_21rocsparse_index_base_b: ; @_ZN9rocsparseL22csrmvn_adaptive_kernelIlid21rocsparse_complex_numIdES2_S2_EEvbT_PKS3_PjPKT0_NS_24const_host_device_scalarIT4_EES5_S9_PKT1_PKT2_SC_PT3_21rocsparse_index_base_b
; %bb.0:
	s_add_u32 flat_scratch_lo, s6, s9
	s_load_dwordx2 s[46:47], s[4:5], 0x70
	s_load_dwordx4 s[16:19], s[4:5], 0x28
	s_addc_u32 flat_scratch_hi, s7, 0
	s_add_u32 s0, s0, s9
	s_load_dwordx4 s[12:15], s[4:5], 0x58
	s_addc_u32 s1, s1, 0
	s_waitcnt lgkmcnt(0)
	s_bitcmp1_b32 s47, 0
	v_mov_b32_e32 v1, 0
	v_mov_b32_e32 v3, s16
	s_cselect_b64 s[6:7], -1, 0
	v_cndmask_b32_e64 v2, v3, v1, s[6:7]
	v_mov_b32_e32 v1, s17
	s_mov_b64 s[10:11], src_private_base
	s_and_b64 vcc, s[6:7], exec
	buffer_store_dword v1, off, s[0:3], 0 offset:4
	buffer_store_dword v3, off, s[0:3], 0
	v_mov_b32_e32 v1, s13
	s_cselect_b32 s9, s11, s17
	buffer_store_dword v1, off, s[0:3], 0 offset:12
	v_mov_b32_e32 v1, s12
	buffer_store_dword v1, off, s[0:3], 0 offset:8
	v_mov_b32_e32 v3, s9
	flat_load_dwordx2 v[14:15], v[2:3]
	s_xor_b64 s[20:21], s[6:7], -1
	v_pk_mov_b32 v[16:17], s[18:19], s[18:19] op_sel:[0,1]
	s_cbranch_vccnz .LBB103_2
; %bb.1:
	v_pk_mov_b32 v[2:3], s[16:17], s[16:17] op_sel:[0,1]
	flat_load_dwordx2 v[16:17], v[2:3] offset:8
.LBB103_2:
	s_and_b64 s[16:17], s[6:7], exec
	s_cselect_b32 s9, s11, s13
	v_mov_b32_e32 v1, 8
	v_mov_b32_e32 v2, s12
	v_cndmask_b32_e64 v2, v2, v1, s[6:7]
	v_mov_b32_e32 v3, s9
	flat_load_dwordx2 v[10:11], v[2:3]
	s_andn2_b64 vcc, exec, s[20:21]
	v_pk_mov_b32 v[12:13], s[14:15], s[14:15] op_sel:[0,1]
	s_cbranch_vccnz .LBB103_4
; %bb.3:
	v_pk_mov_b32 v[2:3], s[12:13], s[12:13] op_sel:[0,1]
	flat_load_dwordx2 v[12:13], v[2:3] offset:8
.LBB103_4:
	s_waitcnt vmcnt(0) lgkmcnt(0)
	v_cmp_eq_f64_e32 vcc, 0, v[14:15]
	v_cmp_eq_f64_e64 s[6:7], 0, v[16:17]
	s_and_b64 s[12:13], vcc, s[6:7]
	s_mov_b64 s[6:7], -1
	s_and_saveexec_b64 s[10:11], s[12:13]
; %bb.5:
	v_cmp_neq_f64_e32 vcc, 1.0, v[10:11]
	v_cmp_neq_f64_e64 s[6:7], 0, v[12:13]
	s_or_b64 s[6:7], vcc, s[6:7]
	s_orn2_b64 s[6:7], s[6:7], exec
; %bb.6:
	s_or_b64 exec, exec, s[10:11]
	s_and_saveexec_b64 s[10:11], s[6:7]
	s_cbranch_execz .LBB103_121
; %bb.7:
	s_load_dwordx2 s[6:7], s[4:5], 0x10
	s_load_dwordx2 s[10:11], s[4:5], 0x20
	s_ashr_i32 s9, s8, 31
	s_lshl_b64 s[12:13], s[8:9], 3
	s_waitcnt lgkmcnt(0)
	s_add_u32 s6, s6, s12
	s_addc_u32 s7, s7, s13
	s_load_dwordx4 s[28:31], s[6:7], 0x0
	s_load_dwordx2 s[26:27], s[4:5], 0x68
	s_load_dwordx8 s[36:43], s[4:5], 0x38
	s_lshl_b64 s[48:49], s[8:9], 2
	s_waitcnt lgkmcnt(0)
	s_sub_i32 s9, s30, s28
	s_add_u32 s6, s10, s48
	s_addc_u32 s7, s11, s49
	s_lshl_b64 s[10:11], s[28:29], 3
	s_add_u32 s44, s36, s10
	s_addc_u32 s45, s37, s11
	s_load_dword s33, s[6:7], 0x0
	s_load_dwordx2 s[34:35], s[44:45], 0x0
	s_cmp_lt_i32 s9, 2
	s_mov_b64 s[6:7], -1
	s_cbranch_scc0 .LBB103_77
; %bb.8:
	s_cmp_lg_u32 s9, 1
	s_cselect_b64 s[6:7], -1, 0
	s_waitcnt lgkmcnt(0)
	s_cmp_lg_u32 s33, 0
	s_cselect_b64 s[10:11], -1, 0
	s_or_b64 s[10:11], s[6:7], s[10:11]
	s_mov_b64 s[6:7], -1
	s_and_b64 vcc, exec, s[10:11]
	s_cbranch_vccnz .LBB103_37
; %bb.9:
	v_pk_mov_b32 v[2:3], s[28:29], s[28:29] op_sel:[0,1]
	v_cmp_le_i64_e32 vcc, s[30:31], v[2:3]
	s_cbranch_vccnz .LBB103_36
; %bb.10:
	v_subrev_co_u32_e32 v1, vcc, s46, v0
	v_subb_co_u32_e64 v24, s[6:7], 0, 0, vcc
	s_mov_b32 s6, 0
	v_cmp_neq_f64_e32 vcc, 0, v[10:11]
	v_cmp_neq_f64_e64 s[24:25], 0, v[12:13]
	s_brev_b32 s7, 1
	s_or_b64 s[50:51], vcc, s[24:25]
	v_mul_f64 v[6:7], v[16:17], s[6:7]
	s_movk_i32 s6, 0x80
	s_add_u32 s9, s36, 8
	v_mul_f64 v[8:9], v[14:15], 0
	v_lshlrev_b32_e32 v25, 4, v0
	v_cmp_gt_u32_e64 s[6:7], s6, v0
	v_cmp_gt_u32_e64 s[10:11], 64, v0
	;; [unrolled: 1-line block ×7, first 2 shown]
	v_cmp_eq_u32_e64 s[22:23], 0, v0
	s_addc_u32 s47, s37, 0
	v_mov_b32_e32 v26, s43
	s_movk_i32 s62, 0x100
	v_mov_b32_e32 v27, 0
	s_mov_b64 s[54:55], s[34:35]
	s_mov_b64 s[52:53], s[28:29]
	s_branch .LBB103_13
.LBB103_11:                             ;   in Loop: Header=BB103_13 Depth=1
	s_or_b64 exec, exec, s[56:57]
	s_lshl_b64 s[56:57], s[52:53], 4
	s_add_u32 s56, s26, s56
	s_addc_u32 s57, s27, s57
	s_waitcnt lgkmcnt(0)
	global_store_dwordx4 v27, v[2:5], s[56:57]
.LBB103_12:                             ;   in Loop: Header=BB103_13 Depth=1
	s_or_b64 exec, exec, s[24:25]
	s_add_u32 s52, s52, 1
	s_addc_u32 s53, s53, 0
	v_pk_mov_b32 v[2:3], s[30:31], s[30:31] op_sel:[0,1]
	v_cmp_ge_i64_e32 vcc, s[52:53], v[2:3]
	s_cbranch_vccnz .LBB103_36
.LBB103_13:                             ; =>This Loop Header: Depth=1
                                        ;     Child Loop BB103_15 Depth 2
	s_mov_b64 s[24:25], s[54:55]
	s_lshl_b64 s[54:55], s[52:53], 3
	s_add_u32 s54, s9, s54
	s_addc_u32 s55, s47, s55
	s_load_dwordx2 s[54:55], s[54:55], 0x0
	v_mov_b32_e32 v2, s25
	v_add_co_u32_e32 v18, vcc, s24, v1
	v_addc_co_u32_e32 v19, vcc, v2, v24, vcc
	s_waitcnt lgkmcnt(0)
	s_sub_u32 s56, s54, s46
	s_subb_u32 s57, s55, 0
	v_pk_mov_b32 v[4:5], 0, 0
	v_cmp_gt_i64_e32 vcc, s[56:57], v[18:19]
	v_pk_mov_b32 v[2:3], v[4:5], v[4:5] op_sel:[0,1]
	s_and_saveexec_b64 s[58:59], vcc
	s_cbranch_execz .LBB103_17
; %bb.14:                               ;   in Loop: Header=BB103_13 Depth=1
	v_lshlrev_b64 v[2:3], 3, v[18:19]
	v_mov_b32_e32 v4, s41
	v_add_co_u32_e32 v20, vcc, s40, v2
	v_addc_co_u32_e32 v21, vcc, v4, v3, vcc
	v_lshlrev_b64 v[2:3], 2, v[18:19]
	v_mov_b32_e32 v4, s39
	v_add_co_u32_e32 v22, vcc, s38, v2
	v_addc_co_u32_e32 v23, vcc, v4, v3, vcc
	v_pk_mov_b32 v[4:5], 0, 0
	s_mov_b64 s[60:61], 0
	v_pk_mov_b32 v[2:3], v[4:5], v[4:5] op_sel:[0,1]
.LBB103_15:                             ;   Parent Loop BB103_13 Depth=1
                                        ; =>  This Inner Loop Header: Depth=2
	global_load_dword v28, v[22:23], off
	global_load_dwordx2 v[32:33], v[20:21], off
	s_waitcnt vmcnt(1)
	v_subrev_u32_e32 v28, s46, v28
	v_ashrrev_i32_e32 v29, 31, v28
	v_lshlrev_b64 v[28:29], 4, v[28:29]
	v_add_co_u32_e32 v28, vcc, s42, v28
	v_addc_co_u32_e32 v29, vcc, v26, v29, vcc
	global_load_dwordx4 v[28:31], v[28:29], off
	v_add_co_u32_e32 v18, vcc, s62, v18
	v_addc_co_u32_e32 v19, vcc, 0, v19, vcc
	v_add_co_u32_e32 v20, vcc, 0x800, v20
	v_addc_co_u32_e32 v21, vcc, 0, v21, vcc
	s_waitcnt vmcnt(1)
	v_fma_f64 v[34:35], v[14:15], v[32:33], v[6:7]
	v_fma_f64 v[32:33], v[16:17], v[32:33], v[8:9]
	v_add_co_u32_e32 v22, vcc, 0x400, v22
	v_cmp_le_i64_e64 s[24:25], s[56:57], v[18:19]
	v_addc_co_u32_e32 v23, vcc, 0, v23, vcc
	s_or_b64 s[60:61], s[24:25], s[60:61]
	s_waitcnt vmcnt(0)
	v_fmac_f64_e32 v[2:3], v[34:35], v[28:29]
	v_fmac_f64_e32 v[4:5], v[32:33], v[28:29]
	v_fma_f64 v[2:3], -v[32:33], v[30:31], v[2:3]
	v_fmac_f64_e32 v[4:5], v[34:35], v[30:31]
	s_andn2_b64 exec, exec, s[60:61]
	s_cbranch_execnz .LBB103_15
; %bb.16:                               ;   in Loop: Header=BB103_13 Depth=1
	s_or_b64 exec, exec, s[60:61]
.LBB103_17:                             ;   in Loop: Header=BB103_13 Depth=1
	s_or_b64 exec, exec, s[58:59]
	ds_write_b128 v25, v[2:5]
	s_waitcnt lgkmcnt(0)
	s_barrier
	s_and_saveexec_b64 s[24:25], s[6:7]
	s_cbranch_execz .LBB103_19
; %bb.18:                               ;   in Loop: Header=BB103_13 Depth=1
	ds_read_b128 v[2:5], v25 offset:2048
	ds_read_b128 v[18:21], v25
	s_waitcnt lgkmcnt(0)
	v_add_f64 v[2:3], v[2:3], v[18:19]
	v_add_f64 v[4:5], v[4:5], v[20:21]
	ds_write_b128 v25, v[2:5]
.LBB103_19:                             ;   in Loop: Header=BB103_13 Depth=1
	s_or_b64 exec, exec, s[24:25]
	s_waitcnt lgkmcnt(0)
	s_barrier
	s_and_saveexec_b64 s[24:25], s[10:11]
	s_cbranch_execz .LBB103_21
; %bb.20:                               ;   in Loop: Header=BB103_13 Depth=1
	ds_read_b128 v[2:5], v25 offset:1024
	ds_read_b128 v[18:21], v25
	s_waitcnt lgkmcnt(0)
	v_add_f64 v[2:3], v[2:3], v[18:19]
	v_add_f64 v[4:5], v[4:5], v[20:21]
	ds_write_b128 v25, v[2:5]
.LBB103_21:                             ;   in Loop: Header=BB103_13 Depth=1
	s_or_b64 exec, exec, s[24:25]
	;; [unrolled: 13-line block ×6, first 2 shown]
	s_waitcnt lgkmcnt(0)
	s_barrier
	s_and_saveexec_b64 s[24:25], s[20:21]
	s_cbranch_execz .LBB103_31
; %bb.30:                               ;   in Loop: Header=BB103_13 Depth=1
	ds_read_b128 v[2:5], v25
	ds_read_b128 v[18:21], v25 offset:32
	s_waitcnt lgkmcnt(0)
	v_add_f64 v[2:3], v[18:19], v[2:3]
	v_add_f64 v[4:5], v[20:21], v[4:5]
	ds_write_b128 v25, v[2:5]
.LBB103_31:                             ;   in Loop: Header=BB103_13 Depth=1
	s_or_b64 exec, exec, s[24:25]
	s_waitcnt lgkmcnt(0)
	s_barrier
	s_and_saveexec_b64 s[24:25], s[22:23]
	s_cbranch_execz .LBB103_33
; %bb.32:                               ;   in Loop: Header=BB103_13 Depth=1
	ds_read_b128 v[2:5], v27
	ds_read_b128 v[18:21], v27 offset:16
	s_waitcnt lgkmcnt(0)
	v_add_f64 v[2:3], v[18:19], v[2:3]
	v_add_f64 v[4:5], v[20:21], v[4:5]
	ds_write_b128 v27, v[2:5]
.LBB103_33:                             ;   in Loop: Header=BB103_13 Depth=1
	s_or_b64 exec, exec, s[24:25]
	s_waitcnt lgkmcnt(0)
	s_barrier
	s_and_saveexec_b64 s[24:25], s[22:23]
	s_cbranch_execz .LBB103_12
; %bb.34:                               ;   in Loop: Header=BB103_13 Depth=1
	ds_read_b128 v[2:5], v27
	s_and_saveexec_b64 s[56:57], s[50:51]
	s_cbranch_execz .LBB103_11
; %bb.35:                               ;   in Loop: Header=BB103_13 Depth=1
	s_lshl_b64 s[58:59], s[52:53], 4
	s_add_u32 s58, s26, s58
	s_addc_u32 s59, s27, s59
	global_load_dwordx4 v[18:21], v27, s[58:59]
	s_waitcnt vmcnt(0) lgkmcnt(0)
	v_fmac_f64_e32 v[2:3], v[10:11], v[18:19]
	v_fmac_f64_e32 v[4:5], v[12:13], v[18:19]
	v_fma_f64 v[2:3], -v[12:13], v[20:21], v[2:3]
	v_fmac_f64_e32 v[4:5], v[10:11], v[20:21]
	s_branch .LBB103_11
.LBB103_36:
	s_mov_b64 s[6:7], 0
.LBB103_37:
	s_andn2_b64 vcc, exec, s[6:7]
	s_cbranch_vccnz .LBB103_76
; %bb.38:
	s_load_dwordx2 s[10:11], s[4:5], 0x18
	s_sub_i32 s12, s8, s33
	v_or_b32_e32 v1, s33, v0
	v_pk_mov_b32 v[2:3], 0, 0
	v_cmp_eq_u32_e32 vcc, 0, v1
	s_waitcnt lgkmcnt(0)
	s_add_u32 s8, s10, s48
	s_addc_u32 s9, s11, s49
	s_load_dword s20, s[8:9], 0x0
	v_pk_mov_b32 v[4:5], v[2:3], v[2:3] op_sel:[0,1]
	s_and_saveexec_b64 s[6:7], vcc
	s_cbranch_execz .LBB103_42
; %bb.39:
	s_lshl_b64 s[16:17], s[28:29], 4
	s_add_u32 s16, s26, s16
	s_addc_u32 s17, s27, s17
	v_mov_b32_e32 v1, 0
	global_load_dwordx4 v[6:9], v1, s[16:17]
	s_mov_b64 s[14:15], exec
	v_mbcnt_lo_u32_b32 v2, s14, 0
	v_add_f64 v[18:19], v[10:11], -1.0
	v_mbcnt_hi_u32_b32 v20, s15, v2
	v_cmp_eq_u32_e32 vcc, 0, v20
	s_waitcnt vmcnt(0) expcnt(0) lgkmcnt(0)
	v_mul_f64 v[2:3], v[8:9], -v[12:13]
	v_mul_f64 v[4:5], v[18:19], v[8:9]
	s_and_saveexec_b64 s[16:17], vcc
	s_cbranch_execz .LBB103_41
; %bb.40:
	s_ashr_i32 s13, s12, 31
	s_lshl_b64 s[18:19], s[12:13], 2
	s_add_u32 s18, s10, s18
	s_addc_u32 s19, s11, s19
	s_bcnt1_i32_b64 s13, s[14:15]
	s_and_b32 s13, s13, 1
	v_mov_b32_e32 v8, s13
	global_atomic_xor v1, v8, s[18:19]
.LBB103_41:
	s_or_b64 exec, exec, s[16:17]
	v_fmac_f64_e32 v[2:3], v[18:19], v[6:7]
	v_fmac_f64_e32 v[4:5], v[12:13], v[6:7]
.LBB103_42:
	s_or_b64 exec, exec, s[6:7]
	s_load_dwordx2 s[6:7], s[44:45], 0x8
	s_sub_u32 s15, s34, s46
	s_mul_i32 s13, s33, 0xc00
	s_subb_u32 s16, s35, 0
	s_mul_hi_i32 s14, s33, 0xc00
	s_add_u32 s13, s15, s13
	s_addc_u32 s16, s16, s14
	s_waitcnt lgkmcnt(0)
	s_sub_u32 s6, s6, s46
	v_mov_b32_e32 v1, s16
	v_add_co_u32_e32 v6, vcc, s13, v0
	s_subb_u32 s7, s7, 0
	v_addc_co_u32_e32 v7, vcc, 0, v1, vcc
	v_cmp_gt_i64_e32 vcc, s[6:7], v[6:7]
	s_and_saveexec_b64 s[14:15], vcc
	s_cbranch_execz .LBB103_46
; %bb.43:
	s_add_u32 s18, s13, 0xc00
	s_addc_u32 s19, s16, 0
	v_pk_mov_b32 v[8:9], s[6:7], s[6:7] op_sel:[0,1]
	v_cmp_lt_i64_e32 vcc, s[18:19], v[8:9]
	v_lshlrev_b64 v[20:21], 3, v[6:7]
	s_and_b64 s[16:17], vcc, exec
	v_mov_b32_e32 v1, s41
	v_add_co_u32_e32 v20, vcc, s40, v20
	s_cselect_b32 s17, s19, s7
	s_cselect_b32 s16, s18, s6
	s_mov_b32 s6, 0
	v_addc_co_u32_e32 v21, vcc, v1, v21, vcc
	v_lshlrev_b64 v[22:23], 2, v[6:7]
	s_brev_b32 s7, 1
	v_mov_b32_e32 v1, s39
	v_add_co_u32_e32 v22, vcc, s38, v22
	v_mul_f64 v[8:9], v[16:17], s[6:7]
	s_mov_b64 s[18:19], 0
	v_mul_f64 v[18:19], v[14:15], 0
	v_addc_co_u32_e32 v23, vcc, v1, v23, vcc
	v_mov_b32_e32 v1, s43
	s_movk_i32 s13, 0x100
.LBB103_44:                             ; =>This Inner Loop Header: Depth=1
	global_load_dword v24, v[22:23], off
	global_load_dwordx2 v[28:29], v[20:21], off
	s_waitcnt vmcnt(1)
	v_subrev_u32_e32 v24, s46, v24
	v_ashrrev_i32_e32 v25, 31, v24
	v_lshlrev_b64 v[24:25], 4, v[24:25]
	v_add_co_u32_e32 v24, vcc, s42, v24
	v_addc_co_u32_e32 v25, vcc, v1, v25, vcc
	global_load_dwordx4 v[24:27], v[24:25], off
	v_add_co_u32_e32 v6, vcc, s13, v6
	v_addc_co_u32_e32 v7, vcc, 0, v7, vcc
	v_add_co_u32_e32 v20, vcc, 0x800, v20
	v_addc_co_u32_e32 v21, vcc, 0, v21, vcc
	s_waitcnt vmcnt(1)
	v_fma_f64 v[30:31], v[14:15], v[28:29], v[8:9]
	v_fma_f64 v[28:29], v[16:17], v[28:29], v[18:19]
	v_add_co_u32_e32 v22, vcc, 0x400, v22
	v_cmp_le_i64_e64 s[6:7], s[16:17], v[6:7]
	v_addc_co_u32_e32 v23, vcc, 0, v23, vcc
	s_or_b64 s[18:19], s[6:7], s[18:19]
	s_waitcnt vmcnt(0)
	v_fmac_f64_e32 v[2:3], v[30:31], v[24:25]
	v_fmac_f64_e32 v[4:5], v[28:29], v[24:25]
	v_fma_f64 v[2:3], -v[28:29], v[26:27], v[2:3]
	v_fmac_f64_e32 v[4:5], v[30:31], v[26:27]
	s_andn2_b64 exec, exec, s[18:19]
	s_cbranch_execnz .LBB103_44
; %bb.45:
	s_or_b64 exec, exec, s[18:19]
.LBB103_46:
	s_or_b64 exec, exec, s[14:15]
	s_movk_i32 s6, 0x80
	v_lshlrev_b32_e32 v1, 4, v0
	v_cmp_gt_u32_e32 vcc, s6, v0
	ds_write_b128 v1, v[2:5]
	s_waitcnt lgkmcnt(0)
	s_barrier
	s_and_saveexec_b64 s[6:7], vcc
	s_cbranch_execz .LBB103_48
; %bb.47:
	ds_read_b128 v[2:5], v1 offset:2048
	ds_read_b128 v[6:9], v1
	s_waitcnt lgkmcnt(0)
	v_add_f64 v[2:3], v[2:3], v[6:7]
	v_add_f64 v[4:5], v[4:5], v[8:9]
	ds_write_b128 v1, v[2:5]
.LBB103_48:
	s_or_b64 exec, exec, s[6:7]
	v_cmp_gt_u32_e32 vcc, 64, v0
	s_waitcnt lgkmcnt(0)
	s_barrier
	s_and_saveexec_b64 s[6:7], vcc
	s_cbranch_execz .LBB103_50
; %bb.49:
	ds_read_b128 v[2:5], v1 offset:1024
	ds_read_b128 v[6:9], v1
	s_waitcnt lgkmcnt(0)
	v_add_f64 v[2:3], v[2:3], v[6:7]
	v_add_f64 v[4:5], v[4:5], v[8:9]
	ds_write_b128 v1, v[2:5]
.LBB103_50:
	s_or_b64 exec, exec, s[6:7]
	v_cmp_gt_u32_e32 vcc, 32, v0
	;; [unrolled: 14-line block ×6, first 2 shown]
	s_waitcnt lgkmcnt(0)
	s_barrier
	s_and_saveexec_b64 s[6:7], vcc
	s_cbranch_execz .LBB103_60
; %bb.59:
	ds_read_b128 v[2:5], v1
	ds_read_b128 v[6:9], v1 offset:32
	s_waitcnt lgkmcnt(0)
	v_add_f64 v[2:3], v[6:7], v[2:3]
	v_add_f64 v[4:5], v[8:9], v[4:5]
	ds_write_b128 v1, v[2:5]
.LBB103_60:
	s_or_b64 exec, exec, s[6:7]
	v_cmp_eq_u32_e32 vcc, 0, v0
	s_waitcnt lgkmcnt(0)
	s_barrier
	s_and_saveexec_b64 s[6:7], vcc
	s_cbranch_execz .LBB103_62
; %bb.61:
	v_mov_b32_e32 v1, 0
	ds_read_b128 v[2:5], v1
	ds_read_b128 v[6:9], v1 offset:16
	s_waitcnt lgkmcnt(0)
	v_add_f64 v[2:3], v[6:7], v[2:3]
	v_add_f64 v[4:5], v[8:9], v[4:5]
	ds_write_b128 v1, v[2:5]
.LBB103_62:
	s_or_b64 exec, exec, s[6:7]
	s_waitcnt lgkmcnt(0)
	s_barrier
	s_and_saveexec_b64 s[6:7], vcc
	s_cbranch_execz .LBB103_75
; %bb.63:
	s_cmp_eq_u32 s33, 0
	s_cbranch_scc1 .LBB103_69
; %bb.64:
	s_ashr_i32 s13, s12, 31
	s_lshl_b64 s[12:13], s[12:13], 2
	s_add_u32 s10, s10, s12
	s_addc_u32 s11, s11, s13
	v_mov_b32_e32 v1, 0
	s_branch .LBB103_66
.LBB103_65:                             ;   in Loop: Header=BB103_66 Depth=1
	s_or_b64 exec, exec, s[12:13]
	s_waitcnt vmcnt(0)
	v_readfirstlane_b32 s12, v2
	s_cmp_eq_u32 s12, s20
	s_cbranch_scc0 .LBB103_68
.LBB103_66:                             ; =>This Inner Loop Header: Depth=1
	v_mbcnt_lo_u32_b32 v2, exec_lo, 0
	v_mbcnt_hi_u32_b32 v2, exec_hi, v2
	v_cmp_eq_u32_e32 vcc, 0, v2
                                        ; implicit-def: $vgpr2
	s_and_saveexec_b64 s[12:13], vcc
	s_cbranch_execz .LBB103_65
; %bb.67:                               ;   in Loop: Header=BB103_66 Depth=1
	global_load_dword v2, v1, s[10:11] glc
	s_branch .LBB103_65
.LBB103_68:
	v_mov_b32_e32 v1, 0
	global_load_dword v2, v1, s[8:9]
	s_waitcnt vmcnt(0)
	v_xor_b32_e32 v2, 1, v2
	global_store_dword v1, v2, s[8:9]
.LBB103_69:
	v_mov_b32_e32 v1, 0
	ds_read_b128 v[2:5], v1
	s_mov_b64 s[12:13], exec
	s_lshl_b64 s[8:9], s[28:29], 4
	v_mbcnt_lo_u32_b32 v6, s12, 0
	s_add_u32 s8, s26, s8
	v_mbcnt_hi_u32_b32 v6, s13, v6
	s_addc_u32 s9, s27, s9
	v_cmp_eq_u32_e32 vcc, 0, v6
	s_and_saveexec_b64 s[10:11], vcc
	s_cbranch_execz .LBB103_72
; %bb.70:
	global_load_dwordx2 v[8:9], v1, s[8:9]
	s_bcnt1_i32_b64 s12, s[12:13]
	v_cvt_f64_u32_e32 v[6:7], s12
	s_waitcnt lgkmcnt(0)
	v_mul_f64 v[2:3], v[2:3], v[6:7]
	s_mov_b64 s[12:13], 0
.LBB103_71:                             ; =>This Inner Loop Header: Depth=1
	s_waitcnt vmcnt(0)
	v_add_f64 v[6:7], v[8:9], v[2:3]
	global_atomic_cmpswap_x2 v[6:7], v1, v[6:9], s[8:9] glc
	s_waitcnt vmcnt(0)
	v_cmp_eq_u64_e32 vcc, v[6:7], v[8:9]
	s_or_b64 s[12:13], vcc, s[12:13]
	v_pk_mov_b32 v[8:9], v[6:7], v[6:7] op_sel:[0,1]
	s_andn2_b64 exec, exec, s[12:13]
	s_cbranch_execnz .LBB103_71
.LBB103_72:
	s_or_b64 exec, exec, s[10:11]
	s_mov_b64 s[10:11], exec
	v_mbcnt_lo_u32_b32 v1, s10, 0
	v_mbcnt_hi_u32_b32 v1, s11, v1
	v_cmp_eq_u32_e32 vcc, 0, v1
	s_and_b64 s[12:13], exec, vcc
	s_mov_b64 exec, s[12:13]
	s_cbranch_execz .LBB103_75
; %bb.73:
	v_mov_b32_e32 v1, 0
	global_load_dwordx2 v[6:7], v1, s[8:9] offset:8
	s_bcnt1_i32_b64 s10, s[10:11]
	s_waitcnt lgkmcnt(0)
	v_cvt_f64_u32_e32 v[2:3], s10
	v_mul_f64 v[2:3], v[4:5], v[2:3]
	s_mov_b64 s[10:11], 0
.LBB103_74:                             ; =>This Inner Loop Header: Depth=1
	s_waitcnt vmcnt(0)
	v_add_f64 v[4:5], v[6:7], v[2:3]
	global_atomic_cmpswap_x2 v[4:5], v1, v[4:7], s[8:9] offset:8 glc
	s_waitcnt vmcnt(0)
	v_cmp_eq_u64_e32 vcc, v[4:5], v[6:7]
	s_or_b64 s[10:11], vcc, s[10:11]
	v_pk_mov_b32 v[6:7], v[4:5], v[4:5] op_sel:[0,1]
	s_andn2_b64 exec, exec, s[10:11]
	s_cbranch_execnz .LBB103_74
.LBB103_75:
	s_or_b64 exec, exec, s[6:7]
.LBB103_76:
	s_mov_b64 s[6:7], 0
.LBB103_77:
	s_andn2_b64 vcc, exec, s[6:7]
	s_cbranch_vccnz .LBB103_121
; %bb.78:
	s_load_dwordx2 s[4:5], s[4:5], 0x8
	v_subrev_co_u32_e32 v1, vcc, s46, v0
	s_waitcnt lgkmcnt(0)
	v_subb_co_u32_e64 v3, s[6:7], 0, 0, vcc
	v_mov_b32_e32 v4, s35
	v_add_co_u32_e32 v2, vcc, s34, v1
	v_addc_co_u32_e32 v3, vcc, v4, v3, vcc
	v_add_co_u32_e32 v4, vcc, 0x300, v2
	v_addc_co_u32_e32 v5, vcc, 0, v3, vcc
	v_cmp_le_i64_e32 vcc, s[4:5], v[4:5]
	s_and_saveexec_b64 s[4:5], vcc
	s_xor_b64 s[6:7], exec, s[4:5]
	s_cbranch_execz .LBB103_83
; %bb.79:
	s_lshl_b64 s[4:5], s[30:31], 3
	s_add_u32 s4, s36, s4
	s_addc_u32 s5, s37, s5
	s_load_dwordx2 s[4:5], s[4:5], 0x0
	s_waitcnt lgkmcnt(0)
	s_sub_u32 s8, s4, s46
	s_subb_u32 s9, s5, 0
	v_cmp_gt_i64_e32 vcc, s[8:9], v[2:3]
	s_and_saveexec_b64 s[10:11], vcc
	s_cbranch_execz .LBB103_82
; %bb.80:
	v_lshlrev_b64 v[8:9], 3, v[2:3]
	v_mov_b32_e32 v18, s41
	v_add_co_u32_e32 v8, vcc, s40, v8
	s_mov_b32 s4, 0
	v_addc_co_u32_e32 v9, vcc, v18, v9, vcc
	v_lshlrev_b64 v[18:19], 2, v[2:3]
	s_brev_b32 s5, 1
	v_mov_b32_e32 v20, s39
	v_add_co_u32_e32 v18, vcc, s38, v18
	v_mul_f64 v[4:5], v[16:17], s[4:5]
	s_mov_b64 s[12:13], 0
	v_mul_f64 v[6:7], v[14:15], 0
	v_lshlrev_b32_e32 v1, 4, v0
	v_addc_co_u32_e32 v19, vcc, v20, v19, vcc
	v_mov_b32_e32 v20, s43
	s_movk_i32 s14, 0x100
.LBB103_81:                             ; =>This Inner Loop Header: Depth=1
	global_load_dword v21, v[18:19], off
	global_load_dwordx2 v[26:27], v[8:9], off
	s_waitcnt vmcnt(1)
	v_subrev_u32_e32 v22, s46, v21
	v_ashrrev_i32_e32 v23, 31, v22
	v_lshlrev_b64 v[22:23], 4, v[22:23]
	v_add_co_u32_e32 v22, vcc, s42, v22
	v_addc_co_u32_e32 v23, vcc, v20, v23, vcc
	global_load_dwordx4 v[22:25], v[22:23], off
	v_add_co_u32_e32 v2, vcc, s14, v2
	v_addc_co_u32_e32 v3, vcc, 0, v3, vcc
	v_add_co_u32_e32 v8, vcc, 0x800, v8
	s_waitcnt vmcnt(1)
	v_fma_f64 v[30:31], v[14:15], v[26:27], v[4:5]
	v_fma_f64 v[32:33], v[16:17], v[26:27], v[6:7]
	v_addc_co_u32_e32 v9, vcc, 0, v9, vcc
	v_add_co_u32_e32 v18, vcc, 0x400, v18
	v_cmp_le_i64_e64 s[4:5], s[8:9], v[2:3]
	v_addc_co_u32_e32 v19, vcc, 0, v19, vcc
	s_or_b64 s[12:13], s[4:5], s[12:13]
	s_waitcnt vmcnt(0)
	v_mul_f64 v[26:27], v[24:25], -v[32:33]
	v_mul_f64 v[28:29], v[30:31], v[24:25]
	v_fmac_f64_e32 v[26:27], v[30:31], v[22:23]
	v_fmac_f64_e32 v[28:29], v[32:33], v[22:23]
	ds_write_b128 v1, v[26:29]
	v_add_u32_e32 v1, 0x1000, v1
	s_andn2_b64 exec, exec, s[12:13]
	s_cbranch_execnz .LBB103_81
.LBB103_82:
	s_or_b64 exec, exec, s[10:11]
                                        ; implicit-def: $vgpr16_vgpr17
                                        ; implicit-def: $vgpr14_vgpr15
                                        ; implicit-def: $vgpr2_vgpr3
.LBB103_83:
	s_or_saveexec_b64 s[4:5], s[6:7]
	v_lshlrev_b32_e32 v18, 4, v0
	s_xor_b64 exec, exec, s[4:5]
	s_cbranch_execz .LBB103_85
; %bb.84:
	v_lshlrev_b64 v[4:5], 2, v[2:3]
	v_mov_b32_e32 v1, s39
	v_add_co_u32_e32 v4, vcc, s38, v4
	v_addc_co_u32_e32 v5, vcc, v1, v5, vcc
	global_load_dword v1, v[4:5], off
	global_load_dword v6, v[4:5], off offset:1024
	global_load_dword v7, v[4:5], off offset:2048
	;; [unrolled: 1-line block ×3, first 2 shown]
	v_lshlrev_b64 v[2:3], 3, v[2:3]
	v_mov_b32_e32 v4, s41
	v_add_co_u32_e32 v2, vcc, s40, v2
	s_movk_i32 s6, 0x1000
	v_addc_co_u32_e32 v3, vcc, v4, v3, vcc
	global_load_dwordx2 v[28:29], v[2:3], off
	global_load_dwordx2 v[30:31], v[2:3], off offset:2048
	v_add_co_u32_e32 v2, vcc, s6, v2
	v_addc_co_u32_e32 v3, vcc, 0, v3, vcc
	global_load_dwordx2 v[32:33], v[2:3], off
	global_load_dwordx2 v[34:35], v[2:3], off offset:2048
	v_mov_b32_e32 v19, s43
	s_mov_b32 s6, 0
	s_brev_b32 s7, 1
	v_mul_f64 v[40:41], v[14:15], 0
	v_mul_f64 v[42:43], v[16:17], s[6:7]
	s_waitcnt vmcnt(7)
	v_subrev_u32_e32 v2, s46, v1
	v_ashrrev_i32_e32 v3, 31, v2
	s_waitcnt vmcnt(6)
	v_subrev_u32_e32 v4, s46, v6
	v_lshlrev_b64 v[2:3], 4, v[2:3]
	v_ashrrev_i32_e32 v5, 31, v4
	v_add_co_u32_e32 v26, vcc, s42, v2
	s_waitcnt vmcnt(5)
	v_subrev_u32_e32 v6, s46, v7
	v_lshlrev_b64 v[4:5], 4, v[4:5]
	v_addc_co_u32_e32 v27, vcc, v19, v3, vcc
	v_ashrrev_i32_e32 v7, 31, v6
	v_add_co_u32_e32 v36, vcc, s42, v4
	s_waitcnt vmcnt(4)
	v_subrev_u32_e32 v8, s46, v8
	v_lshlrev_b64 v[6:7], 4, v[6:7]
	v_addc_co_u32_e32 v37, vcc, v19, v5, vcc
	v_ashrrev_i32_e32 v9, 31, v8
	v_add_co_u32_e32 v38, vcc, s42, v6
	v_lshlrev_b64 v[24:25], 4, v[8:9]
	v_addc_co_u32_e32 v39, vcc, v19, v7, vcc
	v_add_co_u32_e32 v24, vcc, s42, v24
	v_addc_co_u32_e32 v25, vcc, v19, v25, vcc
	global_load_dwordx4 v[2:5], v[26:27], off
	global_load_dwordx4 v[6:9], v[36:37], off
	;; [unrolled: 1-line block ×3, first 2 shown]
	s_waitcnt vmcnt(6)
	v_fma_f64 v[44:45], v[14:15], v[28:29], v[42:43]
	global_load_dwordx4 v[24:27], v[24:25], off
	v_fma_f64 v[46:47], v[16:17], v[28:29], v[40:41]
	s_waitcnt vmcnt(6)
	v_fma_f64 v[48:49], v[14:15], v[30:31], v[42:43]
	v_fma_f64 v[50:51], v[16:17], v[30:31], v[40:41]
	s_waitcnt vmcnt(5)
	v_fma_f64 v[52:53], v[14:15], v[32:33], v[42:43]
	v_fma_f64 v[54:55], v[16:17], v[32:33], v[40:41]
	s_waitcnt vmcnt(4)
	v_fmac_f64_e32 v[42:43], v[14:15], v[34:35]
	v_fmac_f64_e32 v[40:41], v[16:17], v[34:35]
	s_waitcnt vmcnt(3)
	v_mul_f64 v[14:15], v[4:5], -v[46:47]
	v_mul_f64 v[16:17], v[44:45], v[4:5]
	s_waitcnt vmcnt(2)
	v_mul_f64 v[28:29], v[8:9], -v[50:51]
	v_mul_f64 v[30:31], v[48:49], v[8:9]
	;; [unrolled: 3-line block ×4, first 2 shown]
	v_fmac_f64_e32 v[14:15], v[44:45], v[2:3]
	v_fmac_f64_e32 v[16:17], v[46:47], v[2:3]
	;; [unrolled: 1-line block ×8, first 2 shown]
	ds_write_b128 v18, v[14:17]
	ds_write_b128 v18, v[28:31] offset:4096
	ds_write_b128 v18, v[32:35] offset:8192
	ds_write_b128 v18, v[36:39] offset:12288
.LBB103_85:
	s_or_b64 exec, exec, s[4:5]
	s_cmp_lt_i32 s33, 2
	s_mov_b64 s[4:5], -1
	s_waitcnt lgkmcnt(0)
	s_barrier
	s_cbranch_scc0 .LBB103_96
; %bb.86:
	v_mov_b32_e32 v1, s29
	v_add_co_u32_e32 v14, vcc, s28, v0
	v_addc_co_u32_e32 v15, vcc, 0, v1, vcc
	v_cmp_gt_i64_e32 vcc, s[30:31], v[14:15]
	s_and_saveexec_b64 s[6:7], vcc
	s_cbranch_execz .LBB103_95
; %bb.87:
	v_cmp_neq_f64_e32 vcc, 0, v[10:11]
	v_cmp_neq_f64_e64 s[4:5], 0, v[12:13]
	s_lshl_b32 s10, s34, 4
	s_mov_b64 s[8:9], 0
	s_or_b64 s[4:5], vcc, s[4:5]
	s_sub_i32 s14, 0, s10
	v_mov_b32_e32 v1, s37
	v_mov_b32_e32 v16, s27
	s_branch .LBB103_89
.LBB103_88:                             ;   in Loop: Header=BB103_89 Depth=1
	s_or_b64 exec, exec, s[10:11]
	v_add_co_u32_e32 v6, vcc, s26, v6
	v_addc_co_u32_e32 v7, vcc, v16, v7, vcc
	v_add_co_u32_e32 v14, vcc, 0x100, v14
	v_addc_co_u32_e32 v15, vcc, 0, v15, vcc
	v_cmp_le_i64_e32 vcc, s[30:31], v[14:15]
	s_or_b64 s[8:9], vcc, s[8:9]
	global_store_dwordx4 v[6:7], v[2:5], off
	s_andn2_b64 exec, exec, s[8:9]
	s_cbranch_execz .LBB103_95
.LBB103_89:                             ; =>This Loop Header: Depth=1
                                        ;     Child Loop BB103_91 Depth 2
	v_lshlrev_b64 v[2:3], 3, v[14:15]
	v_add_co_u32_e32 v2, vcc, s36, v2
	v_addc_co_u32_e32 v3, vcc, v1, v3, vcc
	global_load_dwordx4 v[6:9], v[2:3], off
	v_pk_mov_b32 v[4:5], 0, 0
	v_pk_mov_b32 v[2:3], v[4:5], v[4:5] op_sel:[0,1]
	s_waitcnt vmcnt(0)
	v_subrev_u32_e32 v7, s34, v6
	v_subrev_u32_e32 v8, s34, v8
	v_cmp_lt_i32_e32 vcc, v7, v8
	s_and_saveexec_b64 s[10:11], vcc
	s_cbranch_execz .LBB103_93
; %bb.90:                               ;   in Loop: Header=BB103_89 Depth=1
	v_pk_mov_b32 v[4:5], 0, 0
	v_lshl_add_u32 v6, v6, 4, s14
	s_mov_b64 s[12:13], 0
	v_pk_mov_b32 v[2:3], v[4:5], v[4:5] op_sel:[0,1]
.LBB103_91:                             ;   Parent Loop BB103_89 Depth=1
                                        ; =>  This Inner Loop Header: Depth=2
	ds_read_b128 v[20:23], v6
	v_add_u32_e32 v7, 1, v7
	v_cmp_ge_i32_e32 vcc, v7, v8
	v_add_u32_e32 v6, 16, v6
	s_or_b64 s[12:13], vcc, s[12:13]
	s_waitcnt lgkmcnt(0)
	v_add_f64 v[2:3], v[2:3], v[20:21]
	v_add_f64 v[4:5], v[4:5], v[22:23]
	s_andn2_b64 exec, exec, s[12:13]
	s_cbranch_execnz .LBB103_91
; %bb.92:                               ;   in Loop: Header=BB103_89 Depth=1
	s_or_b64 exec, exec, s[12:13]
.LBB103_93:                             ;   in Loop: Header=BB103_89 Depth=1
	s_or_b64 exec, exec, s[10:11]
	v_lshlrev_b64 v[6:7], 4, v[14:15]
	s_and_saveexec_b64 s[10:11], s[4:5]
	s_cbranch_execz .LBB103_88
; %bb.94:                               ;   in Loop: Header=BB103_89 Depth=1
	v_mov_b32_e32 v9, s27
	v_add_co_u32_e32 v8, vcc, s26, v6
	v_addc_co_u32_e32 v9, vcc, v9, v7, vcc
	global_load_dwordx4 v[20:23], v[8:9], off
	s_waitcnt vmcnt(0)
	v_fmac_f64_e32 v[2:3], v[10:11], v[20:21]
	v_fmac_f64_e32 v[4:5], v[12:13], v[20:21]
	v_fma_f64 v[2:3], -v[12:13], v[22:23], v[2:3]
	v_fmac_f64_e32 v[4:5], v[10:11], v[22:23]
	s_branch .LBB103_88
.LBB103_95:
	s_or_b64 exec, exec, s[6:7]
	s_mov_b64 s[4:5], 0
.LBB103_96:
	s_andn2_b64 vcc, exec, s[4:5]
	s_cbranch_vccnz .LBB103_121
; %bb.97:
	s_flbit_i32_b32 s4, s33
	s_xor_b32 s4, s4, 31
	v_lshrrev_b32_e32 v6, s4, v0
	v_mov_b32_e32 v1, s29
	v_add_co_u32_e32 v4, vcc, s28, v6
	s_add_i32 s4, s33, -1
	v_addc_co_u32_e32 v5, vcc, 0, v1, vcc
	v_and_b32_e32 v7, s4, v0
	v_pk_mov_b32 v[0:1], 0, 0
	v_cmp_le_i64_e32 vcc, s[30:31], v[4:5]
	v_cmp_gt_i64_e64 s[4:5], s[30:31], v[4:5]
	v_pk_mov_b32 v[2:3], v[0:1], v[0:1] op_sel:[0,1]
	s_and_saveexec_b64 s[6:7], s[4:5]
	s_cbranch_execz .LBB103_103
; %bb.98:
	v_lshlrev_b32_e32 v0, 3, v6
	global_load_dword v1, v0, s[44:45] offset:8
	global_load_dword v8, v0, s[44:45]
	v_pk_mov_b32 v[2:3], 0, 0
	s_waitcnt vmcnt(1)
	v_subrev_u32_e32 v6, s34, v1
	s_waitcnt vmcnt(0)
	v_subrev_u32_e32 v0, s34, v8
	v_add_u32_e32 v8, v7, v0
	v_cmp_lt_i32_e64 s[4:5], v8, v6
	v_pk_mov_b32 v[0:1], v[2:3], v[2:3] op_sel:[0,1]
	s_and_saveexec_b64 s[8:9], s[4:5]
	s_cbranch_execz .LBB103_102
; %bb.99:
	v_pk_mov_b32 v[2:3], 0, 0
	v_lshlrev_b32_e32 v9, 4, v8
	s_lshl_b32 s12, s33, 4
	s_mov_b64 s[10:11], 0
	v_pk_mov_b32 v[0:1], v[2:3], v[2:3] op_sel:[0,1]
.LBB103_100:                            ; =>This Inner Loop Header: Depth=1
	ds_read_b128 v[14:17], v9
	v_add_u32_e32 v8, s33, v8
	v_cmp_ge_i32_e64 s[4:5], v8, v6
	v_add_u32_e32 v9, s12, v9
	s_or_b64 s[10:11], s[4:5], s[10:11]
	s_waitcnt lgkmcnt(0)
	v_add_f64 v[0:1], v[0:1], v[14:15]
	v_add_f64 v[2:3], v[2:3], v[16:17]
	s_andn2_b64 exec, exec, s[10:11]
	s_cbranch_execnz .LBB103_100
; %bb.101:
	s_or_b64 exec, exec, s[10:11]
.LBB103_102:
	s_or_b64 exec, exec, s[8:9]
.LBB103_103:
	s_or_b64 exec, exec, s[6:7]
	s_cmpk_lt_i32 s33, 0x81
	s_barrier
	ds_write_b128 v18, v[0:3]
	s_waitcnt lgkmcnt(0)
	s_barrier
	s_cbranch_scc1 .LBB103_105
; %bb.104:
	ds_read_b128 v[14:17], v18 offset:2048
	s_waitcnt lgkmcnt(0)
	s_barrier
	v_add_f64 v[0:1], v[0:1], v[14:15]
	v_add_f64 v[2:3], v[2:3], v[16:17]
	ds_write_b128 v18, v[0:3]
.LBB103_105:
	s_cmpk_lt_i32 s33, 0x41
	s_waitcnt lgkmcnt(0)
	s_barrier
	s_cbranch_scc1 .LBB103_107
; %bb.106:
	ds_read_b128 v[14:17], v18 offset:1024
	s_waitcnt lgkmcnt(0)
	s_barrier
	v_add_f64 v[0:1], v[0:1], v[14:15]
	v_add_f64 v[2:3], v[2:3], v[16:17]
	ds_write_b128 v18, v[0:3]
.LBB103_107:
	s_cmp_lt_i32 s33, 33
	s_waitcnt lgkmcnt(0)
	s_barrier
	s_cbranch_scc1 .LBB103_109
; %bb.108:
	ds_read_b128 v[14:17], v18 offset:512
	s_waitcnt lgkmcnt(0)
	s_barrier
	v_add_f64 v[0:1], v[0:1], v[14:15]
	v_add_f64 v[2:3], v[2:3], v[16:17]
	ds_write_b128 v18, v[0:3]
.LBB103_109:
	s_cmp_lt_i32 s33, 17
	;; [unrolled: 12-line block ×4, first 2 shown]
	s_waitcnt lgkmcnt(0)
	s_barrier
	s_cbranch_scc1 .LBB103_115
; %bb.114:
	ds_read_b128 v[14:17], v18 offset:64
	s_waitcnt lgkmcnt(0)
	s_barrier
	v_add_f64 v[0:1], v[0:1], v[14:15]
	v_add_f64 v[2:3], v[2:3], v[16:17]
	ds_write_b128 v18, v[0:3]
.LBB103_115:
	s_cmp_eq_u32 s33, 2
	s_waitcnt lgkmcnt(0)
	s_barrier
	s_cbranch_scc1 .LBB103_117
; %bb.116:
	ds_read_b128 v[14:17], v18 offset:32
	s_waitcnt lgkmcnt(0)
	s_barrier
	v_add_f64 v[0:1], v[0:1], v[14:15]
	v_add_f64 v[2:3], v[2:3], v[16:17]
	ds_write_b128 v18, v[0:3]
.LBB103_117:
	s_waitcnt lgkmcnt(0)
	s_barrier
	ds_read_b128 v[14:17], v18 offset:16
	v_cmp_eq_u32_e64 s[4:5], 0, v7
	s_xor_b64 s[6:7], vcc, -1
	s_and_b64 s[4:5], s[4:5], s[6:7]
	s_waitcnt lgkmcnt(0)
	v_add_f64 v[0:1], v[0:1], v[14:15]
	v_add_f64 v[2:3], v[2:3], v[16:17]
	s_barrier
	ds_write_b128 v18, v[0:3]
	s_and_b64 exec, exec, s[4:5]
	s_cbranch_execz .LBB103_121
; %bb.118:
	v_cmp_neq_f64_e32 vcc, 0, v[10:11]
	v_cmp_neq_f64_e64 s[4:5], 0, v[12:13]
	s_or_b64 s[6:7], vcc, s[4:5]
	v_lshlrev_b64 v[4:5], 4, v[4:5]
	s_and_saveexec_b64 s[4:5], s[6:7]
	s_cbranch_execz .LBB103_120
; %bb.119:
	v_mov_b32_e32 v7, s27
	v_add_co_u32_e32 v6, vcc, s26, v4
	v_addc_co_u32_e32 v7, vcc, v7, v5, vcc
	global_load_dwordx4 v[6:9], v[6:7], off
	s_waitcnt vmcnt(0)
	v_fmac_f64_e32 v[0:1], v[10:11], v[6:7]
	v_fmac_f64_e32 v[2:3], v[12:13], v[6:7]
	v_fma_f64 v[0:1], -v[12:13], v[8:9], v[0:1]
	v_fmac_f64_e32 v[2:3], v[10:11], v[8:9]
.LBB103_120:
	s_or_b64 exec, exec, s[4:5]
	v_mov_b32_e32 v6, s27
	v_add_co_u32_e32 v4, vcc, s26, v4
	v_addc_co_u32_e32 v5, vcc, v6, v5, vcc
	global_store_dwordx4 v[4:5], v[0:3], off
.LBB103_121:
	s_endpgm
	.section	.rodata,"a",@progbits
	.p2align	6, 0x0
	.amdhsa_kernel _ZN9rocsparseL22csrmvn_adaptive_kernelIlid21rocsparse_complex_numIdES2_S2_EEvbT_PKS3_PjPKT0_NS_24const_host_device_scalarIT4_EES5_S9_PKT1_PKT2_SC_PT3_21rocsparse_index_base_b
		.amdhsa_group_segment_fixed_size 16384
		.amdhsa_private_segment_fixed_size 24
		.amdhsa_kernarg_size 120
		.amdhsa_user_sgpr_count 8
		.amdhsa_user_sgpr_private_segment_buffer 1
		.amdhsa_user_sgpr_dispatch_ptr 0
		.amdhsa_user_sgpr_queue_ptr 0
		.amdhsa_user_sgpr_kernarg_segment_ptr 1
		.amdhsa_user_sgpr_dispatch_id 0
		.amdhsa_user_sgpr_flat_scratch_init 1
		.amdhsa_user_sgpr_kernarg_preload_length 0
		.amdhsa_user_sgpr_kernarg_preload_offset 0
		.amdhsa_user_sgpr_private_segment_size 0
		.amdhsa_uses_dynamic_stack 0
		.amdhsa_system_sgpr_private_segment_wavefront_offset 1
		.amdhsa_system_sgpr_workgroup_id_x 1
		.amdhsa_system_sgpr_workgroup_id_y 0
		.amdhsa_system_sgpr_workgroup_id_z 0
		.amdhsa_system_sgpr_workgroup_info 0
		.amdhsa_system_vgpr_workitem_id 0
		.amdhsa_next_free_vgpr 56
		.amdhsa_next_free_sgpr 63
		.amdhsa_accum_offset 56
		.amdhsa_reserve_vcc 1
		.amdhsa_reserve_flat_scratch 1
		.amdhsa_float_round_mode_32 0
		.amdhsa_float_round_mode_16_64 0
		.amdhsa_float_denorm_mode_32 3
		.amdhsa_float_denorm_mode_16_64 3
		.amdhsa_dx10_clamp 1
		.amdhsa_ieee_mode 1
		.amdhsa_fp16_overflow 0
		.amdhsa_tg_split 0
		.amdhsa_exception_fp_ieee_invalid_op 0
		.amdhsa_exception_fp_denorm_src 0
		.amdhsa_exception_fp_ieee_div_zero 0
		.amdhsa_exception_fp_ieee_overflow 0
		.amdhsa_exception_fp_ieee_underflow 0
		.amdhsa_exception_fp_ieee_inexact 0
		.amdhsa_exception_int_div_zero 0
	.end_amdhsa_kernel
	.section	.text._ZN9rocsparseL22csrmvn_adaptive_kernelIlid21rocsparse_complex_numIdES2_S2_EEvbT_PKS3_PjPKT0_NS_24const_host_device_scalarIT4_EES5_S9_PKT1_PKT2_SC_PT3_21rocsparse_index_base_b,"axG",@progbits,_ZN9rocsparseL22csrmvn_adaptive_kernelIlid21rocsparse_complex_numIdES2_S2_EEvbT_PKS3_PjPKT0_NS_24const_host_device_scalarIT4_EES5_S9_PKT1_PKT2_SC_PT3_21rocsparse_index_base_b,comdat
.Lfunc_end103:
	.size	_ZN9rocsparseL22csrmvn_adaptive_kernelIlid21rocsparse_complex_numIdES2_S2_EEvbT_PKS3_PjPKT0_NS_24const_host_device_scalarIT4_EES5_S9_PKT1_PKT2_SC_PT3_21rocsparse_index_base_b, .Lfunc_end103-_ZN9rocsparseL22csrmvn_adaptive_kernelIlid21rocsparse_complex_numIdES2_S2_EEvbT_PKS3_PjPKT0_NS_24const_host_device_scalarIT4_EES5_S9_PKT1_PKT2_SC_PT3_21rocsparse_index_base_b
                                        ; -- End function
	.section	.AMDGPU.csdata,"",@progbits
; Kernel info:
; codeLenInByte = 5168
; NumSgprs: 69
; NumVgprs: 56
; NumAgprs: 0
; TotalNumVgprs: 56
; ScratchSize: 24
; MemoryBound: 0
; FloatMode: 240
; IeeeMode: 1
; LDSByteSize: 16384 bytes/workgroup (compile time only)
; SGPRBlocks: 8
; VGPRBlocks: 6
; NumSGPRsForWavesPerEU: 69
; NumVGPRsForWavesPerEU: 56
; AccumOffset: 56
; Occupancy: 4
; WaveLimiterHint : 1
; COMPUTE_PGM_RSRC2:SCRATCH_EN: 1
; COMPUTE_PGM_RSRC2:USER_SGPR: 8
; COMPUTE_PGM_RSRC2:TRAP_HANDLER: 0
; COMPUTE_PGM_RSRC2:TGID_X_EN: 1
; COMPUTE_PGM_RSRC2:TGID_Y_EN: 0
; COMPUTE_PGM_RSRC2:TGID_Z_EN: 0
; COMPUTE_PGM_RSRC2:TIDIG_COMP_CNT: 0
; COMPUTE_PGM_RSRC3_GFX90A:ACCUM_OFFSET: 13
; COMPUTE_PGM_RSRC3_GFX90A:TG_SPLIT: 0
	.section	.text._ZN9rocsparseL27csrmvn_symm_adaptive_kernelIlid21rocsparse_complex_numIdES2_S2_EEvbT_S3_PKS3_NS_24const_host_device_scalarIT4_EES5_PKT0_PKT1_PKT2_S8_PT3_21rocsparse_index_base_b,"axG",@progbits,_ZN9rocsparseL27csrmvn_symm_adaptive_kernelIlid21rocsparse_complex_numIdES2_S2_EEvbT_S3_PKS3_NS_24const_host_device_scalarIT4_EES5_PKT0_PKT1_PKT2_S8_PT3_21rocsparse_index_base_b,comdat
	.globl	_ZN9rocsparseL27csrmvn_symm_adaptive_kernelIlid21rocsparse_complex_numIdES2_S2_EEvbT_S3_PKS3_NS_24const_host_device_scalarIT4_EES5_PKT0_PKT1_PKT2_S8_PT3_21rocsparse_index_base_b ; -- Begin function _ZN9rocsparseL27csrmvn_symm_adaptive_kernelIlid21rocsparse_complex_numIdES2_S2_EEvbT_S3_PKS3_NS_24const_host_device_scalarIT4_EES5_PKT0_PKT1_PKT2_S8_PT3_21rocsparse_index_base_b
	.p2align	8
	.type	_ZN9rocsparseL27csrmvn_symm_adaptive_kernelIlid21rocsparse_complex_numIdES2_S2_EEvbT_S3_PKS3_NS_24const_host_device_scalarIT4_EES5_PKT0_PKT1_PKT2_S8_PT3_21rocsparse_index_base_b,@function
_ZN9rocsparseL27csrmvn_symm_adaptive_kernelIlid21rocsparse_complex_numIdES2_S2_EEvbT_S3_PKS3_NS_24const_host_device_scalarIT4_EES5_PKT0_PKT1_PKT2_S8_PT3_21rocsparse_index_base_b: ; @_ZN9rocsparseL27csrmvn_symm_adaptive_kernelIlid21rocsparse_complex_numIdES2_S2_EEvbT_S3_PKS3_NS_24const_host_device_scalarIT4_EES5_PKT0_PKT1_PKT2_S8_PT3_21rocsparse_index_base_b
; %bb.0:
	s_add_u32 flat_scratch_lo, s6, s9
	s_addc_u32 flat_scratch_hi, s7, 0
	s_load_dwordx2 s[36:37], s[4:5], 0x68
	s_load_dwordx4 s[16:19], s[4:5], 0x20
	s_load_dwordx4 s[12:15], s[4:5], 0x50
	s_add_u32 s0, s0, s9
	s_addc_u32 s1, s1, 0
	s_waitcnt lgkmcnt(0)
	s_bitcmp1_b32 s37, 0
	v_mov_b32_e32 v1, 0
	v_mov_b32_e32 v3, s16
	s_cselect_b64 s[6:7], -1, 0
	v_cndmask_b32_e64 v2, v3, v1, s[6:7]
	v_mov_b32_e32 v1, s17
	s_mov_b64 s[10:11], src_private_base
	s_and_b64 vcc, s[6:7], exec
	buffer_store_dword v1, off, s[0:3], 0 offset:4
	buffer_store_dword v3, off, s[0:3], 0
	v_mov_b32_e32 v1, s13
	s_cselect_b32 s9, s11, s17
	buffer_store_dword v1, off, s[0:3], 0 offset:12
	v_mov_b32_e32 v1, s12
	buffer_store_dword v1, off, s[0:3], 0 offset:8
	v_mov_b32_e32 v3, s9
	flat_load_dwordx2 v[10:11], v[2:3]
	s_xor_b64 s[20:21], s[6:7], -1
	v_pk_mov_b32 v[12:13], s[18:19], s[18:19] op_sel:[0,1]
	s_cbranch_vccnz .LBB104_2
; %bb.1:
	v_pk_mov_b32 v[2:3], s[16:17], s[16:17] op_sel:[0,1]
	flat_load_dwordx2 v[12:13], v[2:3] offset:8
.LBB104_2:
	s_and_b64 s[16:17], s[6:7], exec
	s_cselect_b32 s9, s11, s13
	v_mov_b32_e32 v1, 8
	v_mov_b32_e32 v2, s12
	v_cndmask_b32_e64 v2, v2, v1, s[6:7]
	v_mov_b32_e32 v3, s9
	flat_load_dwordx2 v[2:3], v[2:3]
	s_andn2_b64 vcc, exec, s[20:21]
	v_pk_mov_b32 v[4:5], s[14:15], s[14:15] op_sel:[0,1]
	s_cbranch_vccnz .LBB104_4
; %bb.3:
	v_pk_mov_b32 v[4:5], s[12:13], s[12:13] op_sel:[0,1]
	flat_load_dwordx2 v[4:5], v[4:5] offset:8
.LBB104_4:
	s_waitcnt vmcnt(0) lgkmcnt(0)
	v_cmp_eq_f64_e32 vcc, 0, v[10:11]
	v_cmp_eq_f64_e64 s[6:7], 0, v[12:13]
	s_and_b64 s[12:13], vcc, s[6:7]
	s_mov_b64 s[6:7], -1
	s_and_saveexec_b64 s[10:11], s[12:13]
; %bb.5:
	v_cmp_neq_f64_e32 vcc, 1.0, v[2:3]
	v_cmp_neq_f64_e64 s[6:7], 0, v[4:5]
	s_or_b64 s[6:7], vcc, s[6:7]
	s_orn2_b64 s[6:7], s[6:7], exec
; %bb.6:
	s_or_b64 exec, exec, s[10:11]
	s_and_saveexec_b64 s[10:11], s[6:7]
	s_cbranch_execz .LBB104_196
; %bb.7:
	s_load_dwordx2 s[6:7], s[4:5], 0x18
	s_mov_b32 s33, 0
	s_ashr_i32 s9, s8, 31
	s_mov_b32 s12, s33
	s_mov_b32 s13, s33
	s_lshl_b64 s[8:9], s[8:9], 3
	s_mov_b32 s14, s33
	s_mov_b32 s15, s33
	v_pk_mov_b32 v[2:3], s[12:13], s[12:13] op_sel:[0,1]
	s_waitcnt lgkmcnt(0)
	s_add_u32 s6, s6, s8
	v_lshlrev_b32_e32 v28, 4, v0
	v_pk_mov_b32 v[4:5], s[14:15], s[14:15] op_sel:[0,1]
	s_addc_u32 s7, s7, s9
	ds_write_b128 v28, v[2:5]
	ds_write_b128 v28, v[2:5] offset:4096
	ds_write_b128 v28, v[2:5] offset:8192
	;; [unrolled: 1-line block ×3, first 2 shown]
	s_waitcnt lgkmcnt(0)
	s_barrier
	s_load_dwordx4 s[28:31], s[6:7], 0x0
	s_load_dwordx2 s[18:19], s[4:5], 0x60
	s_load_dwordx8 s[20:27], s[4:5], 0x30
	s_mov_b64 s[6:7], -1
	s_waitcnt lgkmcnt(0)
	s_sub_u32 s34, s30, s28
	s_subb_u32 s35, s31, s29
	v_cmp_gt_i64_e64 s[8:9], s[34:35], 2
	s_and_b64 vcc, exec, s[8:9]
	s_cbranch_vccnz .LBB104_53
; %bb.8:
	v_pk_mov_b32 v[2:3], s[28:29], s[28:29] op_sel:[0,1]
	v_cmp_gt_i64_e32 vcc, s[30:31], v[2:3]
	v_subrev_co_u32_e64 v1, s[6:7], s36, v0
	v_subb_co_u32_e64 v16, s[6:7], 0, 0, s[6:7]
	s_cbranch_vccnz .LBB104_10
; %bb.9:
	s_lshl_b64 s[6:7], s[28:29], 3
	s_add_u32 s6, s20, s6
	s_addc_u32 s7, s21, s7
	s_load_dwordx2 s[38:39], s[6:7], 0x0
	s_cbranch_execz .LBB104_11
	s_branch .LBB104_40
.LBB104_10:
                                        ; implicit-def: $sgpr38_sgpr39
.LBB104_11:
	s_lshl_b64 s[16:17], s[28:29], 3
	s_add_u32 s16, s20, s16
	s_addc_u32 s17, s21, s17
	s_waitcnt lgkmcnt(0)
	s_load_dwordx2 s[38:39], s[16:17], 0x0
	s_movk_i32 s37, 0x100
	s_add_u32 s50, s20, 8
	v_cmp_gt_u32_e64 s[6:7], s37, v0
	v_cmp_gt_u32_e64 s[8:9], 64, v0
	;; [unrolled: 1-line block ×4, first 2 shown]
	v_cmp_eq_u32_e64 s[14:15], 0, v0
	s_addc_u32 s51, s21, 0
	v_mov_b32_e32 v17, s27
	v_mov_b32_e32 v18, 0
	s_waitcnt lgkmcnt(0)
	s_mov_b64 s[42:43], s[38:39]
	s_mov_b64 s[40:41], s[28:29]
	s_branch .LBB104_13
.LBB104_12:                             ;   in Loop: Header=BB104_13 Depth=1
	s_or_b64 exec, exec, s[16:17]
	s_add_u32 s40, s40, 1
	s_addc_u32 s41, s41, 0
	v_pk_mov_b32 v[2:3], s[30:31], s[30:31] op_sel:[0,1]
	v_cmp_ge_i64_e32 vcc, s[40:41], v[2:3]
	s_cbranch_vccnz .LBB104_40
.LBB104_13:                             ; =>This Loop Header: Depth=1
                                        ;     Child Loop BB104_15 Depth 2
                                        ;     Child Loop BB104_29 Depth 2
	;; [unrolled: 1-line block ×5, first 2 shown]
	s_mov_b64 s[16:17], s[42:43]
	s_lshl_b64 s[42:43], s[40:41], 3
	s_add_u32 s42, s50, s42
	s_addc_u32 s43, s51, s43
	s_load_dwordx2 s[42:43], s[42:43], 0x0
	v_mov_b32_e32 v2, s17
	v_add_co_u32_e32 v6, vcc, s16, v1
	v_addc_co_u32_e32 v7, vcc, v2, v16, vcc
	s_waitcnt lgkmcnt(0)
	s_sub_u32 s44, s42, s36
	s_subb_u32 s45, s43, 0
	v_pk_mov_b32 v[4:5], 0, 0
	v_cmp_gt_i64_e32 vcc, s[44:45], v[6:7]
	v_pk_mov_b32 v[2:3], v[4:5], v[4:5] op_sel:[0,1]
	s_and_saveexec_b64 s[46:47], vcc
	s_cbranch_execz .LBB104_17
; %bb.14:                               ;   in Loop: Header=BB104_13 Depth=1
	v_lshlrev_b64 v[2:3], 2, v[6:7]
	v_mov_b32_e32 v4, s23
	v_add_co_u32_e32 v8, vcc, s22, v2
	v_addc_co_u32_e32 v9, vcc, v4, v3, vcc
	v_lshlrev_b64 v[2:3], 3, v[6:7]
	v_mov_b32_e32 v4, s25
	v_add_co_u32_e32 v14, vcc, s24, v2
	v_addc_co_u32_e32 v15, vcc, v4, v3, vcc
	v_pk_mov_b32 v[4:5], 0, 0
	s_mov_b64 s[48:49], 0
	v_pk_mov_b32 v[2:3], v[4:5], v[4:5] op_sel:[0,1]
.LBB104_15:                             ;   Parent Loop BB104_13 Depth=1
                                        ; =>  This Inner Loop Header: Depth=2
	global_load_dword v19, v[8:9], off
	global_load_dwordx2 v[24:25], v[14:15], off
	s_waitcnt vmcnt(1)
	v_subrev_u32_e32 v20, s36, v19
	v_ashrrev_i32_e32 v21, 31, v20
	v_lshlrev_b64 v[20:21], 4, v[20:21]
	v_add_co_u32_e32 v20, vcc, s26, v20
	v_addc_co_u32_e32 v21, vcc, v17, v21, vcc
	global_load_dwordx4 v[20:23], v[20:21], off
	v_add_co_u32_e32 v6, vcc, s37, v6
	v_addc_co_u32_e32 v7, vcc, 0, v7, vcc
	v_add_co_u32_e32 v8, vcc, 0x400, v8
	v_addc_co_u32_e32 v9, vcc, 0, v9, vcc
	v_add_co_u32_e32 v14, vcc, 0x800, v14
	v_cmp_le_i64_e64 s[16:17], s[44:45], v[6:7]
	v_addc_co_u32_e32 v15, vcc, 0, v15, vcc
	s_or_b64 s[48:49], s[16:17], s[48:49]
	s_waitcnt vmcnt(0)
	v_fmac_f64_e32 v[2:3], v[24:25], v[20:21]
	v_fmac_f64_e32 v[4:5], 0, v[20:21]
	;; [unrolled: 1-line block ×4, first 2 shown]
	s_andn2_b64 exec, exec, s[48:49]
	s_cbranch_execnz .LBB104_15
; %bb.16:                               ;   in Loop: Header=BB104_13 Depth=1
	s_or_b64 exec, exec, s[48:49]
.LBB104_17:                             ;   in Loop: Header=BB104_13 Depth=1
	s_or_b64 exec, exec, s[46:47]
	ds_write_b128 v28, v[2:5]
	s_waitcnt lgkmcnt(0)
	s_barrier
	s_and_saveexec_b64 s[16:17], s[6:7]
	s_cbranch_execz .LBB104_19
; %bb.18:                               ;   in Loop: Header=BB104_13 Depth=1
	ds_read_b128 v[2:5], v28 offset:4096
	ds_read_b128 v[6:9], v28 offset:8192
	ds_read_b128 v[20:23], v28 offset:12288
	ds_read_b128 v[24:27], v28
	s_waitcnt lgkmcnt(2)
	v_add_f64 v[2:3], v[6:7], v[2:3]
	v_add_f64 v[4:5], v[8:9], v[4:5]
	s_waitcnt lgkmcnt(1)
	v_add_f64 v[2:3], v[2:3], v[20:21]
	v_add_f64 v[4:5], v[4:5], v[22:23]
	s_waitcnt lgkmcnt(0)
	v_add_f64 v[2:3], v[2:3], v[24:25]
	v_add_f64 v[4:5], v[4:5], v[26:27]
	ds_write_b128 v28, v[2:5]
.LBB104_19:                             ;   in Loop: Header=BB104_13 Depth=1
	s_or_b64 exec, exec, s[16:17]
	s_waitcnt lgkmcnt(0)
	s_barrier
	s_and_saveexec_b64 s[16:17], s[8:9]
	s_cbranch_execz .LBB104_21
; %bb.20:                               ;   in Loop: Header=BB104_13 Depth=1
	ds_read_b128 v[2:5], v28 offset:1024
	ds_read_b128 v[6:9], v28 offset:2048
	ds_read_b128 v[20:23], v28 offset:3072
	ds_read_b128 v[24:27], v28
	s_waitcnt lgkmcnt(2)
	v_add_f64 v[2:3], v[6:7], v[2:3]
	v_add_f64 v[4:5], v[8:9], v[4:5]
	s_waitcnt lgkmcnt(1)
	v_add_f64 v[2:3], v[2:3], v[20:21]
	v_add_f64 v[4:5], v[4:5], v[22:23]
	s_waitcnt lgkmcnt(0)
	v_add_f64 v[2:3], v[2:3], v[24:25]
	v_add_f64 v[4:5], v[4:5], v[26:27]
	ds_write_b128 v28, v[2:5]
.LBB104_21:                             ;   in Loop: Header=BB104_13 Depth=1
	s_or_b64 exec, exec, s[16:17]
	s_waitcnt lgkmcnt(0)
	s_barrier
	s_and_saveexec_b64 s[16:17], s[10:11]
	s_cbranch_execz .LBB104_23
; %bb.22:                               ;   in Loop: Header=BB104_13 Depth=1
	ds_read_b128 v[2:5], v28 offset:256
	ds_read_b128 v[6:9], v28 offset:512
	ds_read_b128 v[20:23], v28 offset:768
	ds_read_b128 v[24:27], v28
	s_waitcnt lgkmcnt(2)
	v_add_f64 v[2:3], v[6:7], v[2:3]
	v_add_f64 v[4:5], v[8:9], v[4:5]
	s_waitcnt lgkmcnt(1)
	v_add_f64 v[2:3], v[2:3], v[20:21]
	v_add_f64 v[4:5], v[4:5], v[22:23]
	s_waitcnt lgkmcnt(0)
	v_add_f64 v[2:3], v[2:3], v[24:25]
	v_add_f64 v[4:5], v[4:5], v[26:27]
	ds_write_b128 v28, v[2:5]
.LBB104_23:                             ;   in Loop: Header=BB104_13 Depth=1
	s_or_b64 exec, exec, s[16:17]
	s_waitcnt lgkmcnt(0)
	s_barrier
	s_and_saveexec_b64 s[16:17], s[12:13]
	s_cbranch_execz .LBB104_25
; %bb.24:                               ;   in Loop: Header=BB104_13 Depth=1
	ds_read_b128 v[2:5], v28 offset:64
	ds_read_b128 v[6:9], v28 offset:128
	ds_read_b128 v[20:23], v28 offset:192
	ds_read_b128 v[24:27], v28
	s_waitcnt lgkmcnt(2)
	v_add_f64 v[2:3], v[6:7], v[2:3]
	v_add_f64 v[4:5], v[8:9], v[4:5]
	s_waitcnt lgkmcnt(1)
	v_add_f64 v[2:3], v[2:3], v[20:21]
	v_add_f64 v[4:5], v[4:5], v[22:23]
	s_waitcnt lgkmcnt(0)
	v_add_f64 v[2:3], v[2:3], v[24:25]
	v_add_f64 v[4:5], v[4:5], v[26:27]
	ds_write_b128 v28, v[2:5]
.LBB104_25:                             ;   in Loop: Header=BB104_13 Depth=1
	s_or_b64 exec, exec, s[16:17]
	s_waitcnt lgkmcnt(0)
	s_barrier
	s_and_saveexec_b64 s[16:17], s[14:15]
	s_cbranch_execz .LBB104_27
; %bb.26:                               ;   in Loop: Header=BB104_13 Depth=1
	ds_read_b128 v[2:5], v18 offset:16
	ds_read_b128 v[6:9], v18 offset:32
	ds_read_b128 v[20:23], v18 offset:48
	ds_read_b128 v[24:27], v28
	s_waitcnt lgkmcnt(2)
	v_add_f64 v[2:3], v[6:7], v[2:3]
	v_add_f64 v[4:5], v[8:9], v[4:5]
	s_waitcnt lgkmcnt(1)
	v_add_f64 v[2:3], v[2:3], v[20:21]
	v_add_f64 v[4:5], v[4:5], v[22:23]
	s_waitcnt lgkmcnt(0)
	v_add_f64 v[2:3], v[2:3], v[24:25]
	v_add_f64 v[4:5], v[4:5], v[26:27]
	ds_write_b128 v28, v[2:5]
.LBB104_27:                             ;   in Loop: Header=BB104_13 Depth=1
	s_or_b64 exec, exec, s[16:17]
	s_waitcnt lgkmcnt(0)
	s_barrier
	s_and_saveexec_b64 s[16:17], s[14:15]
	s_cbranch_execz .LBB104_12
; %bb.28:                               ;   in Loop: Header=BB104_13 Depth=1
	ds_read_b128 v[2:5], v18
	v_mov_b32_e32 v14, 0
	s_mov_b64 s[44:45], exec
	v_bfrev_b32_e32 v15, 1
	s_waitcnt lgkmcnt(0)
	v_mul_f64 v[6:7], v[4:5], -v[12:13]
	v_fmac_f64_e32 v[6:7], v[10:11], v[2:3]
.LBB104_29:                             ;   Parent Loop BB104_13 Depth=1
                                        ; =>  This Inner Loop Header: Depth=2
	s_ff1_i32_b64 s48, s[44:45]
	v_readlane_b32 s47, v7, s48
	v_readlane_b32 s46, v6, s48
	s_lshl_b64 s[48:49], 1, s48
	s_andn2_b64 s[44:45], s[44:45], s[48:49]
	s_cmp_lg_u64 s[44:45], 0
	v_add_f64 v[14:15], v[14:15], s[46:47]
	s_cbranch_scc1 .LBB104_29
; %bb.30:                               ;   in Loop: Header=BB104_13 Depth=1
	s_lshl_b64 s[44:45], s[40:41], 4
	v_mbcnt_lo_u32_b32 v6, exec_lo, 0
	s_add_u32 s44, s18, s44
	v_mbcnt_hi_u32_b32 v6, exec_hi, v6
	s_addc_u32 s45, s19, s45
	v_cmp_eq_u32_e32 vcc, 0, v6
	s_and_saveexec_b64 s[46:47], vcc
	s_xor_b64 s[46:47], exec, s[46:47]
	s_cbranch_execz .LBB104_34
; %bb.31:                               ;   in Loop: Header=BB104_13 Depth=1
	global_load_dwordx2 v[8:9], v18, s[44:45]
	s_mov_b64 s[48:49], 0
.LBB104_32:                             ;   Parent Loop BB104_13 Depth=1
                                        ; =>  This Inner Loop Header: Depth=2
	s_waitcnt vmcnt(0)
	v_add_f64 v[6:7], v[8:9], v[14:15]
	global_atomic_cmpswap_x2 v[6:7], v18, v[6:9], s[44:45] glc
	s_waitcnt vmcnt(0)
	v_cmp_eq_u64_e32 vcc, v[6:7], v[8:9]
	s_or_b64 s[48:49], vcc, s[48:49]
	v_pk_mov_b32 v[8:9], v[6:7], v[6:7] op_sel:[0,1]
	s_andn2_b64 exec, exec, s[48:49]
	s_cbranch_execnz .LBB104_32
; %bb.33:                               ;   in Loop: Header=BB104_13 Depth=1
	s_or_b64 exec, exec, s[48:49]
.LBB104_34:                             ;   in Loop: Header=BB104_13 Depth=1
	s_or_b64 exec, exec, s[46:47]
	v_mul_f64 v[4:5], v[10:11], v[4:5]
	v_mov_b32_e32 v6, 0
	s_mov_b64 s[46:47], exec
	v_fmac_f64_e32 v[4:5], v[12:13], v[2:3]
	v_bfrev_b32_e32 v7, 1
.LBB104_35:                             ;   Parent Loop BB104_13 Depth=1
                                        ; =>  This Inner Loop Header: Depth=2
	s_ff1_i32_b64 s52, s[46:47]
	v_readlane_b32 s49, v5, s52
	v_readlane_b32 s48, v4, s52
	s_lshl_b64 s[52:53], 1, s52
	s_andn2_b64 s[46:47], s[46:47], s[52:53]
	s_cmp_lg_u64 s[46:47], 0
	v_add_f64 v[6:7], v[6:7], s[48:49]
	s_cbranch_scc1 .LBB104_35
; %bb.36:                               ;   in Loop: Header=BB104_13 Depth=1
	v_mbcnt_lo_u32_b32 v2, exec_lo, 0
	v_mbcnt_hi_u32_b32 v2, exec_hi, v2
	v_cmp_eq_u32_e32 vcc, 0, v2
	s_and_saveexec_b64 s[46:47], vcc
	s_xor_b64 s[46:47], exec, s[46:47]
	s_cbranch_execz .LBB104_12
; %bb.37:                               ;   in Loop: Header=BB104_13 Depth=1
	global_load_dwordx2 v[4:5], v18, s[44:45] offset:8
	s_mov_b64 s[46:47], 0
.LBB104_38:                             ;   Parent Loop BB104_13 Depth=1
                                        ; =>  This Inner Loop Header: Depth=2
	s_waitcnt vmcnt(0)
	v_add_f64 v[2:3], v[4:5], v[6:7]
	global_atomic_cmpswap_x2 v[2:3], v18, v[2:5], s[44:45] offset:8 glc
	s_waitcnt vmcnt(0)
	v_cmp_eq_u64_e32 vcc, v[2:3], v[4:5]
	s_or_b64 s[46:47], vcc, s[46:47]
	v_pk_mov_b32 v[4:5], v[2:3], v[2:3] op_sel:[0,1]
	s_andn2_b64 exec, exec, s[46:47]
	s_cbranch_execnz .LBB104_38
; %bb.39:                               ;   in Loop: Header=BB104_13 Depth=1
	s_or_b64 exec, exec, s[46:47]
	s_branch .LBB104_12
.LBB104_40:
	s_lshl_b64 s[6:7], s[30:31], 3
	s_add_u32 s6, s20, s6
	s_addc_u32 s7, s21, s7
	s_load_dwordx2 s[6:7], s[6:7], 0x0
	s_waitcnt lgkmcnt(0)
	v_mov_b32_e32 v2, s39
	v_add_co_u32_e32 v14, vcc, s38, v1
	v_addc_co_u32_e32 v15, vcc, v2, v16, vcc
	s_sub_u32 s10, s6, s36
	s_subb_u32 s11, s7, 0
	v_cmp_gt_i64_e32 vcc, s[10:11], v[14:15]
	s_and_saveexec_b64 s[12:13], vcc
	s_cbranch_execz .LBB104_52
; %bb.41:
	s_add_u32 s14, s30, -1
	s_addc_u32 s15, s31, -1
	s_add_u32 s6, s30, -2
	s_addc_u32 s7, s31, -1
	v_pk_mov_b32 v[2:3], s[28:29], s[28:29] op_sel:[0,1]
	s_cmp_lg_u64 s[6:7], s[28:29]
	v_cmp_gt_i64_e32 vcc, s[14:15], v[2:3]
	s_cselect_b64 s[6:7], -1, 0
	s_mov_b32 s8, 0
	s_and_b64 s[6:7], vcc, s[6:7]
	s_brev_b32 s9, 1
	v_cndmask_b32_e64 v1, 0, 1, s[6:7]
	v_mul_f64 v[16:17], v[12:13], s[8:9]
	s_mov_b64 s[16:17], 0
	v_mul_f64 v[18:19], v[10:11], 0
	v_cmp_ne_u32_e64 s[6:7], 1, v1
	v_mov_b32_e32 v1, s21
	v_mov_b32_e32 v29, s33
	;; [unrolled: 1-line block ×3, first 2 shown]
	s_branch .LBB104_43
.LBB104_42:                             ;   in Loop: Header=BB104_43 Depth=1
	s_or_b64 exec, exec, s[8:9]
	v_add_co_u32_e32 v14, vcc, 0x100, v14
	v_addc_co_u32_e32 v15, vcc, 0, v15, vcc
	v_cmp_le_i64_e32 vcc, s[10:11], v[14:15]
	s_or_b64 s[16:17], vcc, s[16:17]
	s_andn2_b64 exec, exec, s[16:17]
	s_cbranch_execz .LBB104_52
.LBB104_43:                             ; =>This Loop Header: Depth=1
                                        ;     Child Loop BB104_45 Depth 2
                                        ;     Child Loop BB104_49 Depth 2
	;; [unrolled: 1-line block ×3, first 2 shown]
	s_and_b64 vcc, exec, s[6:7]
	v_pk_mov_b32 v[2:3], s[28:29], s[28:29] op_sel:[0,1]
	v_pk_mov_b32 v[4:5], s[14:15], s[14:15] op_sel:[0,1]
	s_cbranch_vccnz .LBB104_47
; %bb.44:                               ;   in Loop: Header=BB104_43 Depth=1
	s_mov_b64 s[38:39], 0
	v_pk_mov_b32 v[2:3], s[28:29], s[28:29] op_sel:[0,1]
	v_pk_mov_b32 v[4:5], s[14:15], s[14:15] op_sel:[0,1]
.LBB104_45:                             ;   Parent Loop BB104_43 Depth=1
                                        ; =>  This Inner Loop Header: Depth=2
	v_add_co_u32_e32 v6, vcc, v4, v2
	v_addc_co_u32_e32 v7, vcc, v5, v3, vcc
	v_lshrrev_b32_e32 v8, 31, v7
	v_add_co_u32_e32 v6, vcc, v6, v8
	v_addc_co_u32_e32 v7, vcc, 0, v7, vcc
	v_ashrrev_i64 v[6:7], 1, v[6:7]
	v_lshlrev_b64 v[8:9], 3, v[6:7]
	v_mov_b32_e32 v20, s21
	v_add_co_u32_e32 v8, vcc, s20, v8
	v_addc_co_u32_e32 v9, vcc, v20, v9, vcc
	global_load_dwordx2 v[8:9], v[8:9], off
	v_mov_b32_e32 v20, s33
	s_waitcnt vmcnt(0)
	v_subrev_co_u32_e32 v8, vcc, s36, v8
	v_subb_co_u32_e32 v9, vcc, v9, v20, vcc
	v_cmp_gt_i64_e32 vcc, v[8:9], v[14:15]
	v_cndmask_b32_e32 v4, v4, v6, vcc
	v_cndmask_b32_e32 v5, v5, v7, vcc
	v_cndmask_b32_e32 v2, v6, v2, vcc
	v_add_co_u32_e64 v6, s[8:9], -1, v4
	v_cndmask_b32_e32 v3, v7, v3, vcc
	v_addc_co_u32_e64 v7, s[8:9], -1, v5, s[8:9]
	v_cmp_ge_i64_e32 vcc, v[2:3], v[4:5]
	v_cmp_eq_u64_e64 s[8:9], v[2:3], v[6:7]
	s_or_b64 s[8:9], vcc, s[8:9]
	s_and_b64 s[8:9], exec, s[8:9]
	s_or_b64 s[38:39], s[8:9], s[38:39]
	s_andn2_b64 exec, exec, s[38:39]
	s_cbranch_execnz .LBB104_45
; %bb.46:                               ;   in Loop: Header=BB104_43 Depth=1
	s_or_b64 exec, exec, s[38:39]
.LBB104_47:                             ;   in Loop: Header=BB104_43 Depth=1
	v_lshlrev_b64 v[6:7], 3, v[4:5]
	v_add_co_u32_e32 v6, vcc, s20, v6
	v_addc_co_u32_e32 v7, vcc, v1, v7, vcc
	v_lshlrev_b64 v[8:9], 2, v[14:15]
	global_load_dwordx2 v[6:7], v[6:7], off
	v_add_co_u32_e32 v8, vcc, s22, v8
	v_addc_co_u32_e32 v9, vcc, v30, v9, vcc
	global_load_dword v20, v[8:9], off
	s_waitcnt vmcnt(1)
	v_subrev_co_u32_e32 v8, vcc, s36, v6
	v_subb_co_u32_e32 v9, vcc, v7, v29, vcc
	v_cmp_gt_i64_e32 vcc, v[8:9], v[14:15]
	s_waitcnt vmcnt(0)
	v_subrev_u32_e32 v6, s36, v20
	v_cndmask_b32_e32 v3, v5, v3, vcc
	v_cndmask_b32_e32 v2, v4, v2, vcc
	v_ashrrev_i32_e32 v7, 31, v6
	v_cmp_ne_u64_e32 vcc, v[2:3], v[6:7]
	s_and_saveexec_b64 s[8:9], vcc
	s_cbranch_execz .LBB104_42
; %bb.48:                               ;   in Loop: Header=BB104_43 Depth=1
	v_lshlrev_b64 v[4:5], 3, v[14:15]
	v_mov_b32_e32 v9, s25
	v_add_co_u32_e32 v4, vcc, s24, v4
	v_addc_co_u32_e32 v5, vcc, v9, v5, vcc
	v_lshlrev_b64 v[2:3], 4, v[2:3]
	global_load_dwordx2 v[24:25], v[4:5], off
	v_mov_b32_e32 v4, s27
	v_add_co_u32_e32 v2, vcc, s26, v2
	v_lshlrev_b64 v[6:7], 4, v[6:7]
	v_addc_co_u32_e32 v3, vcc, v4, v3, vcc
	v_mov_b32_e32 v8, s19
	global_load_dwordx4 v[2:5], v[2:3], off
	v_add_co_u32_e32 v20, vcc, s18, v6
	v_addc_co_u32_e32 v21, vcc, v8, v7, vcc
	global_load_dwordx2 v[8:9], v[20:21], off
	s_mov_b64 s[38:39], 0
	s_waitcnt vmcnt(2)
	v_fma_f64 v[22:23], v[10:11], v[24:25], v[16:17]
	v_fma_f64 v[24:25], v[12:13], v[24:25], v[18:19]
	s_waitcnt vmcnt(1)
	v_mul_f64 v[26:27], v[4:5], -v[24:25]
	v_fmac_f64_e32 v[26:27], v[22:23], v[2:3]
.LBB104_49:                             ;   Parent Loop BB104_43 Depth=1
                                        ; =>  This Inner Loop Header: Depth=2
	s_waitcnt vmcnt(0)
	v_add_f64 v[6:7], v[8:9], v[26:27]
	global_atomic_cmpswap_x2 v[6:7], v[20:21], v[6:9], off glc
	s_waitcnt vmcnt(0)
	v_cmp_eq_u64_e32 vcc, v[6:7], v[8:9]
	s_or_b64 s[38:39], vcc, s[38:39]
	v_pk_mov_b32 v[8:9], v[6:7], v[6:7] op_sel:[0,1]
	s_andn2_b64 exec, exec, s[38:39]
	s_cbranch_execnz .LBB104_49
; %bb.50:                               ;   in Loop: Header=BB104_43 Depth=1
	s_or_b64 exec, exec, s[38:39]
	global_load_dwordx2 v[6:7], v[20:21], off offset:8
	v_mul_f64 v[8:9], v[22:23], v[4:5]
	v_fmac_f64_e32 v[8:9], v[24:25], v[2:3]
	s_mov_b64 s[38:39], 0
.LBB104_51:                             ;   Parent Loop BB104_43 Depth=1
                                        ; =>  This Inner Loop Header: Depth=2
	s_waitcnt vmcnt(0)
	v_add_f64 v[4:5], v[6:7], v[8:9]
	global_atomic_cmpswap_x2 v[2:3], v[20:21], v[4:7], off offset:8 glc
	s_waitcnt vmcnt(0)
	v_cmp_eq_u64_e32 vcc, v[2:3], v[6:7]
	s_or_b64 s[38:39], vcc, s[38:39]
	v_pk_mov_b32 v[6:7], v[2:3], v[2:3] op_sel:[0,1]
	s_andn2_b64 exec, exec, s[38:39]
	s_cbranch_execnz .LBB104_51
	s_branch .LBB104_42
.LBB104_52:
	s_or_b64 exec, exec, s[12:13]
	s_mov_b64 s[6:7], 0
.LBB104_53:
	s_and_b64 vcc, exec, s[6:7]
	s_cbranch_vccz .LBB104_196
; %bb.54:
	s_load_dword s6, s[4:5], 0x7c
	s_mov_b32 s33, 0
	v_pk_mov_b32 v[2:3], s[34:35], s[34:35] op_sel:[0,1]
	s_mov_b32 s17, s33
	s_mov_b64 s[38:39], 0
	s_waitcnt lgkmcnt(0)
	s_and_b32 s16, s6, 0xffff
	v_cmp_lt_u64_e32 vcc, s[16:17], v[2:3]
	s_cbranch_vccnz .LBB104_56
; %bb.55:
	v_cvt_f32_u32_e32 v1, s34
	s_sub_i32 s6, 0, s34
	v_rcp_iflag_f32_e32 v1, v1
	v_mul_f32_e32 v1, 0x4f7ffffe, v1
	v_cvt_u32_f32_e32 v1, v1
	v_readfirstlane_b32 s7, v1
	s_mul_i32 s6, s6, s7
	s_mul_hi_u32 s6, s7, s6
	s_add_i32 s7, s7, s6
	s_mul_hi_u32 s6, s16, s7
	s_mul_i32 s8, s6, s34
	s_sub_i32 s8, s16, s8
	s_add_i32 s7, s6, 1
	s_sub_i32 s9, s8, s34
	s_cmp_ge_u32 s8, s34
	s_cselect_b32 s6, s7, s6
	s_cselect_b32 s8, s9, s8
	s_add_i32 s7, s6, 1
	s_cmp_ge_u32 s8, s34
	s_cselect_b32 s38, s7, s6
.LBB104_56:
	s_load_dwordx4 s[8:11], s[4:5], 0x8
	s_lshl_b64 s[4:5], s[28:29], 3
	s_add_u32 s14, s20, s4
	s_addc_u32 s15, s21, s5
	s_load_dwordx2 s[12:13], s[14:15], 0x0
	v_subrev_co_u32_e32 v2, vcc, s36, v0
	v_subb_co_u32_e64 v3, s[4:5], 0, 0, vcc
	s_waitcnt lgkmcnt(0)
	v_mov_b32_e32 v4, s13
	v_add_co_u32_e32 v14, vcc, s12, v2
	v_addc_co_u32_e32 v15, vcc, v4, v3, vcc
	v_add_co_u32_e32 v16, vcc, 0x300, v14
	v_addc_co_u32_e32 v17, vcc, 0, v15, vcc
	v_mov_b32_e32 v1, 0
	v_cmp_le_i64_e64 s[4:5], s[8:9], v[16:17]
	s_and_saveexec_b64 s[6:7], s[4:5]
	s_xor_b64 s[6:7], exec, s[6:7]
	s_cbranch_execnz .LBB104_59
; %bb.57:
	s_andn2_saveexec_b64 s[6:7], s[6:7]
	s_cbranch_execnz .LBB104_63
.LBB104_58:
	s_or_b64 exec, exec, s[6:7]
	v_cmp_gt_i64_e32 vcc, s[10:11], v[0:1]
	s_and_saveexec_b64 s[6:7], vcc
	s_cbranch_execnz .LBB104_64
	s_branch .LBB104_66
.LBB104_59:
	s_lshl_b64 s[8:9], s[30:31], 3
	s_add_u32 s8, s20, s8
	s_addc_u32 s9, s21, s9
	s_load_dwordx2 s[8:9], s[8:9], 0x0
	s_waitcnt lgkmcnt(0)
	s_sub_u32 s8, s8, s12
	s_subb_u32 s9, s9, s13
	v_cmp_gt_i64_e32 vcc, s[8:9], v[0:1]
	s_and_saveexec_b64 s[40:41], vcc
	s_cbranch_execz .LBB104_62
; %bb.60:
	v_lshlrev_b64 v[2:3], 3, v[14:15]
	s_mov_b32 s42, 0
	v_mov_b32_e32 v4, s25
	v_add_co_u32_e32 v2, vcc, s24, v2
	s_brev_b32 s43, 1
	v_addc_co_u32_e32 v3, vcc, v4, v3, vcc
	v_mul_f64 v[4:5], v[12:13], s[42:43]
	s_mov_b64 s[42:43], 0
	v_mul_f64 v[6:7], v[10:11], 0
	v_mov_b32_e32 v18, v28
	v_pk_mov_b32 v[8:9], v[0:1], v[0:1] op_sel:[0,1]
.LBB104_61:                             ; =>This Inner Loop Header: Depth=1
	global_load_dwordx2 v[22:23], v[2:3], off
	v_add_co_u32_e32 v2, vcc, 0x800, v2
	v_addc_co_u32_e32 v3, vcc, 0, v3, vcc
	v_add_co_u32_e32 v8, vcc, 0x100, v8
	v_addc_co_u32_e32 v9, vcc, 0, v9, vcc
	v_cmp_le_i64_e32 vcc, s[8:9], v[8:9]
	s_or_b64 s[42:43], vcc, s[42:43]
	s_waitcnt vmcnt(0)
	v_fma_f64 v[20:21], v[10:11], v[22:23], v[4:5]
	v_fma_f64 v[22:23], v[12:13], v[22:23], v[6:7]
	ds_write_b128 v18, v[20:23]
	v_add_u32_e32 v18, 0x1000, v18
	s_andn2_b64 exec, exec, s[42:43]
	s_cbranch_execnz .LBB104_61
.LBB104_62:
	s_or_b64 exec, exec, s[40:41]
                                        ; implicit-def: $vgpr12_vgpr13
                                        ; implicit-def: $vgpr10_vgpr11
	s_andn2_saveexec_b64 s[6:7], s[6:7]
	s_cbranch_execz .LBB104_58
.LBB104_63:
	v_lshlrev_b64 v[2:3], 3, v[14:15]
	v_mov_b32_e32 v4, s25
	v_add_co_u32_e32 v2, vcc, s24, v2
	v_addc_co_u32_e32 v3, vcc, v4, v3, vcc
	s_movk_i32 s8, 0x1000
	global_load_dwordx2 v[8:9], v[2:3], off
	global_load_dwordx2 v[20:21], v[2:3], off offset:2048
	v_add_co_u32_e32 v2, vcc, s8, v2
	v_addc_co_u32_e32 v3, vcc, 0, v3, vcc
	global_load_dwordx2 v[22:23], v[2:3], off
	global_load_dwordx2 v[24:25], v[2:3], off offset:2048
	s_mov_b32 s8, 0
	s_brev_b32 s9, 1
	v_mul_f64 v[4:5], v[10:11], 0
	v_mul_f64 v[2:3], v[12:13], s[8:9]
	s_waitcnt vmcnt(3)
	v_fma_f64 v[6:7], v[10:11], v[8:9], v[2:3]
	v_fma_f64 v[8:9], v[12:13], v[8:9], v[4:5]
	s_waitcnt vmcnt(2)
	v_fma_f64 v[18:19], v[10:11], v[20:21], v[2:3]
	v_fma_f64 v[20:21], v[12:13], v[20:21], v[4:5]
	ds_write_b128 v28, v[6:9]
	ds_write_b128 v28, v[18:21] offset:4096
	s_waitcnt vmcnt(1)
	v_fma_f64 v[6:7], v[10:11], v[22:23], v[2:3]
	v_fma_f64 v[8:9], v[12:13], v[22:23], v[4:5]
	s_waitcnt vmcnt(0)
	v_fmac_f64_e32 v[2:3], v[10:11], v[24:25]
	v_fmac_f64_e32 v[4:5], v[12:13], v[24:25]
	ds_write_b128 v28, v[6:9] offset:8192
	ds_write_b128 v28, v[2:5] offset:12288
	s_or_b64 exec, exec, s[6:7]
	v_cmp_gt_i64_e32 vcc, s[10:11], v[0:1]
	s_and_saveexec_b64 s[6:7], vcc
	s_cbranch_execz .LBB104_66
.LBB104_64:
	s_mov_b32 s24, 0
	v_mov_b32_e32 v2, 0x4000
	s_mov_b32 s25, s24
	s_mov_b32 s40, s24
	s_mov_b32 s41, s24
	v_lshl_add_u32 v8, v0, 4, v2
	s_mov_b64 s[8:9], 0
	v_pk_mov_b32 v[2:3], s[24:25], s[24:25] op_sel:[0,1]
	v_pk_mov_b32 v[4:5], s[40:41], s[40:41] op_sel:[0,1]
	;; [unrolled: 1-line block ×3, first 2 shown]
.LBB104_65:                             ; =>This Inner Loop Header: Depth=1
	v_add_co_u32_e32 v6, vcc, 0x100, v6
	v_addc_co_u32_e32 v7, vcc, 0, v7, vcc
	v_cmp_le_i64_e32 vcc, s[10:11], v[6:7]
	ds_write2_b64 v8, v[2:3], v[4:5] offset1:1
	s_or_b64 s[8:9], vcc, s[8:9]
	v_add_u32_e32 v8, 0x1000, v8
	s_andn2_b64 exec, exec, s[8:9]
	s_cbranch_execnz .LBB104_65
.LBB104_66:
	s_or_b64 exec, exec, s[6:7]
	s_sub_u32 s8, s30, s10
	v_pk_mov_b32 v[2:3], s[10:11], s[10:11] op_sel:[0,1]
	s_subb_u32 s9, s31, s11
	v_cmp_ge_i64_e32 vcc, s[30:31], v[2:3]
	s_and_b64 s[6:7], vcc, exec
	s_cselect_b32 s9, s9, 0
	s_cselect_b32 s8, s8, 0
	s_waitcnt lgkmcnt(0)
	s_barrier
	s_and_saveexec_b64 s[6:7], s[4:5]
	s_xor_b64 s[24:25], exec, s[6:7]
	s_cbranch_execz .LBB104_87
; %bb.67:
	s_lshl_b64 s[4:5], s[30:31], 3
	s_add_u32 s4, s20, s4
	s_addc_u32 s5, s21, s5
	s_load_dwordx2 s[4:5], s[4:5], 0x0
	s_waitcnt lgkmcnt(0)
	s_sub_u32 s40, s4, s12
	s_subb_u32 s41, s5, s13
	v_cmp_gt_i64_e32 vcc, s[40:41], v[0:1]
	s_and_saveexec_b64 s[42:43], vcc
	s_cbranch_execz .LBB104_86
; %bb.68:
	s_add_u32 s44, s30, -1
	s_addc_u32 s45, s31, -1
	s_add_u32 s6, s30, -2
	s_addc_u32 s7, s31, -1
	v_pk_mov_b32 v[2:3], s[28:29], s[28:29] op_sel:[0,1]
	s_cmp_lg_u64 s[6:7], s[28:29]
	v_cmp_gt_i64_e32 vcc, s[44:45], v[2:3]
	s_cselect_b64 s[6:7], -1, 0
	s_and_b64 s[6:7], vcc, s[6:7]
	s_sub_u32 s46, s4, s36
	v_cndmask_b32_e64 v2, 0, 1, s[6:7]
	s_subb_u32 s47, s5, 0
	s_mov_b64 s[48:49], 0
	v_cmp_ne_u32_e64 s[4:5], 1, v2
	v_mov_b32_e32 v24, s21
	v_mov_b32_e32 v25, s33
	;; [unrolled: 1-line block ×4, first 2 shown]
	s_mov_b64 s[50:51], 0
	s_branch .LBB104_71
.LBB104_69:                             ;   in Loop: Header=BB104_71 Depth=1
	s_or_b64 exec, exec, s[6:7]
.LBB104_70:                             ;   in Loop: Header=BB104_71 Depth=1
	s_or_b64 exec, exec, s[52:53]
	v_lshlrev_b64 v[6:7], 4, v[16:17]
	v_mov_b32_e32 v8, s27
	v_add_co_u32_e32 v6, vcc, s26, v6
	v_addc_co_u32_e32 v7, vcc, v8, v7, vcc
	global_load_dwordx4 v[6:9], v[6:7], off
	s_add_u32 s50, s50, 0x100
	s_addc_u32 s51, s51, 0
	v_mov_b32_e32 v11, s51
	v_add_co_u32_e32 v10, vcc, s50, v0
	v_addc_co_u32_e32 v11, vcc, 0, v11, vcc
	v_cmp_le_i64_e32 vcc, s[40:41], v[10:11]
	v_lshlrev_b32_e32 v16, 4, v29
	s_or_b64 s[48:49], vcc, s[48:49]
	s_waitcnt vmcnt(0)
	v_mul_f64 v[10:11], v[8:9], v[18:19]
	v_mul_f64 v[12:13], v[8:9], v[2:3]
	v_fmac_f64_e32 v[10:11], v[2:3], v[6:7]
	v_fmac_f64_e32 v[12:13], v[4:5], v[6:7]
	ds_write_b128 v16, v[10:13]
	s_andn2_b64 exec, exec, s[48:49]
	s_cbranch_execz .LBB104_86
.LBB104_71:                             ; =>This Loop Header: Depth=1
                                        ;     Child Loop BB104_73 Depth 2
                                        ;     Child Loop BB104_80 Depth 2
	;; [unrolled: 1-line block ×3, first 2 shown]
	v_mov_b32_e32 v3, s51
	v_add_co_u32_e32 v2, vcc, s50, v14
	v_addc_co_u32_e32 v3, vcc, v3, v15, vcc
	s_and_b64 vcc, exec, s[4:5]
	v_pk_mov_b32 v[4:5], s[28:29], s[28:29] op_sel:[0,1]
	v_pk_mov_b32 v[6:7], s[44:45], s[44:45] op_sel:[0,1]
	s_cbranch_vccnz .LBB104_75
; %bb.72:                               ;   in Loop: Header=BB104_71 Depth=1
	s_mov_b64 s[52:53], 0
	v_pk_mov_b32 v[4:5], s[28:29], s[28:29] op_sel:[0,1]
	v_pk_mov_b32 v[6:7], s[44:45], s[44:45] op_sel:[0,1]
.LBB104_73:                             ;   Parent Loop BB104_71 Depth=1
                                        ; =>  This Inner Loop Header: Depth=2
	v_add_co_u32_e32 v8, vcc, v6, v4
	v_addc_co_u32_e32 v9, vcc, v7, v5, vcc
	v_lshrrev_b32_e32 v10, 31, v9
	v_add_co_u32_e32 v8, vcc, v8, v10
	v_addc_co_u32_e32 v9, vcc, 0, v9, vcc
	v_ashrrev_i64 v[8:9], 1, v[8:9]
	v_lshlrev_b64 v[10:11], 3, v[8:9]
	v_mov_b32_e32 v12, s21
	v_add_co_u32_e32 v10, vcc, s20, v10
	v_addc_co_u32_e32 v11, vcc, v12, v11, vcc
	global_load_dwordx2 v[10:11], v[10:11], off
	v_mov_b32_e32 v12, s33
	s_waitcnt vmcnt(0)
	v_subrev_co_u32_e32 v10, vcc, s36, v10
	v_subb_co_u32_e32 v11, vcc, v11, v12, vcc
	v_cmp_gt_i64_e32 vcc, v[10:11], v[2:3]
	v_cndmask_b32_e32 v6, v6, v8, vcc
	v_cndmask_b32_e32 v7, v7, v9, vcc
	;; [unrolled: 1-line block ×3, first 2 shown]
	v_add_co_u32_e64 v8, s[6:7], -1, v6
	v_cndmask_b32_e32 v5, v9, v5, vcc
	v_addc_co_u32_e64 v9, s[6:7], -1, v7, s[6:7]
	v_cmp_ge_i64_e32 vcc, v[4:5], v[6:7]
	v_cmp_eq_u64_e64 s[6:7], v[4:5], v[8:9]
	s_or_b64 s[6:7], vcc, s[6:7]
	s_and_b64 s[6:7], exec, s[6:7]
	s_or_b64 s[52:53], s[6:7], s[52:53]
	s_andn2_b64 exec, exec, s[52:53]
	s_cbranch_execnz .LBB104_73
; %bb.74:                               ;   in Loop: Header=BB104_71 Depth=1
	s_or_b64 exec, exec, s[52:53]
.LBB104_75:                             ;   in Loop: Header=BB104_71 Depth=1
	v_lshlrev_b64 v[8:9], 3, v[6:7]
	v_add_co_u32_e32 v8, vcc, s20, v8
	v_addc_co_u32_e32 v9, vcc, v24, v9, vcc
	v_lshlrev_b64 v[10:11], 2, v[2:3]
	global_load_dwordx2 v[8:9], v[8:9], off
	v_add_co_u32_e32 v10, vcc, s22, v10
	v_addc_co_u32_e32 v11, vcc, v26, v11, vcc
	global_load_dword v10, v[10:11], off
	v_add_co_u32_e32 v29, vcc, s50, v0
	v_cmp_le_i64_e32 vcc, s[46:47], v[2:3]
                                        ; implicit-def: $vgpr18_vgpr19
	s_waitcnt vmcnt(1)
	v_subrev_co_u32_e64 v8, s[6:7], s36, v8
	v_subb_co_u32_e64 v9, s[6:7], v9, v25, s[6:7]
	v_cmp_gt_i64_e64 s[6:7], v[8:9], v[2:3]
	s_waitcnt vmcnt(0)
	v_subrev_u32_e32 v16, s36, v10
	v_cndmask_b32_e64 v7, v7, v5, s[6:7]
	v_ashrrev_i32_e32 v17, 31, v16
	v_cndmask_b32_e64 v6, v6, v4, s[6:7]
	v_cmp_eq_u64_e64 s[6:7], v[6:7], v[16:17]
	s_or_b64 s[6:7], s[6:7], vcc
	v_lshlrev_b32_e32 v10, 4, v29
                                        ; implicit-def: $vgpr2_vgpr3
	s_and_saveexec_b64 s[52:53], s[6:7]
	s_xor_b64 s[6:7], exec, s[52:53]
	s_cbranch_execz .LBB104_77
; %bb.76:                               ;   in Loop: Header=BB104_71 Depth=1
	ds_read_b128 v[2:5], v10
                                        ; implicit-def: $vgpr10
                                        ; implicit-def: $vgpr6_vgpr7
	s_waitcnt lgkmcnt(0)
	v_xor_b32_e32 v19, 0x80000000, v5
	v_mov_b32_e32 v18, v4
.LBB104_77:                             ;   in Loop: Header=BB104_71 Depth=1
	s_andn2_saveexec_b64 s[52:53], s[6:7]
	s_cbranch_execz .LBB104_70
; %bb.78:                               ;   in Loop: Header=BB104_71 Depth=1
	v_cmp_gt_i64_e32 vcc, s[8:9], v[16:17]
	v_cmp_le_i64_e64 s[6:7], s[30:31], v[16:17]
	s_or_b64 s[6:7], vcc, s[6:7]
	v_lshlrev_b64 v[6:7], 4, v[6:7]
                                        ; implicit-def: $vgpr2_vgpr3
                                        ; implicit-def: $vgpr18_vgpr19
	s_and_saveexec_b64 s[54:55], s[6:7]
	s_xor_b64 s[6:7], exec, s[54:55]
	s_cbranch_execz .LBB104_84
; %bb.79:                               ;   in Loop: Header=BB104_71 Depth=1
	v_mov_b32_e32 v5, s27
	v_add_co_u32_e32 v4, vcc, s26, v6
	v_lshlrev_b64 v[2:3], 4, v[16:17]
	v_addc_co_u32_e32 v5, vcc, v5, v7, vcc
	v_mov_b32_e32 v11, s19
	global_load_dwordx4 v[6:9], v[4:5], off
	v_add_co_u32_e32 v20, vcc, s18, v2
	v_addc_co_u32_e32 v21, vcc, v11, v3, vcc
	global_load_dwordx2 v[12:13], v[20:21], off
	ds_read_b128 v[2:5], v10
	s_mov_b64 s[54:55], 0
	s_waitcnt lgkmcnt(0)
	v_xor_b32_e32 v19, 0x80000000, v5
	v_mov_b32_e32 v18, v4
	s_waitcnt vmcnt(1)
	v_mul_f64 v[22:23], v[8:9], -v[4:5]
	v_fmac_f64_e32 v[22:23], v[2:3], v[6:7]
.LBB104_80:                             ;   Parent Loop BB104_71 Depth=1
                                        ; =>  This Inner Loop Header: Depth=2
	s_waitcnt vmcnt(0)
	v_add_f64 v[10:11], v[12:13], v[22:23]
	global_atomic_cmpswap_x2 v[10:11], v[20:21], v[10:13], off glc
	s_waitcnt vmcnt(0)
	v_cmp_eq_u64_e32 vcc, v[10:11], v[12:13]
	s_or_b64 s[54:55], vcc, s[54:55]
	v_pk_mov_b32 v[12:13], v[10:11], v[10:11] op_sel:[0,1]
	s_andn2_b64 exec, exec, s[54:55]
	s_cbranch_execnz .LBB104_80
; %bb.81:                               ;   in Loop: Header=BB104_71 Depth=1
	s_or_b64 exec, exec, s[54:55]
	global_load_dwordx2 v[10:11], v[20:21], off offset:8
	v_mul_f64 v[12:13], v[8:9], v[2:3]
	v_fmac_f64_e32 v[12:13], v[4:5], v[6:7]
	s_mov_b64 s[54:55], 0
.LBB104_82:                             ;   Parent Loop BB104_71 Depth=1
                                        ; =>  This Inner Loop Header: Depth=2
	s_waitcnt vmcnt(0)
	v_add_f64 v[8:9], v[10:11], v[12:13]
	global_atomic_cmpswap_x2 v[6:7], v[20:21], v[8:11], off offset:8 glc
	s_waitcnt vmcnt(0)
	v_cmp_eq_u64_e32 vcc, v[6:7], v[10:11]
	s_or_b64 s[54:55], vcc, s[54:55]
	v_pk_mov_b32 v[10:11], v[6:7], v[6:7] op_sel:[0,1]
	s_andn2_b64 exec, exec, s[54:55]
	s_cbranch_execnz .LBB104_82
; %bb.83:                               ;   in Loop: Header=BB104_71 Depth=1
	s_or_b64 exec, exec, s[54:55]
                                        ; implicit-def: $vgpr6_vgpr7
                                        ; implicit-def: $vgpr10
.LBB104_84:                             ;   in Loop: Header=BB104_71 Depth=1
	s_andn2_saveexec_b64 s[6:7], s[6:7]
	s_cbranch_execz .LBB104_69
; %bb.85:                               ;   in Loop: Header=BB104_71 Depth=1
	v_mov_b32_e32 v3, s27
	v_add_co_u32_e32 v2, vcc, s26, v6
	v_addc_co_u32_e32 v3, vcc, v3, v7, vcc
	global_load_dwordx4 v[6:9], v[2:3], off
	ds_read_b128 v[2:5], v10
	v_subrev_u32_e32 v10, s8, v16
	v_lshl_add_u32 v12, v10, 4, v27
	s_waitcnt lgkmcnt(0)
	v_xor_b32_e32 v19, 0x80000000, v5
	v_mov_b32_e32 v18, v4
	s_waitcnt vmcnt(0)
	v_mul_f64 v[10:11], v[8:9], -v[4:5]
	v_mul_f64 v[8:9], v[8:9], v[2:3]
	v_fmac_f64_e32 v[10:11], v[2:3], v[6:7]
	v_fmac_f64_e32 v[8:9], v[4:5], v[6:7]
	ds_add_f64 v12, v[10:11]
	ds_add_f64 v12, v[8:9] offset:8
	s_branch .LBB104_69
.LBB104_86:
	s_or_b64 exec, exec, s[42:43]
                                        ; implicit-def: $vgpr16_vgpr17
                                        ; implicit-def: $vgpr14
.LBB104_87:
	s_andn2_saveexec_b64 s[24:25], s[24:25]
	s_cbranch_execz .LBB104_145
; %bb.88:
	s_add_u32 s40, s30, -1
	s_addc_u32 s41, s31, -1
	s_add_u32 s4, s30, -2
	s_addc_u32 s5, s31, -1
	v_pk_mov_b32 v[2:3], s[28:29], s[28:29] op_sel:[0,1]
	s_cmp_eq_u64 s[4:5], s[28:29]
	v_cmp_le_i64_e32 vcc, s[40:41], v[2:3]
	s_cselect_b64 s[4:5], -1, 0
	s_or_b64 s[6:7], vcc, s[4:5]
	s_and_b64 vcc, exec, s[6:7]
	v_pk_mov_b32 v[4:5], s[40:41], s[40:41] op_sel:[0,1]
	s_cbranch_vccnz .LBB104_92
; %bb.89:
	s_mov_b64 s[42:43], 0
	v_pk_mov_b32 v[2:3], s[28:29], s[28:29] op_sel:[0,1]
	v_pk_mov_b32 v[4:5], s[40:41], s[40:41] op_sel:[0,1]
	v_mov_b32_e32 v6, s21
	v_mov_b32_e32 v7, s33
.LBB104_90:                             ; =>This Inner Loop Header: Depth=1
	v_add_co_u32_e32 v8, vcc, v4, v2
	v_addc_co_u32_e32 v9, vcc, v5, v3, vcc
	v_lshrrev_b32_e32 v10, 31, v9
	v_add_co_u32_e32 v8, vcc, v8, v10
	v_addc_co_u32_e32 v9, vcc, 0, v9, vcc
	v_ashrrev_i64 v[8:9], 1, v[8:9]
	v_lshlrev_b64 v[10:11], 3, v[8:9]
	v_add_co_u32_e32 v10, vcc, s20, v10
	v_addc_co_u32_e32 v11, vcc, v6, v11, vcc
	global_load_dwordx2 v[10:11], v[10:11], off
	s_waitcnt vmcnt(0)
	v_subrev_co_u32_e32 v10, vcc, s36, v10
	v_subb_co_u32_e32 v11, vcc, v11, v7, vcc
	v_cmp_gt_i64_e32 vcc, v[10:11], v[14:15]
	v_cndmask_b32_e32 v4, v4, v8, vcc
	v_cndmask_b32_e32 v5, v5, v9, vcc
	;; [unrolled: 1-line block ×3, first 2 shown]
	v_add_co_u32_e64 v8, s[4:5], -1, v4
	v_cndmask_b32_e32 v3, v9, v3, vcc
	v_addc_co_u32_e64 v9, s[4:5], -1, v5, s[4:5]
	v_cmp_ge_i64_e32 vcc, v[2:3], v[4:5]
	v_cmp_eq_u64_e64 s[4:5], v[2:3], v[8:9]
	s_or_b64 s[4:5], vcc, s[4:5]
	s_and_b64 s[4:5], exec, s[4:5]
	s_or_b64 s[42:43], s[4:5], s[42:43]
	s_andn2_b64 exec, exec, s[42:43]
	s_cbranch_execnz .LBB104_90
; %bb.91:
	s_or_b64 exec, exec, s[42:43]
.LBB104_92:
	v_lshlrev_b64 v[6:7], 3, v[4:5]
	v_mov_b32_e32 v8, s21
	v_add_co_u32_e32 v6, vcc, s20, v6
	v_addc_co_u32_e32 v7, vcc, v8, v7, vcc
	v_lshlrev_b64 v[8:9], 2, v[14:15]
	global_load_dwordx2 v[6:7], v[6:7], off
	v_mov_b32_e32 v10, s23
	v_add_co_u32_e32 v18, vcc, s22, v8
	v_addc_co_u32_e32 v19, vcc, v10, v9, vcc
	global_load_dword v8, v[18:19], off
	v_mov_b32_e32 v9, s33
	s_xor_b64 s[6:7], s[6:7], -1
	s_lshl_b64 s[4:5], s[30:31], 3
	s_add_u32 s22, s20, s4
	s_addc_u32 s23, s21, s5
	s_waitcnt vmcnt(1)
	v_subrev_co_u32_e32 v6, vcc, s36, v6
	v_subb_co_u32_e32 v7, vcc, v7, v9, vcc
	v_cmp_gt_i64_e32 vcc, v[6:7], v[14:15]
	v_cndmask_b32_e32 v3, v5, v3, vcc
	s_waitcnt vmcnt(0)
	v_subrev_u32_e32 v20, s36, v8
	v_cndmask_b32_e32 v2, v4, v2, vcc
	v_ashrrev_i32_e32 v21, 31, v20
	v_cmp_ne_u64_e32 vcc, v[2:3], v[20:21]
	s_and_saveexec_b64 s[42:43], vcc
	s_cbranch_execz .LBB104_102
; %bb.93:
	s_load_dwordx2 s[4:5], s[22:23], 0x0
	s_waitcnt lgkmcnt(0)
	s_sub_u32 s4, s4, s36
	s_subb_u32 s5, s5, 0
	v_cmp_gt_i64_e32 vcc, s[4:5], v[14:15]
	s_and_b64 exec, exec, vcc
	s_cbranch_execz .LBB104_102
; %bb.94:
	v_cmp_gt_i64_e32 vcc, s[8:9], v[20:21]
	v_cmp_le_i64_e64 s[4:5], s[30:31], v[20:21]
	s_or_b64 s[4:5], vcc, s[4:5]
	v_lshlrev_b64 v[2:3], 4, v[2:3]
	s_and_saveexec_b64 s[44:45], s[4:5]
	s_xor_b64 s[4:5], exec, s[44:45]
	s_cbranch_execz .LBB104_100
; %bb.95:
	v_mov_b32_e32 v4, s27
	v_add_co_u32_e32 v2, vcc, s26, v2
	v_lshlrev_b64 v[6:7], 4, v[20:21]
	v_addc_co_u32_e32 v3, vcc, v4, v3, vcc
	v_mov_b32_e32 v8, s19
	global_load_dwordx4 v[2:5], v[2:3], off
	v_add_co_u32_e32 v22, vcc, s18, v6
	v_addc_co_u32_e32 v23, vcc, v8, v7, vcc
	global_load_dwordx2 v[12:13], v[22:23], off
	ds_read_b128 v[6:9], v28
	s_mov_b64 s[44:45], 0
	s_waitcnt vmcnt(1) lgkmcnt(0)
	v_mul_f64 v[24:25], v[4:5], -v[8:9]
	v_fmac_f64_e32 v[24:25], v[6:7], v[2:3]
.LBB104_96:                             ; =>This Inner Loop Header: Depth=1
	s_waitcnt vmcnt(0)
	v_add_f64 v[10:11], v[12:13], v[24:25]
	global_atomic_cmpswap_x2 v[10:11], v[22:23], v[10:13], off glc
	s_waitcnt vmcnt(0)
	v_cmp_eq_u64_e32 vcc, v[10:11], v[12:13]
	s_or_b64 s[44:45], vcc, s[44:45]
	v_pk_mov_b32 v[12:13], v[10:11], v[10:11] op_sel:[0,1]
	s_andn2_b64 exec, exec, s[44:45]
	s_cbranch_execnz .LBB104_96
; %bb.97:
	s_or_b64 exec, exec, s[44:45]
	global_load_dwordx2 v[10:11], v[22:23], off offset:8
	v_mul_f64 v[4:5], v[4:5], v[6:7]
	v_fmac_f64_e32 v[4:5], v[8:9], v[2:3]
	s_mov_b64 s[44:45], 0
.LBB104_98:                             ; =>This Inner Loop Header: Depth=1
	s_waitcnt vmcnt(0)
	v_add_f64 v[8:9], v[10:11], v[4:5]
	global_atomic_cmpswap_x2 v[2:3], v[22:23], v[8:11], off offset:8 glc
	s_waitcnt vmcnt(0)
	v_cmp_eq_u64_e32 vcc, v[2:3], v[10:11]
	s_or_b64 s[44:45], vcc, s[44:45]
	v_pk_mov_b32 v[10:11], v[2:3], v[2:3] op_sel:[0,1]
	s_andn2_b64 exec, exec, s[44:45]
	s_cbranch_execnz .LBB104_98
; %bb.99:
	s_or_b64 exec, exec, s[44:45]
                                        ; implicit-def: $vgpr2_vgpr3
.LBB104_100:
	s_andn2_saveexec_b64 s[4:5], s[4:5]
	s_cbranch_execz .LBB104_102
; %bb.101:
	v_mov_b32_e32 v4, s27
	v_add_co_u32_e32 v2, vcc, s26, v2
	v_addc_co_u32_e32 v3, vcc, v4, v3, vcc
	global_load_dwordx4 v[2:5], v[2:3], off
	ds_read_b128 v[6:9], v28
	v_subrev_u32_e32 v10, s8, v20
	v_mov_b32_e32 v11, 0x4000
	v_lshl_add_u32 v12, v10, 4, v11
	s_waitcnt vmcnt(0) lgkmcnt(0)
	v_mul_f64 v[10:11], v[4:5], -v[8:9]
	v_mul_f64 v[4:5], v[4:5], v[6:7]
	v_fmac_f64_e32 v[10:11], v[6:7], v[2:3]
	v_fmac_f64_e32 v[4:5], v[8:9], v[2:3]
	ds_add_f64 v12, v[10:11]
	ds_add_f64 v12, v[4:5] offset:8
.LBB104_102:
	s_or_b64 exec, exec, s[42:43]
	v_lshlrev_b64 v[2:3], 4, v[20:21]
	v_mov_b32_e32 v4, s27
	v_add_co_u32_e32 v2, vcc, s26, v2
	v_addc_co_u32_e32 v3, vcc, v4, v3, vcc
	global_load_dwordx4 v[6:9], v[2:3], off
	ds_read_b128 v[10:13], v28
	v_add_co_u32_e32 v2, vcc, 0x100, v14
	v_cndmask_b32_e64 v20, 0, 1, s[6:7]
	v_addc_co_u32_e32 v3, vcc, 0, v15, vcc
	v_cmp_ne_u32_e64 s[4:5], 1, v20
	v_pk_mov_b32 v[4:5], s[28:29], s[28:29] op_sel:[0,1]
	s_andn2_b64 vcc, exec, s[6:7]
	s_waitcnt vmcnt(0) lgkmcnt(0)
	v_mul_f64 v[20:21], v[8:9], -v[12:13]
	v_mul_f64 v[22:23], v[8:9], v[10:11]
	v_fmac_f64_e32 v[20:21], v[10:11], v[6:7]
	v_fmac_f64_e32 v[22:23], v[12:13], v[6:7]
	v_pk_mov_b32 v[6:7], s[40:41], s[40:41] op_sel:[0,1]
	ds_write_b128 v28, v[20:23]
	s_cbranch_vccnz .LBB104_106
; %bb.103:
	s_mov_b64 s[42:43], 0
	v_pk_mov_b32 v[4:5], s[28:29], s[28:29] op_sel:[0,1]
	v_pk_mov_b32 v[6:7], s[40:41], s[40:41] op_sel:[0,1]
	v_mov_b32_e32 v8, s21
	v_mov_b32_e32 v9, s33
.LBB104_104:                            ; =>This Inner Loop Header: Depth=1
	v_add_co_u32_e32 v10, vcc, v6, v4
	v_addc_co_u32_e32 v11, vcc, v7, v5, vcc
	v_lshrrev_b32_e32 v12, 31, v11
	v_add_co_u32_e32 v10, vcc, v10, v12
	v_addc_co_u32_e32 v11, vcc, 0, v11, vcc
	v_ashrrev_i64 v[10:11], 1, v[10:11]
	v_lshlrev_b64 v[12:13], 3, v[10:11]
	v_add_co_u32_e32 v12, vcc, s20, v12
	v_addc_co_u32_e32 v13, vcc, v8, v13, vcc
	global_load_dwordx2 v[12:13], v[12:13], off
	s_waitcnt vmcnt(0)
	v_subrev_co_u32_e32 v12, vcc, s36, v12
	v_subb_co_u32_e32 v13, vcc, v13, v9, vcc
	v_cmp_gt_i64_e32 vcc, v[12:13], v[2:3]
	v_cndmask_b32_e32 v6, v6, v10, vcc
	v_cndmask_b32_e32 v7, v7, v11, vcc
	;; [unrolled: 1-line block ×3, first 2 shown]
	v_add_co_u32_e64 v10, s[6:7], -1, v6
	v_cndmask_b32_e32 v5, v11, v5, vcc
	v_addc_co_u32_e64 v11, s[6:7], -1, v7, s[6:7]
	v_cmp_ge_i64_e32 vcc, v[4:5], v[6:7]
	v_cmp_eq_u64_e64 s[6:7], v[4:5], v[10:11]
	s_or_b64 s[6:7], vcc, s[6:7]
	s_and_b64 s[6:7], exec, s[6:7]
	s_or_b64 s[42:43], s[6:7], s[42:43]
	s_andn2_b64 exec, exec, s[42:43]
	s_cbranch_execnz .LBB104_104
; %bb.105:
	s_or_b64 exec, exec, s[42:43]
.LBB104_106:
	v_lshlrev_b64 v[8:9], 3, v[6:7]
	v_mov_b32_e32 v10, s21
	v_add_co_u32_e32 v8, vcc, s20, v8
	v_addc_co_u32_e32 v9, vcc, v10, v9, vcc
	global_load_dwordx2 v[8:9], v[8:9], off
	v_mov_b32_e32 v10, s33
	global_load_dword v11, v[18:19], off offset:1024
	s_waitcnt vmcnt(1)
	v_subrev_co_u32_e32 v8, vcc, s36, v8
	v_subb_co_u32_e32 v9, vcc, v9, v10, vcc
	s_waitcnt vmcnt(0)
	v_subrev_u32_e32 v20, s36, v11
	v_cmp_gt_i64_e32 vcc, v[8:9], v[2:3]
	v_cndmask_b32_e32 v5, v7, v5, vcc
	v_cndmask_b32_e32 v4, v6, v4, vcc
	v_ashrrev_i32_e32 v21, 31, v20
	v_cmp_ne_u64_e32 vcc, v[4:5], v[20:21]
	s_and_saveexec_b64 s[42:43], vcc
	s_cbranch_execz .LBB104_116
; %bb.107:
	s_load_dwordx2 s[6:7], s[22:23], 0x0
	s_waitcnt lgkmcnt(0)
	s_sub_u32 s6, s6, s36
	s_subb_u32 s7, s7, 0
	v_cmp_gt_i64_e32 vcc, s[6:7], v[2:3]
	s_and_b64 exec, exec, vcc
	s_cbranch_execz .LBB104_116
; %bb.108:
	v_cmp_gt_i64_e32 vcc, s[8:9], v[20:21]
	v_cmp_le_i64_e64 s[6:7], s[30:31], v[20:21]
	s_or_b64 s[6:7], vcc, s[6:7]
	v_lshlrev_b64 v[2:3], 4, v[4:5]
	s_and_saveexec_b64 s[44:45], s[6:7]
	s_xor_b64 s[6:7], exec, s[44:45]
	s_cbranch_execz .LBB104_114
; %bb.109:
	v_mov_b32_e32 v4, s27
	v_add_co_u32_e32 v2, vcc, s26, v2
	v_lshlrev_b64 v[6:7], 4, v[20:21]
	v_addc_co_u32_e32 v3, vcc, v4, v3, vcc
	v_mov_b32_e32 v8, s19
	global_load_dwordx4 v[2:5], v[2:3], off
	v_add_co_u32_e32 v22, vcc, s18, v6
	v_addc_co_u32_e32 v23, vcc, v8, v7, vcc
	global_load_dwordx2 v[12:13], v[22:23], off
	ds_read_b128 v[6:9], v28 offset:4096
	s_mov_b64 s[44:45], 0
	s_waitcnt vmcnt(1) lgkmcnt(0)
	v_mul_f64 v[24:25], v[4:5], -v[8:9]
	v_fmac_f64_e32 v[24:25], v[6:7], v[2:3]
.LBB104_110:                            ; =>This Inner Loop Header: Depth=1
	s_waitcnt vmcnt(0)
	v_add_f64 v[10:11], v[12:13], v[24:25]
	global_atomic_cmpswap_x2 v[10:11], v[22:23], v[10:13], off glc
	s_waitcnt vmcnt(0)
	v_cmp_eq_u64_e32 vcc, v[10:11], v[12:13]
	s_or_b64 s[44:45], vcc, s[44:45]
	v_pk_mov_b32 v[12:13], v[10:11], v[10:11] op_sel:[0,1]
	s_andn2_b64 exec, exec, s[44:45]
	s_cbranch_execnz .LBB104_110
; %bb.111:
	s_or_b64 exec, exec, s[44:45]
	global_load_dwordx2 v[10:11], v[22:23], off offset:8
	v_mul_f64 v[4:5], v[4:5], v[6:7]
	v_fmac_f64_e32 v[4:5], v[8:9], v[2:3]
	s_mov_b64 s[44:45], 0
.LBB104_112:                            ; =>This Inner Loop Header: Depth=1
	s_waitcnt vmcnt(0)
	v_add_f64 v[8:9], v[10:11], v[4:5]
	global_atomic_cmpswap_x2 v[2:3], v[22:23], v[8:11], off offset:8 glc
	s_waitcnt vmcnt(0)
	v_cmp_eq_u64_e32 vcc, v[2:3], v[10:11]
	s_or_b64 s[44:45], vcc, s[44:45]
	v_pk_mov_b32 v[10:11], v[2:3], v[2:3] op_sel:[0,1]
	s_andn2_b64 exec, exec, s[44:45]
	s_cbranch_execnz .LBB104_112
; %bb.113:
	s_or_b64 exec, exec, s[44:45]
                                        ; implicit-def: $vgpr2_vgpr3
.LBB104_114:
	s_andn2_saveexec_b64 s[6:7], s[6:7]
	s_cbranch_execz .LBB104_116
; %bb.115:
	v_mov_b32_e32 v4, s27
	v_add_co_u32_e32 v2, vcc, s26, v2
	v_addc_co_u32_e32 v3, vcc, v4, v3, vcc
	global_load_dwordx4 v[2:5], v[2:3], off
	ds_read_b128 v[6:9], v28 offset:4096
	v_subrev_u32_e32 v10, s8, v20
	v_mov_b32_e32 v11, 0x4000
	v_lshl_add_u32 v12, v10, 4, v11
	s_waitcnt vmcnt(0) lgkmcnt(0)
	v_mul_f64 v[10:11], v[4:5], -v[8:9]
	v_mul_f64 v[4:5], v[4:5], v[6:7]
	v_fmac_f64_e32 v[10:11], v[6:7], v[2:3]
	v_fmac_f64_e32 v[4:5], v[8:9], v[2:3]
	ds_add_f64 v12, v[10:11]
	ds_add_f64 v12, v[4:5] offset:8
.LBB104_116:
	s_or_b64 exec, exec, s[42:43]
	v_lshlrev_b64 v[2:3], 4, v[20:21]
	v_mov_b32_e32 v4, s27
	v_add_co_u32_e32 v2, vcc, s26, v2
	v_addc_co_u32_e32 v3, vcc, v4, v3, vcc
	global_load_dwordx4 v[6:9], v[2:3], off
	ds_read_b128 v[10:13], v28 offset:4096
	v_add_co_u32_e32 v2, vcc, 0x200, v14
	v_addc_co_u32_e32 v3, vcc, 0, v15, vcc
	v_pk_mov_b32 v[4:5], s[28:29], s[28:29] op_sel:[0,1]
	s_and_b64 vcc, exec, s[4:5]
	s_waitcnt vmcnt(0) lgkmcnt(0)
	v_mul_f64 v[20:21], v[8:9], -v[12:13]
	v_mul_f64 v[22:23], v[8:9], v[10:11]
	v_fmac_f64_e32 v[20:21], v[10:11], v[6:7]
	v_fmac_f64_e32 v[22:23], v[12:13], v[6:7]
	v_pk_mov_b32 v[6:7], s[40:41], s[40:41] op_sel:[0,1]
	ds_write_b128 v28, v[20:23] offset:4096
	s_cbranch_vccnz .LBB104_120
; %bb.117:
	s_mov_b64 s[42:43], 0
	v_pk_mov_b32 v[4:5], s[28:29], s[28:29] op_sel:[0,1]
	v_pk_mov_b32 v[6:7], s[40:41], s[40:41] op_sel:[0,1]
	v_mov_b32_e32 v8, s21
	v_mov_b32_e32 v9, s33
.LBB104_118:                            ; =>This Inner Loop Header: Depth=1
	v_add_co_u32_e32 v10, vcc, v6, v4
	v_addc_co_u32_e32 v11, vcc, v7, v5, vcc
	v_lshrrev_b32_e32 v12, 31, v11
	v_add_co_u32_e32 v10, vcc, v10, v12
	v_addc_co_u32_e32 v11, vcc, 0, v11, vcc
	v_ashrrev_i64 v[10:11], 1, v[10:11]
	v_lshlrev_b64 v[12:13], 3, v[10:11]
	v_add_co_u32_e32 v12, vcc, s20, v12
	v_addc_co_u32_e32 v13, vcc, v8, v13, vcc
	global_load_dwordx2 v[12:13], v[12:13], off
	s_waitcnt vmcnt(0)
	v_subrev_co_u32_e32 v12, vcc, s36, v12
	v_subb_co_u32_e32 v13, vcc, v13, v9, vcc
	v_cmp_gt_i64_e32 vcc, v[12:13], v[2:3]
	v_cndmask_b32_e32 v6, v6, v10, vcc
	v_cndmask_b32_e32 v7, v7, v11, vcc
	;; [unrolled: 1-line block ×3, first 2 shown]
	v_add_co_u32_e64 v10, s[6:7], -1, v6
	v_cndmask_b32_e32 v5, v11, v5, vcc
	v_addc_co_u32_e64 v11, s[6:7], -1, v7, s[6:7]
	v_cmp_ge_i64_e32 vcc, v[4:5], v[6:7]
	v_cmp_eq_u64_e64 s[6:7], v[4:5], v[10:11]
	s_or_b64 s[6:7], vcc, s[6:7]
	s_and_b64 s[6:7], exec, s[6:7]
	s_or_b64 s[42:43], s[6:7], s[42:43]
	s_andn2_b64 exec, exec, s[42:43]
	s_cbranch_execnz .LBB104_118
; %bb.119:
	s_or_b64 exec, exec, s[42:43]
.LBB104_120:
	v_lshlrev_b64 v[8:9], 3, v[6:7]
	v_mov_b32_e32 v10, s21
	v_add_co_u32_e32 v8, vcc, s20, v8
	v_addc_co_u32_e32 v9, vcc, v10, v9, vcc
	global_load_dwordx2 v[8:9], v[8:9], off
	v_mov_b32_e32 v10, s33
	global_load_dword v11, v[18:19], off offset:2048
	s_waitcnt vmcnt(1)
	v_subrev_co_u32_e32 v8, vcc, s36, v8
	v_subb_co_u32_e32 v9, vcc, v9, v10, vcc
	s_waitcnt vmcnt(0)
	v_subrev_u32_e32 v14, s36, v11
	v_cmp_gt_i64_e32 vcc, v[8:9], v[2:3]
	v_cndmask_b32_e32 v5, v7, v5, vcc
	v_cndmask_b32_e32 v4, v6, v4, vcc
	v_ashrrev_i32_e32 v15, 31, v14
	v_cmp_ne_u64_e32 vcc, v[4:5], v[14:15]
	s_and_saveexec_b64 s[42:43], vcc
	s_cbranch_execz .LBB104_130
; %bb.121:
	s_load_dwordx2 s[6:7], s[22:23], 0x0
	s_waitcnt lgkmcnt(0)
	s_sub_u32 s6, s6, s36
	s_subb_u32 s7, s7, 0
	v_cmp_gt_i64_e32 vcc, s[6:7], v[2:3]
	s_and_b64 exec, exec, vcc
	s_cbranch_execz .LBB104_130
; %bb.122:
	v_cmp_gt_i64_e32 vcc, s[8:9], v[14:15]
	v_cmp_le_i64_e64 s[6:7], s[30:31], v[14:15]
	s_or_b64 s[6:7], vcc, s[6:7]
	v_lshlrev_b64 v[2:3], 4, v[4:5]
	s_and_saveexec_b64 s[44:45], s[6:7]
	s_xor_b64 s[6:7], exec, s[44:45]
	s_cbranch_execz .LBB104_128
; %bb.123:
	v_mov_b32_e32 v4, s27
	v_add_co_u32_e32 v2, vcc, s26, v2
	v_lshlrev_b64 v[6:7], 4, v[14:15]
	v_addc_co_u32_e32 v3, vcc, v4, v3, vcc
	v_mov_b32_e32 v8, s19
	global_load_dwordx4 v[2:5], v[2:3], off
	v_add_co_u32_e32 v20, vcc, s18, v6
	v_addc_co_u32_e32 v21, vcc, v8, v7, vcc
	global_load_dwordx2 v[12:13], v[20:21], off
	ds_read_b128 v[6:9], v28 offset:8192
	s_mov_b64 s[44:45], 0
	s_waitcnt vmcnt(1) lgkmcnt(0)
	v_mul_f64 v[22:23], v[4:5], -v[8:9]
	v_fmac_f64_e32 v[22:23], v[6:7], v[2:3]
.LBB104_124:                            ; =>This Inner Loop Header: Depth=1
	s_waitcnt vmcnt(0)
	v_add_f64 v[10:11], v[12:13], v[22:23]
	global_atomic_cmpswap_x2 v[10:11], v[20:21], v[10:13], off glc
	s_waitcnt vmcnt(0)
	v_cmp_eq_u64_e32 vcc, v[10:11], v[12:13]
	s_or_b64 s[44:45], vcc, s[44:45]
	v_pk_mov_b32 v[12:13], v[10:11], v[10:11] op_sel:[0,1]
	s_andn2_b64 exec, exec, s[44:45]
	s_cbranch_execnz .LBB104_124
; %bb.125:
	s_or_b64 exec, exec, s[44:45]
	global_load_dwordx2 v[10:11], v[20:21], off offset:8
	v_mul_f64 v[4:5], v[4:5], v[6:7]
	v_fmac_f64_e32 v[4:5], v[8:9], v[2:3]
	s_mov_b64 s[44:45], 0
.LBB104_126:                            ; =>This Inner Loop Header: Depth=1
	s_waitcnt vmcnt(0)
	v_add_f64 v[8:9], v[10:11], v[4:5]
	global_atomic_cmpswap_x2 v[2:3], v[20:21], v[8:11], off offset:8 glc
	s_waitcnt vmcnt(0)
	v_cmp_eq_u64_e32 vcc, v[2:3], v[10:11]
	s_or_b64 s[44:45], vcc, s[44:45]
	v_pk_mov_b32 v[10:11], v[2:3], v[2:3] op_sel:[0,1]
	s_andn2_b64 exec, exec, s[44:45]
	s_cbranch_execnz .LBB104_126
; %bb.127:
	s_or_b64 exec, exec, s[44:45]
                                        ; implicit-def: $vgpr2_vgpr3
.LBB104_128:
	s_andn2_saveexec_b64 s[6:7], s[6:7]
	s_cbranch_execz .LBB104_130
; %bb.129:
	v_mov_b32_e32 v4, s27
	v_add_co_u32_e32 v2, vcc, s26, v2
	v_addc_co_u32_e32 v3, vcc, v4, v3, vcc
	global_load_dwordx4 v[2:5], v[2:3], off
	ds_read_b128 v[6:9], v28 offset:8192
	v_subrev_u32_e32 v10, s8, v14
	v_mov_b32_e32 v11, 0x4000
	v_lshl_add_u32 v12, v10, 4, v11
	s_waitcnt vmcnt(0) lgkmcnt(0)
	v_mul_f64 v[10:11], v[4:5], -v[8:9]
	v_mul_f64 v[4:5], v[4:5], v[6:7]
	v_fmac_f64_e32 v[10:11], v[6:7], v[2:3]
	v_fmac_f64_e32 v[4:5], v[8:9], v[2:3]
	ds_add_f64 v12, v[10:11]
	ds_add_f64 v12, v[4:5] offset:8
.LBB104_130:
	s_or_b64 exec, exec, s[42:43]
	v_lshlrev_b64 v[2:3], 4, v[14:15]
	v_mov_b32_e32 v4, s27
	v_add_co_u32_e32 v2, vcc, s26, v2
	v_addc_co_u32_e32 v3, vcc, v4, v3, vcc
	global_load_dwordx4 v[4:7], v[2:3], off
	ds_read_b128 v[8:11], v28 offset:8192
	s_and_b64 vcc, exec, s[4:5]
	v_pk_mov_b32 v[2:3], s[28:29], s[28:29] op_sel:[0,1]
	s_waitcnt vmcnt(0) lgkmcnt(0)
	v_mul_f64 v[12:13], v[6:7], -v[10:11]
	v_mul_f64 v[14:15], v[6:7], v[8:9]
	v_fmac_f64_e32 v[12:13], v[8:9], v[4:5]
	v_fmac_f64_e32 v[14:15], v[10:11], v[4:5]
	v_pk_mov_b32 v[4:5], s[40:41], s[40:41] op_sel:[0,1]
	ds_write_b128 v28, v[12:15] offset:8192
	s_cbranch_vccnz .LBB104_134
; %bb.131:
	s_mov_b64 s[6:7], 0
	v_pk_mov_b32 v[2:3], s[28:29], s[28:29] op_sel:[0,1]
	v_pk_mov_b32 v[4:5], s[40:41], s[40:41] op_sel:[0,1]
	v_mov_b32_e32 v6, s21
	v_mov_b32_e32 v7, s33
.LBB104_132:                            ; =>This Inner Loop Header: Depth=1
	v_add_co_u32_e32 v8, vcc, v4, v2
	v_addc_co_u32_e32 v9, vcc, v5, v3, vcc
	v_lshrrev_b32_e32 v10, 31, v9
	v_add_co_u32_e32 v8, vcc, v8, v10
	v_addc_co_u32_e32 v9, vcc, 0, v9, vcc
	v_ashrrev_i64 v[8:9], 1, v[8:9]
	v_lshlrev_b64 v[10:11], 3, v[8:9]
	v_add_co_u32_e32 v10, vcc, s20, v10
	v_addc_co_u32_e32 v11, vcc, v6, v11, vcc
	global_load_dwordx2 v[10:11], v[10:11], off
	s_waitcnt vmcnt(0)
	v_subrev_co_u32_e32 v10, vcc, s36, v10
	v_subb_co_u32_e32 v11, vcc, v11, v7, vcc
	v_cmp_gt_i64_e32 vcc, v[10:11], v[16:17]
	v_cndmask_b32_e32 v4, v4, v8, vcc
	v_cndmask_b32_e32 v5, v5, v9, vcc
	;; [unrolled: 1-line block ×3, first 2 shown]
	v_add_co_u32_e64 v8, s[4:5], -1, v4
	v_cndmask_b32_e32 v3, v9, v3, vcc
	v_addc_co_u32_e64 v9, s[4:5], -1, v5, s[4:5]
	v_cmp_ge_i64_e32 vcc, v[2:3], v[4:5]
	v_cmp_eq_u64_e64 s[4:5], v[2:3], v[8:9]
	s_or_b64 s[4:5], vcc, s[4:5]
	s_and_b64 s[4:5], exec, s[4:5]
	s_or_b64 s[6:7], s[4:5], s[6:7]
	s_andn2_b64 exec, exec, s[6:7]
	s_cbranch_execnz .LBB104_132
; %bb.133:
	s_or_b64 exec, exec, s[6:7]
.LBB104_134:
	v_lshlrev_b64 v[6:7], 3, v[4:5]
	v_mov_b32_e32 v8, s21
	v_add_co_u32_e32 v6, vcc, s20, v6
	v_addc_co_u32_e32 v7, vcc, v8, v7, vcc
	global_load_dwordx2 v[6:7], v[6:7], off
	v_mov_b32_e32 v8, s33
	global_load_dword v9, v[18:19], off offset:3072
	s_waitcnt vmcnt(1)
	v_subrev_co_u32_e32 v6, vcc, s36, v6
	v_subb_co_u32_e32 v7, vcc, v7, v8, vcc
	s_waitcnt vmcnt(0)
	v_subrev_u32_e32 v14, s36, v9
	v_cmp_gt_i64_e32 vcc, v[6:7], v[16:17]
	v_cndmask_b32_e32 v3, v5, v3, vcc
	v_cndmask_b32_e32 v2, v4, v2, vcc
	v_ashrrev_i32_e32 v15, 31, v14
	v_cmp_ne_u64_e32 vcc, v[2:3], v[14:15]
	s_and_saveexec_b64 s[6:7], vcc
	s_cbranch_execz .LBB104_144
; %bb.135:
	s_load_dwordx2 s[4:5], s[22:23], 0x0
	s_waitcnt lgkmcnt(0)
	s_sub_u32 s4, s4, s36
	s_subb_u32 s5, s5, 0
	v_cmp_gt_i64_e32 vcc, s[4:5], v[16:17]
	s_and_b64 exec, exec, vcc
	s_cbranch_execz .LBB104_144
; %bb.136:
	v_cmp_gt_i64_e32 vcc, s[8:9], v[14:15]
	v_cmp_le_i64_e64 s[4:5], s[30:31], v[14:15]
	s_or_b64 s[4:5], vcc, s[4:5]
	v_lshlrev_b64 v[2:3], 4, v[2:3]
	s_and_saveexec_b64 s[22:23], s[4:5]
	s_xor_b64 s[4:5], exec, s[22:23]
	s_cbranch_execz .LBB104_142
; %bb.137:
	v_mov_b32_e32 v4, s27
	v_add_co_u32_e32 v2, vcc, s26, v2
	v_lshlrev_b64 v[6:7], 4, v[14:15]
	v_addc_co_u32_e32 v3, vcc, v4, v3, vcc
	v_mov_b32_e32 v8, s19
	global_load_dwordx4 v[2:5], v[2:3], off
	v_add_co_u32_e32 v16, vcc, s18, v6
	v_addc_co_u32_e32 v17, vcc, v8, v7, vcc
	global_load_dwordx2 v[12:13], v[16:17], off
	ds_read_b128 v[6:9], v28 offset:12288
	s_mov_b64 s[22:23], 0
	s_waitcnt vmcnt(1) lgkmcnt(0)
	v_mul_f64 v[18:19], v[4:5], -v[8:9]
	v_fmac_f64_e32 v[18:19], v[6:7], v[2:3]
.LBB104_138:                            ; =>This Inner Loop Header: Depth=1
	s_waitcnt vmcnt(0)
	v_add_f64 v[10:11], v[12:13], v[18:19]
	global_atomic_cmpswap_x2 v[10:11], v[16:17], v[10:13], off glc
	s_waitcnt vmcnt(0)
	v_cmp_eq_u64_e32 vcc, v[10:11], v[12:13]
	s_or_b64 s[22:23], vcc, s[22:23]
	v_pk_mov_b32 v[12:13], v[10:11], v[10:11] op_sel:[0,1]
	s_andn2_b64 exec, exec, s[22:23]
	s_cbranch_execnz .LBB104_138
; %bb.139:
	s_or_b64 exec, exec, s[22:23]
	global_load_dwordx2 v[10:11], v[16:17], off offset:8
	v_mul_f64 v[4:5], v[4:5], v[6:7]
	v_fmac_f64_e32 v[4:5], v[8:9], v[2:3]
	s_mov_b64 s[22:23], 0
.LBB104_140:                            ; =>This Inner Loop Header: Depth=1
	s_waitcnt vmcnt(0)
	v_add_f64 v[8:9], v[10:11], v[4:5]
	global_atomic_cmpswap_x2 v[2:3], v[16:17], v[8:11], off offset:8 glc
	s_waitcnt vmcnt(0)
	v_cmp_eq_u64_e32 vcc, v[2:3], v[10:11]
	s_or_b64 s[22:23], vcc, s[22:23]
	v_pk_mov_b32 v[10:11], v[2:3], v[2:3] op_sel:[0,1]
	s_andn2_b64 exec, exec, s[22:23]
	s_cbranch_execnz .LBB104_140
; %bb.141:
	s_or_b64 exec, exec, s[22:23]
                                        ; implicit-def: $vgpr2_vgpr3
.LBB104_142:
	s_andn2_saveexec_b64 s[4:5], s[4:5]
	s_cbranch_execz .LBB104_144
; %bb.143:
	v_mov_b32_e32 v4, s27
	v_add_co_u32_e32 v2, vcc, s26, v2
	v_addc_co_u32_e32 v3, vcc, v4, v3, vcc
	global_load_dwordx4 v[2:5], v[2:3], off
	ds_read_b128 v[6:9], v28 offset:12288
	v_subrev_u32_e32 v10, s8, v14
	v_mov_b32_e32 v11, 0x4000
	v_lshl_add_u32 v12, v10, 4, v11
	s_waitcnt vmcnt(0) lgkmcnt(0)
	v_mul_f64 v[10:11], v[4:5], -v[8:9]
	v_mul_f64 v[4:5], v[4:5], v[6:7]
	v_fmac_f64_e32 v[10:11], v[6:7], v[2:3]
	v_fmac_f64_e32 v[4:5], v[8:9], v[2:3]
	ds_add_f64 v12, v[10:11]
	ds_add_f64 v12, v[4:5] offset:8
.LBB104_144:
	s_or_b64 exec, exec, s[6:7]
	v_lshlrev_b64 v[2:3], 4, v[14:15]
	v_mov_b32_e32 v4, s27
	v_add_co_u32_e32 v2, vcc, s26, v2
	v_addc_co_u32_e32 v3, vcc, v4, v3, vcc
	global_load_dwordx4 v[2:5], v[2:3], off
	ds_read_b128 v[6:9], v28 offset:12288
	s_waitcnt vmcnt(0) lgkmcnt(0)
	v_mul_f64 v[10:11], v[4:5], -v[8:9]
	v_mul_f64 v[12:13], v[4:5], v[6:7]
	v_fmac_f64_e32 v[10:11], v[6:7], v[2:3]
	v_fmac_f64_e32 v[12:13], v[8:9], v[2:3]
	ds_write_b128 v28, v[10:13] offset:12288
.LBB104_145:
	s_or_b64 exec, exec, s[24:25]
	v_pk_mov_b32 v[2:3], s[10:11], s[10:11] op_sel:[0,1]
	v_cmp_lt_i64_e32 vcc, s[30:31], v[2:3]
	s_and_b64 s[4:5], vcc, exec
	s_cselect_b32 s22, s30, s10
	s_cselect_b32 s4, s31, s11
	s_sub_u32 s6, s22, s34
	s_subb_u32 s7, s4, s35
	v_cmp_gt_i64_e32 vcc, s[6:7], v[0:1]
	s_waitcnt lgkmcnt(0)
	s_barrier
	s_and_saveexec_b64 s[4:5], vcc
	s_cbranch_execz .LBB104_152
; %bb.146:
	s_lshl_b64 s[8:9], s[8:9], 4
	s_add_u32 s23, s18, s8
	s_addc_u32 s10, s19, s9
	s_mov_b64 s[8:9], 0
	v_mov_b32_e32 v14, s10
	v_mov_b32_e32 v15, 0x4000
	v_pk_mov_b32 v[10:11], v[0:1], v[0:1] op_sel:[0,1]
.LBB104_147:                            ; =>This Loop Header: Depth=1
                                        ;     Child Loop BB104_148 Depth 2
                                        ;     Child Loop BB104_150 Depth 2
	v_lshlrev_b64 v[2:3], 4, v[10:11]
	v_add_co_u32_e32 v12, vcc, s23, v2
	v_addc_co_u32_e32 v13, vcc, v14, v3, vcc
	global_load_dwordx2 v[8:9], v[12:13], off
	v_lshl_add_u32 v2, v10, 4, v15
	ds_read2_b64 v[2:5], v2 offset1:1
	s_mov_b64 s[10:11], 0
.LBB104_148:                            ;   Parent Loop BB104_147 Depth=1
                                        ; =>  This Inner Loop Header: Depth=2
	s_waitcnt vmcnt(0) lgkmcnt(0)
	v_add_f64 v[6:7], v[8:9], v[2:3]
	global_atomic_cmpswap_x2 v[6:7], v[12:13], v[6:9], off glc
	s_waitcnt vmcnt(0)
	v_cmp_eq_u64_e32 vcc, v[6:7], v[8:9]
	s_or_b64 s[10:11], vcc, s[10:11]
	v_pk_mov_b32 v[8:9], v[6:7], v[6:7] op_sel:[0,1]
	s_andn2_b64 exec, exec, s[10:11]
	s_cbranch_execnz .LBB104_148
; %bb.149:                              ;   in Loop: Header=BB104_147 Depth=1
	s_or_b64 exec, exec, s[10:11]
	global_load_dwordx2 v[8:9], v[12:13], off offset:8
	s_mov_b64 s[10:11], 0
.LBB104_150:                            ;   Parent Loop BB104_147 Depth=1
                                        ; =>  This Inner Loop Header: Depth=2
	s_waitcnt vmcnt(0)
	v_add_f64 v[6:7], v[8:9], v[4:5]
	global_atomic_cmpswap_x2 v[2:3], v[12:13], v[6:9], off offset:8 glc
	s_waitcnt vmcnt(0)
	v_cmp_eq_u64_e32 vcc, v[2:3], v[8:9]
	s_or_b64 s[10:11], vcc, s[10:11]
	v_pk_mov_b32 v[8:9], v[2:3], v[2:3] op_sel:[0,1]
	s_andn2_b64 exec, exec, s[10:11]
	s_cbranch_execnz .LBB104_150
; %bb.151:                              ;   in Loop: Header=BB104_147 Depth=1
	s_or_b64 exec, exec, s[10:11]
	v_add_co_u32_e32 v10, vcc, 0x100, v10
	v_addc_co_u32_e32 v11, vcc, 0, v11, vcc
	v_cmp_le_i64_e32 vcc, s[6:7], v[10:11]
	s_or_b64 s[8:9], vcc, s[8:9]
	s_andn2_b64 exec, exec, s[8:9]
	s_cbranch_execnz .LBB104_147
.LBB104_152:
	s_or_b64 exec, exec, s[4:5]
	s_add_i32 s4, s38, -1
	s_ashr_i32 s5, s4, 1
	s_or_b32 s4, s5, s4
	s_ashr_i32 s5, s4, 2
	s_or_b32 s4, s5, s4
	;; [unrolled: 2-line block ×5, first 2 shown]
	s_add_i32 s7, s7, 1
	s_ashr_i32 s24, s7, 1
	v_mov_b32_e32 v2, s29
	v_add_co_u32_e32 v10, vcc, s28, v0
	v_addc_co_u32_e32 v11, vcc, 0, v2, vcc
	s_cmp_gt_i32 s24, 1
	s_mov_b64 s[4:5], -1
	s_barrier
	s_cbranch_scc1 .LBB104_165
; %bb.153:
	v_cmp_gt_i64_e32 vcc, s[30:31], v[10:11]
	s_and_saveexec_b64 s[4:5], vcc
	s_cbranch_execz .LBB104_164
; %bb.154:
	s_sub_i32 s8, s22, s30
	s_lshl_b32 s8, s8, 4
	s_add_i32 s25, s8, 0x4000
	s_lshl_b32 s8, s12, 4
	s_sub_i32 s26, 0, s8
	s_mov_b64 s[8:9], 0
	v_mov_b32_e32 v18, s21
	v_mov_b32_e32 v19, s19
	;; [unrolled: 1-line block ×3, first 2 shown]
	v_pk_mov_b32 v[12:13], v[10:11], v[10:11] op_sel:[0,1]
.LBB104_155:                            ; =>This Loop Header: Depth=1
                                        ;     Child Loop BB104_157 Depth 2
                                        ;     Child Loop BB104_160 Depth 2
	;; [unrolled: 1-line block ×3, first 2 shown]
	v_lshlrev_b64 v[2:3], 3, v[12:13]
	v_add_co_u32_e32 v2, vcc, s20, v2
	v_addc_co_u32_e32 v3, vcc, v18, v3, vcc
	global_load_dwordx4 v[2:5], v[2:3], off
	v_pk_mov_b32 v[14:15], 0, 0
	v_pk_mov_b32 v[6:7], v[14:15], v[14:15] op_sel:[0,1]
	s_waitcnt vmcnt(0)
	v_cmp_lt_i64_e32 vcc, v[2:3], v[4:5]
	s_and_saveexec_b64 s[10:11], vcc
	s_cbranch_execz .LBB104_159
; %bb.156:                              ;   in Loop: Header=BB104_155 Depth=1
	v_mov_b32_e32 v6, s13
	v_subrev_co_u32_e32 v4, vcc, s12, v4
	v_subb_co_u32_e32 v5, vcc, v5, v6, vcc
	v_subrev_co_u32_e32 v8, vcc, s12, v2
	v_pk_mov_b32 v[14:15], 0, 0
	v_subb_co_u32_e32 v9, vcc, v3, v6, vcc
	v_lshl_add_u32 v2, v2, 4, s26
	s_mov_b64 s[22:23], 0
	v_pk_mov_b32 v[6:7], v[14:15], v[14:15] op_sel:[0,1]
.LBB104_157:                            ;   Parent Loop BB104_155 Depth=1
                                        ; =>  This Inner Loop Header: Depth=2
	ds_read_b128 v[22:25], v2
	v_add_co_u32_e32 v8, vcc, 1, v8
	v_addc_co_u32_e32 v9, vcc, 0, v9, vcc
	v_cmp_ge_i64_e32 vcc, v[8:9], v[4:5]
	v_add_u32_e32 v2, 16, v2
	s_or_b64 s[22:23], vcc, s[22:23]
	s_waitcnt lgkmcnt(0)
	v_add_f64 v[6:7], v[6:7], v[22:23]
	v_add_f64 v[14:15], v[14:15], v[24:25]
	s_andn2_b64 exec, exec, s[22:23]
	s_cbranch_execnz .LBB104_157
; %bb.158:                              ;   in Loop: Header=BB104_155 Depth=1
	s_or_b64 exec, exec, s[22:23]
.LBB104_159:                            ;   in Loop: Header=BB104_155 Depth=1
	s_or_b64 exec, exec, s[10:11]
	v_lshlrev_b64 v[2:3], 4, v[12:13]
	v_add_co_u32_e32 v16, vcc, s18, v2
	v_addc_co_u32_e32 v17, vcc, v19, v3, vcc
	global_load_dwordx2 v[8:9], v[16:17], off
	v_lshl_add_u32 v2, v12, 4, s25
	ds_read2_b64 v[2:5], v2 offset1:1
	s_mov_b64 s[10:11], 0
	s_waitcnt lgkmcnt(0)
	v_add_f64 v[2:3], v[6:7], v[2:3]
.LBB104_160:                            ;   Parent Loop BB104_155 Depth=1
                                        ; =>  This Inner Loop Header: Depth=2
	s_waitcnt vmcnt(0)
	v_add_f64 v[6:7], v[8:9], v[2:3]
	global_atomic_cmpswap_x2 v[6:7], v[16:17], v[6:9], off glc
	s_waitcnt vmcnt(0)
	v_cmp_eq_u64_e32 vcc, v[6:7], v[8:9]
	s_or_b64 s[10:11], vcc, s[10:11]
	v_pk_mov_b32 v[8:9], v[6:7], v[6:7] op_sel:[0,1]
	s_andn2_b64 exec, exec, s[10:11]
	s_cbranch_execnz .LBB104_160
; %bb.161:                              ;   in Loop: Header=BB104_155 Depth=1
	s_or_b64 exec, exec, s[10:11]
	global_load_dwordx2 v[6:7], v[16:17], off offset:8
	v_add_f64 v[2:3], v[14:15], v[4:5]
	s_mov_b64 s[10:11], 0
.LBB104_162:                            ;   Parent Loop BB104_155 Depth=1
                                        ; =>  This Inner Loop Header: Depth=2
	s_waitcnt vmcnt(0)
	v_add_f64 v[4:5], v[6:7], v[2:3]
	global_atomic_cmpswap_x2 v[4:5], v[16:17], v[4:7], off offset:8 glc
	s_waitcnt vmcnt(0)
	v_cmp_eq_u64_e32 vcc, v[4:5], v[6:7]
	s_or_b64 s[10:11], vcc, s[10:11]
	v_pk_mov_b32 v[6:7], v[4:5], v[4:5] op_sel:[0,1]
	s_andn2_b64 exec, exec, s[10:11]
	s_cbranch_execnz .LBB104_162
; %bb.163:                              ;   in Loop: Header=BB104_155 Depth=1
	s_or_b64 exec, exec, s[10:11]
	v_add_co_u32_e32 v12, vcc, s16, v12
	v_addc_co_u32_e32 v13, vcc, v13, v20, vcc
	v_cmp_le_i64_e32 vcc, s[30:31], v[12:13]
	s_or_b64 s[8:9], vcc, s[8:9]
	s_andn2_b64 exec, exec, s[8:9]
	s_cbranch_execnz .LBB104_155
.LBB104_164:
	s_or_b64 exec, exec, s[4:5]
	s_mov_b64 s[4:5], 0
.LBB104_165:
	s_andn2_b64 vcc, exec, s[4:5]
	s_cbranch_vccnz .LBB104_196
; %bb.166:
	v_cvt_f32_u32_e32 v14, s24
	s_sub_i32 s10, 0, s24
	v_mov_b32_e32 v7, 0
	v_mov_b32_e32 v4, s15
	v_rcp_iflag_f32_e32 v2, v14
	v_mov_b32_e32 v12, s13
	v_mul_f32_e32 v2, 0x4f7ffffe, v2
	v_cvt_u32_f32_e32 v2, v2
	v_mul_lo_u32 v3, s10, v2
	v_mul_hi_u32 v3, v2, v3
	v_add_u32_e32 v2, v2, v3
	v_mul_hi_u32 v2, v0, v2
	v_mul_lo_u32 v3, v2, s24
	v_sub_u32_e32 v3, v0, v3
	v_add_u32_e32 v5, 1, v2
	v_cmp_le_u32_e32 vcc, s24, v3
	v_cndmask_b32_e32 v2, v2, v5, vcc
	v_subrev_u32_e32 v5, s24, v3
	v_cndmask_b32_e32 v3, v3, v5, vcc
	v_add_u32_e32 v5, 1, v2
	v_cmp_le_u32_e32 vcc, s24, v3
	v_cndmask_b32_e32 v6, v2, v5, vcc
	v_lshlrev_b64 v[2:3], 3, v[6:7]
	v_add_co_u32_e32 v2, vcc, s14, v2
	v_addc_co_u32_e32 v3, vcc, v4, v3, vcc
	global_load_dwordx4 v[2:5], v[2:3], off
	s_waitcnt vmcnt(0)
	v_subrev_co_u32_e32 v8, vcc, s12, v2
	v_subb_co_u32_e32 v9, vcc, v3, v12, vcc
	v_subrev_co_u32_e32 v20, vcc, s12, v4
	v_subb_co_u32_e32 v21, vcc, v5, v12, vcc
	v_sub_co_u32_e32 v3, vcc, v20, v8
	v_subb_co_u32_e32 v5, vcc, v21, v9, vcc
	v_mov_b32_e32 v4, v7
	v_cmp_ne_u64_e32 vcc, 0, v[4:5]
                                        ; implicit-def: $vgpr12_vgpr13
	s_and_saveexec_b64 s[4:5], vcc
	s_xor_b64 s[8:9], exec, s[4:5]
	s_cbranch_execz .LBB104_168
; %bb.167:
	v_cvt_f32_ubyte0_e32 v4, 0
	v_madmk_f32 v4, v4, 0x4f800000, v14
	v_rcp_f32_e32 v4, v4
	s_sub_u32 s4, 0, s24
	s_subb_u32 s5, 0, 0
	v_mul_f32_e32 v4, 0x5f7ffffc, v4
	v_mul_f32_e32 v12, 0x2f800000, v4
	v_trunc_f32_e32 v12, v12
	v_madmk_f32 v4, v12, 0xcf800000, v4
	v_cvt_u32_f32_e32 v12, v12
	v_cvt_u32_f32_e32 v4, v4
	v_mul_lo_u32 v13, s4, v12
	v_mul_hi_u32 v15, s4, v4
	v_mul_lo_u32 v14, s5, v4
	v_add_u32_e32 v13, v15, v13
	v_add_u32_e32 v13, v13, v14
	v_mul_lo_u32 v16, s4, v4
	v_mul_lo_u32 v15, v4, v13
	v_mul_hi_u32 v17, v4, v16
	v_mul_hi_u32 v14, v4, v13
	v_add_co_u32_e32 v15, vcc, v17, v15
	v_addc_co_u32_e32 v14, vcc, 0, v14, vcc
	v_mul_hi_u32 v18, v12, v16
	v_mul_lo_u32 v16, v12, v16
	v_add_co_u32_e32 v15, vcc, v15, v16
	v_mul_hi_u32 v17, v12, v13
	v_addc_co_u32_e32 v14, vcc, v14, v18, vcc
	v_addc_co_u32_e32 v15, vcc, 0, v17, vcc
	v_mul_lo_u32 v13, v12, v13
	v_add_co_u32_e32 v13, vcc, v14, v13
	v_addc_co_u32_e32 v14, vcc, 0, v15, vcc
	v_add_co_u32_e32 v4, vcc, v4, v13
	v_addc_co_u32_e32 v12, vcc, v12, v14, vcc
	v_mul_lo_u32 v13, s4, v12
	v_mul_hi_u32 v14, s4, v4
	v_add_u32_e32 v13, v14, v13
	v_mul_lo_u32 v14, s5, v4
	v_add_u32_e32 v13, v13, v14
	v_mul_lo_u32 v15, s4, v4
	v_mul_hi_u32 v16, v12, v15
	v_mul_lo_u32 v17, v12, v15
	v_mul_lo_u32 v19, v4, v13
	v_mul_hi_u32 v15, v4, v15
	v_mul_hi_u32 v18, v4, v13
	v_add_co_u32_e32 v15, vcc, v15, v19
	v_addc_co_u32_e32 v18, vcc, 0, v18, vcc
	v_add_co_u32_e32 v15, vcc, v15, v17
	v_mul_hi_u32 v14, v12, v13
	v_addc_co_u32_e32 v15, vcc, v18, v16, vcc
	v_addc_co_u32_e32 v14, vcc, 0, v14, vcc
	v_mul_lo_u32 v13, v12, v13
	v_add_co_u32_e32 v13, vcc, v15, v13
	v_addc_co_u32_e32 v14, vcc, 0, v14, vcc
	v_add_co_u32_e32 v13, vcc, v4, v13
	v_addc_co_u32_e32 v12, vcc, v12, v14, vcc
	v_ashrrev_i32_e32 v14, 31, v5
	v_add_co_u32_e32 v3, vcc, v3, v14
	v_addc_co_u32_e32 v4, vcc, v5, v14, vcc
	v_xor_b32_e32 v3, v3, v14
	v_xor_b32_e32 v15, v4, v14
	v_mad_u64_u32 v[4:5], s[4:5], v3, v12, 0
	v_mul_hi_u32 v16, v3, v13
	v_add_co_u32_e32 v16, vcc, v16, v4
	v_addc_co_u32_e32 v17, vcc, 0, v5, vcc
	v_mad_u64_u32 v[4:5], s[4:5], v15, v12, 0
	v_mad_u64_u32 v[12:13], s[4:5], v15, v13, 0
	v_add_co_u32_e32 v12, vcc, v16, v12
	v_addc_co_u32_e32 v12, vcc, v17, v13, vcc
	v_addc_co_u32_e32 v5, vcc, 0, v5, vcc
	v_add_co_u32_e32 v16, vcc, v12, v4
	v_addc_co_u32_e32 v17, vcc, 0, v5, vcc
	v_mad_u64_u32 v[4:5], s[4:5], s24, v16, 0
	v_mov_b32_e32 v12, v5
	v_mad_u64_u32 v[12:13], s[4:5], s24, v17, v[12:13]
	v_sub_co_u32_e32 v3, vcc, v3, v4
	v_subb_co_u32_e32 v4, vcc, v15, v12, vcc
	v_subrev_co_u32_e32 v5, vcc, s24, v3
	v_subbrev_co_u32_e32 v12, vcc, 0, v4, vcc
	v_cmp_le_u32_e32 vcc, s24, v5
	v_cndmask_b32_e64 v5, 0, -1, vcc
	v_cmp_eq_u32_e32 vcc, 0, v12
	v_cndmask_b32_e32 v5, -1, v5, vcc
	v_add_co_u32_e32 v12, vcc, 2, v16
	v_addc_co_u32_e32 v13, vcc, 0, v17, vcc
	v_add_co_u32_e32 v15, vcc, 1, v16
	v_cmp_le_u32_e64 s[4:5], s24, v3
	v_addc_co_u32_e32 v18, vcc, 0, v17, vcc
	v_cndmask_b32_e64 v3, 0, -1, s[4:5]
	v_cmp_eq_u32_e64 s[4:5], 0, v4
	v_cmp_ne_u32_e32 vcc, 0, v5
	v_cndmask_b32_e64 v3, -1, v3, s[4:5]
	v_cmp_ne_u32_e64 s[4:5], 0, v3
	v_cndmask_b32_e32 v4, v15, v12, vcc
	v_cndmask_b32_e32 v5, v18, v13, vcc
	v_cndmask_b32_e64 v4, v16, v4, s[4:5]
	v_cndmask_b32_e64 v3, v17, v5, s[4:5]
	v_xor_b32_e32 v4, v4, v14
	v_xor_b32_e32 v3, v3, v14
	v_sub_co_u32_e32 v12, vcc, v4, v14
	v_subb_co_u32_e32 v13, vcc, v3, v14, vcc
                                        ; implicit-def: $vgpr3
.LBB104_168:
	s_andn2_saveexec_b64 s[4:5], s[8:9]
	s_cbranch_execz .LBB104_170
; %bb.169:
	v_cvt_f32_u32_e32 v4, s24
	v_mov_b32_e32 v13, 0
	v_rcp_iflag_f32_e32 v4, v4
	v_mul_f32_e32 v4, 0x4f7ffffe, v4
	v_cvt_u32_f32_e32 v4, v4
	v_mul_lo_u32 v5, s10, v4
	v_mul_hi_u32 v5, v4, v5
	v_add_u32_e32 v4, v4, v5
	v_mul_hi_u32 v4, v3, v4
	v_mul_lo_u32 v5, v4, s24
	v_sub_u32_e32 v3, v3, v5
	v_add_u32_e32 v12, 1, v4
	v_subrev_u32_e32 v5, s24, v3
	v_cmp_le_u32_e32 vcc, s24, v3
	v_cndmask_b32_e32 v3, v3, v5, vcc
	v_cndmask_b32_e32 v4, v4, v12, vcc
	v_add_u32_e32 v5, 1, v4
	v_cmp_le_u32_e32 vcc, s24, v3
	v_cndmask_b32_e32 v12, v4, v5, vcc
.LBB104_170:
	s_or_b64 exec, exec, s[4:5]
	v_cmp_gt_i64_e32 vcc, s[34:35], v[6:7]
	v_pk_mov_b32 v[6:7], 0, 0
	v_pk_mov_b32 v[4:5], v[6:7], v[6:7] op_sel:[0,1]
	s_and_saveexec_b64 s[4:5], vcc
	s_cbranch_execz .LBB104_184
; %bb.171:
	s_add_i32 s8, s24, -1
	v_pk_mov_b32 v[6:7], 0, 0
	v_and_b32_e32 v14, s8, v0
	v_cmp_lt_i64_e32 vcc, 0, v[12:13]
	v_pk_mov_b32 v[4:5], v[6:7], v[6:7] op_sel:[0,1]
	s_and_saveexec_b64 s[8:9], vcc
	s_cbranch_execz .LBB104_181
; %bb.172:
	v_pk_mov_b32 v[4:5], 0, 0
	v_cmp_lt_u64_e32 vcc, 3, v[12:13]
	v_pk_mov_b32 v[16:17], 0, 0
	v_pk_mov_b32 v[6:7], v[4:5], v[4:5] op_sel:[0,1]
	s_and_saveexec_b64 s[10:11], vcc
	s_cbranch_execz .LBB104_176
; %bb.173:
	v_add_u32_e32 v3, v14, v2
	v_subrev_u32_e32 v3, s12, v3
	v_pk_mov_b32 v[6:7], 0, 0
	v_and_b32_e32 v17, 0x7fffffff, v13
	v_and_b32_e32 v16, -4, v12
	v_lshlrev_b32_e32 v3, 4, v3
	s_lshl_b32 s13, s24, 6
	s_lshl_b32 s20, s24, 4
	s_mov_b64 s[14:15], 0
	s_mov_b64 s[16:17], 0
	v_pk_mov_b32 v[4:5], v[6:7], v[6:7] op_sel:[0,1]
.LBB104_174:                            ; =>This Inner Loop Header: Depth=1
	ds_read_b128 v[22:25], v3
	v_add_u32_e32 v15, s20, v3
	v_add_u32_e32 v18, s20, v15
	ds_read_b128 v[30:33], v15
	ds_read_b128 v[34:37], v18
	v_add_u32_e32 v15, s20, v18
	ds_read_b128 v[38:41], v15
	s_add_u32 s16, s16, 4
	s_waitcnt lgkmcnt(3)
	v_add_f64 v[4:5], v[4:5], v[22:23]
	v_add_f64 v[6:7], v[6:7], v[24:25]
	s_addc_u32 s17, s17, 0
	s_waitcnt lgkmcnt(2)
	v_add_f64 v[4:5], v[4:5], v[30:31]
	v_add_f64 v[6:7], v[6:7], v[32:33]
	v_cmp_eq_u64_e32 vcc, s[16:17], v[16:17]
	s_waitcnt lgkmcnt(1)
	v_add_f64 v[4:5], v[4:5], v[34:35]
	v_add_f64 v[6:7], v[6:7], v[36:37]
	v_add_u32_e32 v3, s13, v3
	s_or_b64 s[14:15], vcc, s[14:15]
	s_waitcnt lgkmcnt(0)
	v_add_f64 v[4:5], v[4:5], v[38:39]
	v_add_f64 v[6:7], v[6:7], v[40:41]
	s_andn2_b64 exec, exec, s[14:15]
	s_cbranch_execnz .LBB104_174
; %bb.175:
	s_or_b64 exec, exec, s[14:15]
.LBB104_176:
	s_or_b64 exec, exec, s[10:11]
	v_and_b32_e32 v18, 3, v12
	v_mov_b32_e32 v19, 0
	s_mov_b64 s[14:15], 0
	v_cmp_ne_u64_e32 vcc, 0, v[18:19]
	s_and_saveexec_b64 s[10:11], vcc
	s_cbranch_execz .LBB104_180
; %bb.177:
	v_mul_lo_u32 v3, s24, v16
	v_add3_u32 v2, v14, v3, v2
	v_subrev_u32_e32 v2, s12, v2
	v_lshlrev_b32_e32 v2, 4, v2
	s_lshl_b32 s12, s24, 4
.LBB104_178:                            ; =>This Inner Loop Header: Depth=1
	ds_read_b128 v[22:25], v2
	v_add_co_u32_e32 v18, vcc, -1, v18
	v_addc_co_u32_e32 v19, vcc, -1, v19, vcc
	v_cmp_eq_u64_e32 vcc, 0, v[18:19]
	v_add_u32_e32 v2, s12, v2
	s_or_b64 s[14:15], vcc, s[14:15]
	s_waitcnt lgkmcnt(0)
	v_add_f64 v[4:5], v[4:5], v[22:23]
	v_add_f64 v[6:7], v[6:7], v[24:25]
	s_andn2_b64 exec, exec, s[14:15]
	s_cbranch_execnz .LBB104_178
; %bb.179:
	s_or_b64 exec, exec, s[14:15]
.LBB104_180:
	s_or_b64 exec, exec, s[10:11]
.LBB104_181:
	s_or_b64 exec, exec, s[8:9]
	v_mad_u64_u32 v[2:3], s[8:9], v12, s24, v[8:9]
	v_mov_b32_e32 v8, v3
	v_mad_u64_u32 v[8:9], s[8:9], v13, s24, v[8:9]
	v_mov_b32_e32 v3, v8
	v_sub_co_u32_e32 v8, vcc, v20, v2
	v_mov_b32_e32 v15, 0
	v_subb_co_u32_e32 v9, vcc, v21, v3, vcc
	v_cmp_gt_i64_e32 vcc, v[8:9], v[14:15]
	s_and_saveexec_b64 s[8:9], vcc
	s_cbranch_execz .LBB104_183
; %bb.182:
	v_add_lshl_u32 v2, v14, v2, 4
	ds_read_b128 v[12:15], v2
	s_waitcnt lgkmcnt(0)
	v_add_f64 v[4:5], v[4:5], v[12:13]
	v_add_f64 v[6:7], v[6:7], v[14:15]
.LBB104_183:
	s_or_b64 exec, exec, s[8:9]
.LBB104_184:
	s_or_b64 exec, exec, s[4:5]
	v_cmp_gt_i64_e32 vcc, s[34:35], v[0:1]
	s_barrier
	ds_write_b128 v28, v[4:7]
	s_waitcnt lgkmcnt(0)
	s_barrier
	s_and_b64 exec, exec, vcc
	s_cbranch_execz .LBB104_196
; %bb.185:
	v_mul_lo_u32 v1, s24, v0
	s_cmp_lt_u32 s24, 8
	v_pk_mov_b32 v[4:5], 0, 0
	s_cbranch_scc1 .LBB104_188
; %bb.186:
	v_pk_mov_b32 v[8:9], 0, 0
	s_and_b32 s4, s24, 0x7ffffff8
	v_lshlrev_b32_e32 v2, 4, v1
	s_mov_b32 s5, 0
	v_pk_mov_b32 v[4:5], v[8:9], v[8:9] op_sel:[0,1]
.LBB104_187:                            ; =>This Inner Loop Header: Depth=1
	ds_read_b128 v[12:15], v2
	ds_read_b128 v[16:19], v2 offset:16
	ds_read_b128 v[20:23], v2 offset:32
	;; [unrolled: 1-line block ×7, first 2 shown]
	s_waitcnt lgkmcnt(7)
	v_add_f64 v[4:5], v[4:5], v[12:13]
	v_add_f64 v[6:7], v[8:9], v[14:15]
	s_waitcnt lgkmcnt(6)
	v_add_f64 v[4:5], v[4:5], v[16:17]
	v_add_f64 v[6:7], v[6:7], v[18:19]
	;; [unrolled: 3-line block ×6, first 2 shown]
	s_add_i32 s5, s5, 8
	s_waitcnt lgkmcnt(1)
	v_add_f64 v[4:5], v[4:5], v[36:37]
	v_add_f64 v[6:7], v[6:7], v[38:39]
	v_add_u32_e32 v2, 0x80, v2
	s_cmp_eq_u32 s4, s5
	s_waitcnt lgkmcnt(0)
	v_add_f64 v[4:5], v[4:5], v[40:41]
	v_add_f64 v[8:9], v[6:7], v[42:43]
	s_cbranch_scc0 .LBB104_187
	s_branch .LBB104_189
.LBB104_188:
	s_mov_b32 s4, 0
	v_pk_mov_b32 v[8:9], v[4:5], v[4:5] op_sel:[0,1]
.LBB104_189:
	s_bfe_u32 s5, s7, 0x30001
	s_cmp_eq_u32 s5, 0
	s_cbranch_scc1 .LBB104_192
; %bb.190:
	v_add_lshl_u32 v1, s4, v1, 4
.LBB104_191:                            ; =>This Inner Loop Header: Depth=1
	ds_read_b128 v[12:15], v1
	s_add_i32 s5, s5, -1
	v_add_u32_e32 v1, 16, v1
	s_cmp_lg_u32 s5, 0
	s_waitcnt lgkmcnt(0)
	v_add_f64 v[4:5], v[4:5], v[12:13]
	v_add_f64 v[8:9], v[8:9], v[14:15]
	s_cbranch_scc1 .LBB104_191
.LBB104_192:
	v_lshlrev_b64 v[2:3], 4, v[10:11]
	v_mov_b32_e32 v1, s19
	v_add_co_u32_e32 v10, vcc, s18, v2
	v_addc_co_u32_e32 v11, vcc, v1, v3, vcc
	global_load_dwordx2 v[6:7], v[10:11], off
	s_lshl_b32 s4, s6, 4
	s_addk_i32 s4, 0x4000
	v_lshl_add_u32 v0, v0, 4, s4
	ds_read2_b64 v[0:3], v0 offset1:1
	s_mov_b64 s[4:5], 0
	s_waitcnt lgkmcnt(0)
	v_add_f64 v[0:1], v[4:5], v[0:1]
.LBB104_193:                            ; =>This Inner Loop Header: Depth=1
	s_waitcnt vmcnt(0)
	v_add_f64 v[4:5], v[6:7], v[0:1]
	global_atomic_cmpswap_x2 v[4:5], v[10:11], v[4:7], off glc
	s_waitcnt vmcnt(0)
	v_cmp_eq_u64_e32 vcc, v[4:5], v[6:7]
	s_or_b64 s[4:5], vcc, s[4:5]
	v_pk_mov_b32 v[6:7], v[4:5], v[4:5] op_sel:[0,1]
	s_andn2_b64 exec, exec, s[4:5]
	s_cbranch_execnz .LBB104_193
; %bb.194:
	s_or_b64 exec, exec, s[4:5]
	global_load_dwordx2 v[4:5], v[10:11], off offset:8
	v_add_f64 v[0:1], v[8:9], v[2:3]
	s_mov_b64 s[4:5], 0
.LBB104_195:                            ; =>This Inner Loop Header: Depth=1
	s_waitcnt vmcnt(0)
	v_add_f64 v[2:3], v[4:5], v[0:1]
	global_atomic_cmpswap_x2 v[2:3], v[10:11], v[2:5], off offset:8 glc
	s_waitcnt vmcnt(0)
	v_cmp_eq_u64_e32 vcc, v[2:3], v[4:5]
	s_or_b64 s[4:5], vcc, s[4:5]
	v_pk_mov_b32 v[4:5], v[2:3], v[2:3] op_sel:[0,1]
	s_andn2_b64 exec, exec, s[4:5]
	s_cbranch_execnz .LBB104_195
.LBB104_196:
	s_endpgm
	.section	.rodata,"a",@progbits
	.p2align	6, 0x0
	.amdhsa_kernel _ZN9rocsparseL27csrmvn_symm_adaptive_kernelIlid21rocsparse_complex_numIdES2_S2_EEvbT_S3_PKS3_NS_24const_host_device_scalarIT4_EES5_PKT0_PKT1_PKT2_S8_PT3_21rocsparse_index_base_b
		.amdhsa_group_segment_fixed_size 16384
		.amdhsa_private_segment_fixed_size 24
		.amdhsa_kernarg_size 368
		.amdhsa_user_sgpr_count 8
		.amdhsa_user_sgpr_private_segment_buffer 1
		.amdhsa_user_sgpr_dispatch_ptr 0
		.amdhsa_user_sgpr_queue_ptr 0
		.amdhsa_user_sgpr_kernarg_segment_ptr 1
		.amdhsa_user_sgpr_dispatch_id 0
		.amdhsa_user_sgpr_flat_scratch_init 1
		.amdhsa_user_sgpr_kernarg_preload_length 0
		.amdhsa_user_sgpr_kernarg_preload_offset 0
		.amdhsa_user_sgpr_private_segment_size 0
		.amdhsa_uses_dynamic_stack 0
		.amdhsa_system_sgpr_private_segment_wavefront_offset 1
		.amdhsa_system_sgpr_workgroup_id_x 1
		.amdhsa_system_sgpr_workgroup_id_y 0
		.amdhsa_system_sgpr_workgroup_id_z 0
		.amdhsa_system_sgpr_workgroup_info 0
		.amdhsa_system_vgpr_workitem_id 0
		.amdhsa_next_free_vgpr 44
		.amdhsa_next_free_sgpr 56
		.amdhsa_accum_offset 44
		.amdhsa_reserve_vcc 1
		.amdhsa_reserve_flat_scratch 1
		.amdhsa_float_round_mode_32 0
		.amdhsa_float_round_mode_16_64 0
		.amdhsa_float_denorm_mode_32 3
		.amdhsa_float_denorm_mode_16_64 3
		.amdhsa_dx10_clamp 1
		.amdhsa_ieee_mode 1
		.amdhsa_fp16_overflow 0
		.amdhsa_tg_split 0
		.amdhsa_exception_fp_ieee_invalid_op 0
		.amdhsa_exception_fp_denorm_src 0
		.amdhsa_exception_fp_ieee_div_zero 0
		.amdhsa_exception_fp_ieee_overflow 0
		.amdhsa_exception_fp_ieee_underflow 0
		.amdhsa_exception_fp_ieee_inexact 0
		.amdhsa_exception_int_div_zero 0
	.end_amdhsa_kernel
	.section	.text._ZN9rocsparseL27csrmvn_symm_adaptive_kernelIlid21rocsparse_complex_numIdES2_S2_EEvbT_S3_PKS3_NS_24const_host_device_scalarIT4_EES5_PKT0_PKT1_PKT2_S8_PT3_21rocsparse_index_base_b,"axG",@progbits,_ZN9rocsparseL27csrmvn_symm_adaptive_kernelIlid21rocsparse_complex_numIdES2_S2_EEvbT_S3_PKS3_NS_24const_host_device_scalarIT4_EES5_PKT0_PKT1_PKT2_S8_PT3_21rocsparse_index_base_b,comdat
.Lfunc_end104:
	.size	_ZN9rocsparseL27csrmvn_symm_adaptive_kernelIlid21rocsparse_complex_numIdES2_S2_EEvbT_S3_PKS3_NS_24const_host_device_scalarIT4_EES5_PKT0_PKT1_PKT2_S8_PT3_21rocsparse_index_base_b, .Lfunc_end104-_ZN9rocsparseL27csrmvn_symm_adaptive_kernelIlid21rocsparse_complex_numIdES2_S2_EEvbT_S3_PKS3_NS_24const_host_device_scalarIT4_EES5_PKT0_PKT1_PKT2_S8_PT3_21rocsparse_index_base_b
                                        ; -- End function
	.section	.AMDGPU.csdata,"",@progbits
; Kernel info:
; codeLenInByte = 10280
; NumSgprs: 62
; NumVgprs: 44
; NumAgprs: 0
; TotalNumVgprs: 44
; ScratchSize: 24
; MemoryBound: 0
; FloatMode: 240
; IeeeMode: 1
; LDSByteSize: 16384 bytes/workgroup (compile time only)
; SGPRBlocks: 7
; VGPRBlocks: 5
; NumSGPRsForWavesPerEU: 62
; NumVGPRsForWavesPerEU: 44
; AccumOffset: 44
; Occupancy: 4
; WaveLimiterHint : 1
; COMPUTE_PGM_RSRC2:SCRATCH_EN: 1
; COMPUTE_PGM_RSRC2:USER_SGPR: 8
; COMPUTE_PGM_RSRC2:TRAP_HANDLER: 0
; COMPUTE_PGM_RSRC2:TGID_X_EN: 1
; COMPUTE_PGM_RSRC2:TGID_Y_EN: 0
; COMPUTE_PGM_RSRC2:TGID_Z_EN: 0
; COMPUTE_PGM_RSRC2:TIDIG_COMP_CNT: 0
; COMPUTE_PGM_RSRC3_GFX90A:ACCUM_OFFSET: 10
; COMPUTE_PGM_RSRC3_GFX90A:TG_SPLIT: 0
	.section	.text._ZL33csrmvn_symm_large_adaptive_kernelIlid21rocsparse_complex_numIdES1_S1_EvbT_PKS2_N9rocsparse24const_host_device_scalarIT4_EES4_PKT0_PKT1_PKT2_S8_PT3_21rocsparse_index_base_b,"axG",@progbits,_ZL33csrmvn_symm_large_adaptive_kernelIlid21rocsparse_complex_numIdES1_S1_EvbT_PKS2_N9rocsparse24const_host_device_scalarIT4_EES4_PKT0_PKT1_PKT2_S8_PT3_21rocsparse_index_base_b,comdat
	.globl	_ZL33csrmvn_symm_large_adaptive_kernelIlid21rocsparse_complex_numIdES1_S1_EvbT_PKS2_N9rocsparse24const_host_device_scalarIT4_EES4_PKT0_PKT1_PKT2_S8_PT3_21rocsparse_index_base_b ; -- Begin function _ZL33csrmvn_symm_large_adaptive_kernelIlid21rocsparse_complex_numIdES1_S1_EvbT_PKS2_N9rocsparse24const_host_device_scalarIT4_EES4_PKT0_PKT1_PKT2_S8_PT3_21rocsparse_index_base_b
	.p2align	8
	.type	_ZL33csrmvn_symm_large_adaptive_kernelIlid21rocsparse_complex_numIdES1_S1_EvbT_PKS2_N9rocsparse24const_host_device_scalarIT4_EES4_PKT0_PKT1_PKT2_S8_PT3_21rocsparse_index_base_b,@function
_ZL33csrmvn_symm_large_adaptive_kernelIlid21rocsparse_complex_numIdES1_S1_EvbT_PKS2_N9rocsparse24const_host_device_scalarIT4_EES4_PKT0_PKT1_PKT2_S8_PT3_21rocsparse_index_base_b: ; @_ZL33csrmvn_symm_large_adaptive_kernelIlid21rocsparse_complex_numIdES1_S1_EvbT_PKS2_N9rocsparse24const_host_device_scalarIT4_EES4_PKT0_PKT1_PKT2_S8_PT3_21rocsparse_index_base_b
; %bb.0:
	s_add_u32 flat_scratch_lo, s6, s9
	s_addc_u32 flat_scratch_hi, s7, 0
	s_load_dwordx2 s[28:29], s[4:5], 0x60
	s_load_dwordx4 s[16:19], s[4:5], 0x18
	s_load_dwordx4 s[12:15], s[4:5], 0x48
	s_add_u32 s0, s0, s9
	s_addc_u32 s1, s1, 0
	s_waitcnt lgkmcnt(0)
	s_bitcmp1_b32 s29, 0
	v_mov_b32_e32 v1, 0
	v_mov_b32_e32 v3, s16
	s_cselect_b64 s[6:7], -1, 0
	v_cndmask_b32_e64 v2, v3, v1, s[6:7]
	v_mov_b32_e32 v1, s17
	s_mov_b64 s[10:11], src_private_base
	s_and_b64 vcc, s[6:7], exec
	buffer_store_dword v1, off, s[0:3], 0 offset:4
	buffer_store_dword v3, off, s[0:3], 0
	v_mov_b32_e32 v1, s13
	s_cselect_b32 s9, s11, s17
	buffer_store_dword v1, off, s[0:3], 0 offset:12
	v_mov_b32_e32 v1, s12
	buffer_store_dword v1, off, s[0:3], 0 offset:8
	v_mov_b32_e32 v3, s9
	flat_load_dwordx2 v[8:9], v[2:3]
	s_xor_b64 s[20:21], s[6:7], -1
	v_pk_mov_b32 v[10:11], s[18:19], s[18:19] op_sel:[0,1]
	s_cbranch_vccnz .LBB105_2
; %bb.1:
	v_pk_mov_b32 v[2:3], s[16:17], s[16:17] op_sel:[0,1]
	flat_load_dwordx2 v[10:11], v[2:3] offset:8
.LBB105_2:
	s_and_b64 s[16:17], s[6:7], exec
	s_cselect_b32 s9, s11, s13
	v_mov_b32_e32 v1, 8
	v_mov_b32_e32 v2, s12
	v_cndmask_b32_e64 v2, v2, v1, s[6:7]
	v_mov_b32_e32 v3, s9
	flat_load_dwordx2 v[2:3], v[2:3]
	s_andn2_b64 vcc, exec, s[20:21]
	v_pk_mov_b32 v[4:5], s[14:15], s[14:15] op_sel:[0,1]
	s_cbranch_vccnz .LBB105_4
; %bb.3:
	v_pk_mov_b32 v[4:5], s[12:13], s[12:13] op_sel:[0,1]
	flat_load_dwordx2 v[4:5], v[4:5] offset:8
.LBB105_4:
	s_waitcnt vmcnt(0) lgkmcnt(0)
	v_cmp_eq_f64_e32 vcc, 0, v[8:9]
	v_cmp_eq_f64_e64 s[6:7], 0, v[10:11]
	s_and_b64 s[12:13], vcc, s[6:7]
	s_mov_b64 s[6:7], -1
	s_and_saveexec_b64 s[10:11], s[12:13]
; %bb.5:
	v_cmp_neq_f64_e32 vcc, 1.0, v[2:3]
	v_cmp_neq_f64_e64 s[6:7], 0, v[4:5]
	s_or_b64 s[6:7], vcc, s[6:7]
	s_orn2_b64 s[6:7], s[6:7], exec
; %bb.6:
	s_or_b64 exec, exec, s[10:11]
	s_and_saveexec_b64 s[10:11], s[6:7]
	s_cbranch_execz .LBB105_51
; %bb.7:
	s_load_dwordx2 s[6:7], s[4:5], 0x10
	s_mov_b32 s12, 0
	s_ashr_i32 s9, s8, 31
	s_mov_b32 s13, s12
	s_lshl_b64 s[8:9], s[8:9], 3
	s_mov_b32 s14, s12
	s_mov_b32 s15, s12
	v_pk_mov_b32 v[2:3], s[12:13], s[12:13] op_sel:[0,1]
	s_waitcnt lgkmcnt(0)
	s_add_u32 s6, s6, s8
	v_lshlrev_b32_e32 v14, 4, v0
	v_pk_mov_b32 v[4:5], s[14:15], s[14:15] op_sel:[0,1]
	s_addc_u32 s7, s7, s9
	ds_write_b128 v14, v[2:5]
	ds_write_b128 v14, v[2:5] offset:4096
	ds_write_b128 v14, v[2:5] offset:8192
	;; [unrolled: 1-line block ×3, first 2 shown]
	s_waitcnt lgkmcnt(0)
	s_barrier
	s_load_dwordx4 s[24:27], s[6:7], 0x0
	s_load_dwordx2 s[30:31], s[4:5], 0x58
	s_load_dwordx8 s[16:23], s[4:5], 0x28
	v_subrev_co_u32_e64 v15, s[4:5], s28, v0
	s_waitcnt lgkmcnt(0)
	v_pk_mov_b32 v[2:3], s[26:27], s[26:27] op_sel:[0,1]
	v_cmp_lt_i64_e32 vcc, s[24:25], v[2:3]
	s_mov_b32 s29, s12
	v_subb_co_u32_e64 v16, s[4:5], 0, 0, s[4:5]
	s_cbranch_vccnz .LBB105_9
; %bb.8:
	s_lshl_b64 s[4:5], s[24:25], 3
	s_add_u32 s4, s16, s4
	s_addc_u32 s5, s17, s5
	s_load_dwordx2 s[34:35], s[4:5], 0x0
	s_cbranch_execz .LBB105_10
	s_branch .LBB105_39
.LBB105_9:
                                        ; implicit-def: $sgpr34_sgpr35
.LBB105_10:
	s_lshl_b64 s[14:15], s[24:25], 3
	s_add_u32 s14, s16, s14
	s_addc_u32 s15, s17, s15
	s_waitcnt lgkmcnt(0)
	s_load_dwordx2 s[34:35], s[14:15], 0x0
	s_movk_i32 s33, 0x100
	s_add_u32 s46, s16, 8
	v_cmp_gt_u32_e64 s[4:5], s33, v0
	v_cmp_gt_u32_e64 s[6:7], 64, v0
	;; [unrolled: 1-line block ×4, first 2 shown]
	v_cmp_eq_u32_e64 s[12:13], 0, v0
	s_addc_u32 s47, s17, 0
	v_mov_b32_e32 v17, s23
	v_mov_b32_e32 v18, 0
	s_waitcnt lgkmcnt(0)
	s_mov_b64 s[38:39], s[34:35]
	s_mov_b64 s[36:37], s[24:25]
	s_branch .LBB105_12
.LBB105_11:                             ;   in Loop: Header=BB105_12 Depth=1
	s_or_b64 exec, exec, s[14:15]
	s_add_u32 s36, s36, 1
	s_addc_u32 s37, s37, 0
	v_pk_mov_b32 v[0:1], s[26:27], s[26:27] op_sel:[0,1]
	v_cmp_ge_i64_e32 vcc, s[36:37], v[0:1]
	s_cbranch_vccnz .LBB105_39
.LBB105_12:                             ; =>This Loop Header: Depth=1
                                        ;     Child Loop BB105_14 Depth 2
                                        ;     Child Loop BB105_28 Depth 2
	;; [unrolled: 1-line block ×5, first 2 shown]
	s_mov_b64 s[14:15], s[38:39]
	s_lshl_b64 s[38:39], s[36:37], 3
	s_add_u32 s38, s46, s38
	s_addc_u32 s39, s47, s39
	s_load_dwordx2 s[38:39], s[38:39], 0x0
	v_mov_b32_e32 v0, s15
	v_add_co_u32_e32 v4, vcc, s14, v15
	v_addc_co_u32_e32 v5, vcc, v0, v16, vcc
	s_waitcnt lgkmcnt(0)
	s_sub_u32 s40, s38, s28
	s_subb_u32 s41, s39, 0
	v_pk_mov_b32 v[2:3], 0, 0
	v_cmp_gt_i64_e32 vcc, s[40:41], v[4:5]
	v_pk_mov_b32 v[0:1], v[2:3], v[2:3] op_sel:[0,1]
	s_and_saveexec_b64 s[42:43], vcc
	s_cbranch_execz .LBB105_16
; %bb.13:                               ;   in Loop: Header=BB105_12 Depth=1
	v_lshlrev_b64 v[0:1], 2, v[4:5]
	v_mov_b32_e32 v2, s19
	v_add_co_u32_e32 v6, vcc, s18, v0
	v_addc_co_u32_e32 v7, vcc, v2, v1, vcc
	v_lshlrev_b64 v[0:1], 3, v[4:5]
	v_mov_b32_e32 v2, s21
	v_add_co_u32_e32 v12, vcc, s20, v0
	v_addc_co_u32_e32 v13, vcc, v2, v1, vcc
	v_pk_mov_b32 v[2:3], 0, 0
	s_mov_b64 s[44:45], 0
	v_pk_mov_b32 v[0:1], v[2:3], v[2:3] op_sel:[0,1]
.LBB105_14:                             ;   Parent Loop BB105_12 Depth=1
                                        ; =>  This Inner Loop Header: Depth=2
	global_load_dword v19, v[6:7], off
	global_load_dwordx2 v[24:25], v[12:13], off
	s_waitcnt vmcnt(1)
	v_subrev_u32_e32 v20, s28, v19
	v_ashrrev_i32_e32 v21, 31, v20
	v_lshlrev_b64 v[20:21], 4, v[20:21]
	v_add_co_u32_e32 v20, vcc, s22, v20
	v_addc_co_u32_e32 v21, vcc, v17, v21, vcc
	global_load_dwordx4 v[20:23], v[20:21], off
	v_add_co_u32_e32 v4, vcc, s33, v4
	v_addc_co_u32_e32 v5, vcc, 0, v5, vcc
	v_add_co_u32_e32 v6, vcc, 0x400, v6
	v_addc_co_u32_e32 v7, vcc, 0, v7, vcc
	v_add_co_u32_e32 v12, vcc, 0x800, v12
	v_cmp_le_i64_e64 s[14:15], s[40:41], v[4:5]
	v_addc_co_u32_e32 v13, vcc, 0, v13, vcc
	s_or_b64 s[44:45], s[14:15], s[44:45]
	s_waitcnt vmcnt(0)
	v_fmac_f64_e32 v[0:1], v[24:25], v[20:21]
	v_fmac_f64_e32 v[2:3], 0, v[20:21]
	;; [unrolled: 1-line block ×4, first 2 shown]
	s_andn2_b64 exec, exec, s[44:45]
	s_cbranch_execnz .LBB105_14
; %bb.15:                               ;   in Loop: Header=BB105_12 Depth=1
	s_or_b64 exec, exec, s[44:45]
.LBB105_16:                             ;   in Loop: Header=BB105_12 Depth=1
	s_or_b64 exec, exec, s[42:43]
	ds_write_b128 v14, v[0:3]
	s_waitcnt lgkmcnt(0)
	s_barrier
	s_and_saveexec_b64 s[14:15], s[4:5]
	s_cbranch_execz .LBB105_18
; %bb.17:                               ;   in Loop: Header=BB105_12 Depth=1
	ds_read_b128 v[0:3], v14 offset:4096
	ds_read_b128 v[4:7], v14 offset:8192
	ds_read_b128 v[20:23], v14 offset:12288
	ds_read_b128 v[24:27], v14
	s_waitcnt lgkmcnt(2)
	v_add_f64 v[0:1], v[4:5], v[0:1]
	v_add_f64 v[2:3], v[6:7], v[2:3]
	s_waitcnt lgkmcnt(1)
	v_add_f64 v[0:1], v[0:1], v[20:21]
	v_add_f64 v[2:3], v[2:3], v[22:23]
	s_waitcnt lgkmcnt(0)
	v_add_f64 v[0:1], v[0:1], v[24:25]
	v_add_f64 v[2:3], v[2:3], v[26:27]
	ds_write_b128 v14, v[0:3]
.LBB105_18:                             ;   in Loop: Header=BB105_12 Depth=1
	s_or_b64 exec, exec, s[14:15]
	s_waitcnt lgkmcnt(0)
	s_barrier
	s_and_saveexec_b64 s[14:15], s[6:7]
	s_cbranch_execz .LBB105_20
; %bb.19:                               ;   in Loop: Header=BB105_12 Depth=1
	ds_read_b128 v[0:3], v14 offset:1024
	ds_read_b128 v[4:7], v14 offset:2048
	ds_read_b128 v[20:23], v14 offset:3072
	ds_read_b128 v[24:27], v14
	s_waitcnt lgkmcnt(2)
	v_add_f64 v[0:1], v[4:5], v[0:1]
	v_add_f64 v[2:3], v[6:7], v[2:3]
	s_waitcnt lgkmcnt(1)
	v_add_f64 v[0:1], v[0:1], v[20:21]
	v_add_f64 v[2:3], v[2:3], v[22:23]
	s_waitcnt lgkmcnt(0)
	v_add_f64 v[0:1], v[0:1], v[24:25]
	v_add_f64 v[2:3], v[2:3], v[26:27]
	ds_write_b128 v14, v[0:3]
.LBB105_20:                             ;   in Loop: Header=BB105_12 Depth=1
	s_or_b64 exec, exec, s[14:15]
	;; [unrolled: 21-line block ×5, first 2 shown]
	s_waitcnt lgkmcnt(0)
	s_barrier
	s_and_saveexec_b64 s[14:15], s[12:13]
	s_cbranch_execz .LBB105_11
; %bb.27:                               ;   in Loop: Header=BB105_12 Depth=1
	ds_read_b128 v[0:3], v18
	v_mov_b32_e32 v12, 0
	s_mov_b64 s[40:41], exec
	v_bfrev_b32_e32 v13, 1
	s_waitcnt lgkmcnt(0)
	v_mul_f64 v[4:5], v[2:3], -v[10:11]
	v_fmac_f64_e32 v[4:5], v[8:9], v[0:1]
.LBB105_28:                             ;   Parent Loop BB105_12 Depth=1
                                        ; =>  This Inner Loop Header: Depth=2
	s_ff1_i32_b64 s44, s[40:41]
	v_readlane_b32 s43, v5, s44
	v_readlane_b32 s42, v4, s44
	s_lshl_b64 s[44:45], 1, s44
	s_andn2_b64 s[40:41], s[40:41], s[44:45]
	s_cmp_lg_u64 s[40:41], 0
	v_add_f64 v[12:13], v[12:13], s[42:43]
	s_cbranch_scc1 .LBB105_28
; %bb.29:                               ;   in Loop: Header=BB105_12 Depth=1
	s_lshl_b64 s[40:41], s[36:37], 4
	v_mbcnt_lo_u32_b32 v4, exec_lo, 0
	s_add_u32 s40, s30, s40
	v_mbcnt_hi_u32_b32 v4, exec_hi, v4
	s_addc_u32 s41, s31, s41
	v_cmp_eq_u32_e32 vcc, 0, v4
	s_and_saveexec_b64 s[42:43], vcc
	s_xor_b64 s[42:43], exec, s[42:43]
	s_cbranch_execz .LBB105_33
; %bb.30:                               ;   in Loop: Header=BB105_12 Depth=1
	global_load_dwordx2 v[6:7], v18, s[40:41]
	s_mov_b64 s[44:45], 0
.LBB105_31:                             ;   Parent Loop BB105_12 Depth=1
                                        ; =>  This Inner Loop Header: Depth=2
	s_waitcnt vmcnt(0)
	v_add_f64 v[4:5], v[6:7], v[12:13]
	global_atomic_cmpswap_x2 v[4:5], v18, v[4:7], s[40:41] glc
	s_waitcnt vmcnt(0)
	v_cmp_eq_u64_e32 vcc, v[4:5], v[6:7]
	s_or_b64 s[44:45], vcc, s[44:45]
	v_pk_mov_b32 v[6:7], v[4:5], v[4:5] op_sel:[0,1]
	s_andn2_b64 exec, exec, s[44:45]
	s_cbranch_execnz .LBB105_31
; %bb.32:                               ;   in Loop: Header=BB105_12 Depth=1
	s_or_b64 exec, exec, s[44:45]
.LBB105_33:                             ;   in Loop: Header=BB105_12 Depth=1
	s_or_b64 exec, exec, s[42:43]
	v_mul_f64 v[2:3], v[8:9], v[2:3]
	v_mov_b32_e32 v4, 0
	s_mov_b64 s[42:43], exec
	v_fmac_f64_e32 v[2:3], v[10:11], v[0:1]
	v_bfrev_b32_e32 v5, 1
.LBB105_34:                             ;   Parent Loop BB105_12 Depth=1
                                        ; =>  This Inner Loop Header: Depth=2
	s_ff1_i32_b64 s48, s[42:43]
	v_readlane_b32 s45, v3, s48
	v_readlane_b32 s44, v2, s48
	s_lshl_b64 s[48:49], 1, s48
	s_andn2_b64 s[42:43], s[42:43], s[48:49]
	s_cmp_lg_u64 s[42:43], 0
	v_add_f64 v[4:5], v[4:5], s[44:45]
	s_cbranch_scc1 .LBB105_34
; %bb.35:                               ;   in Loop: Header=BB105_12 Depth=1
	v_mbcnt_lo_u32_b32 v0, exec_lo, 0
	v_mbcnt_hi_u32_b32 v0, exec_hi, v0
	v_cmp_eq_u32_e32 vcc, 0, v0
	s_and_saveexec_b64 s[42:43], vcc
	s_xor_b64 s[42:43], exec, s[42:43]
	s_cbranch_execz .LBB105_11
; %bb.36:                               ;   in Loop: Header=BB105_12 Depth=1
	global_load_dwordx2 v[2:3], v18, s[40:41] offset:8
	s_mov_b64 s[42:43], 0
.LBB105_37:                             ;   Parent Loop BB105_12 Depth=1
                                        ; =>  This Inner Loop Header: Depth=2
	s_waitcnt vmcnt(0)
	v_add_f64 v[0:1], v[2:3], v[4:5]
	global_atomic_cmpswap_x2 v[0:1], v18, v[0:3], s[40:41] offset:8 glc
	s_waitcnt vmcnt(0)
	v_cmp_eq_u64_e32 vcc, v[0:1], v[2:3]
	s_or_b64 s[42:43], vcc, s[42:43]
	v_pk_mov_b32 v[2:3], v[0:1], v[0:1] op_sel:[0,1]
	s_andn2_b64 exec, exec, s[42:43]
	s_cbranch_execnz .LBB105_37
; %bb.38:                               ;   in Loop: Header=BB105_12 Depth=1
	s_or_b64 exec, exec, s[42:43]
	s_branch .LBB105_11
.LBB105_39:
	s_lshl_b64 s[4:5], s[26:27], 3
	s_add_u32 s4, s16, s4
	s_addc_u32 s5, s17, s5
	s_load_dwordx2 s[4:5], s[4:5], 0x0
	s_waitcnt lgkmcnt(0)
	v_mov_b32_e32 v0, s35
	v_add_co_u32_e32 v12, vcc, s34, v15
	v_addc_co_u32_e32 v13, vcc, v0, v16, vcc
	s_sub_u32 s8, s4, s28
	s_subb_u32 s9, s5, 0
	v_cmp_gt_i64_e32 vcc, s[8:9], v[12:13]
	s_and_b64 exec, exec, vcc
	s_cbranch_execz .LBB105_51
; %bb.40:
	s_add_u32 s10, s26, -1
	s_addc_u32 s11, s27, -1
	s_add_u32 s4, s26, -2
	s_addc_u32 s5, s27, -1
	v_pk_mov_b32 v[0:1], s[24:25], s[24:25] op_sel:[0,1]
	s_cmp_lg_u64 s[4:5], s[24:25]
	v_cmp_gt_i64_e32 vcc, s[10:11], v[0:1]
	s_cselect_b64 s[4:5], -1, 0
	s_mov_b32 s6, 0
	s_and_b64 s[4:5], vcc, s[4:5]
	s_brev_b32 s7, 1
	v_cndmask_b32_e64 v0, 0, 1, s[4:5]
	v_mul_f64 v[14:15], v[10:11], s[6:7]
	s_mov_b64 s[12:13], 0
	v_mul_f64 v[16:17], v[8:9], 0
	v_cmp_ne_u32_e64 s[4:5], 1, v0
	v_mov_b32_e32 v26, s17
	v_mov_b32_e32 v27, s29
	;; [unrolled: 1-line block ×3, first 2 shown]
	s_branch .LBB105_42
.LBB105_41:                             ;   in Loop: Header=BB105_42 Depth=1
	s_or_b64 exec, exec, s[6:7]
	v_add_co_u32_e32 v12, vcc, 0x100, v12
	v_addc_co_u32_e32 v13, vcc, 0, v13, vcc
	v_cmp_le_i64_e32 vcc, s[8:9], v[12:13]
	s_or_b64 s[12:13], vcc, s[12:13]
	s_andn2_b64 exec, exec, s[12:13]
	s_cbranch_execz .LBB105_51
.LBB105_42:                             ; =>This Loop Header: Depth=1
                                        ;     Child Loop BB105_44 Depth 2
                                        ;     Child Loop BB105_48 Depth 2
	;; [unrolled: 1-line block ×3, first 2 shown]
	s_and_b64 vcc, exec, s[4:5]
	v_pk_mov_b32 v[0:1], s[24:25], s[24:25] op_sel:[0,1]
	v_pk_mov_b32 v[2:3], s[10:11], s[10:11] op_sel:[0,1]
	s_cbranch_vccnz .LBB105_46
; %bb.43:                               ;   in Loop: Header=BB105_42 Depth=1
	s_mov_b64 s[14:15], 0
	v_pk_mov_b32 v[0:1], s[24:25], s[24:25] op_sel:[0,1]
	v_pk_mov_b32 v[2:3], s[10:11], s[10:11] op_sel:[0,1]
.LBB105_44:                             ;   Parent Loop BB105_42 Depth=1
                                        ; =>  This Inner Loop Header: Depth=2
	v_add_co_u32_e32 v4, vcc, v2, v0
	v_addc_co_u32_e32 v5, vcc, v3, v1, vcc
	v_lshrrev_b32_e32 v6, 31, v5
	v_add_co_u32_e32 v4, vcc, v4, v6
	v_addc_co_u32_e32 v5, vcc, 0, v5, vcc
	v_ashrrev_i64 v[4:5], 1, v[4:5]
	v_lshlrev_b64 v[6:7], 3, v[4:5]
	v_mov_b32_e32 v18, s17
	v_add_co_u32_e32 v6, vcc, s16, v6
	v_addc_co_u32_e32 v7, vcc, v18, v7, vcc
	global_load_dwordx2 v[6:7], v[6:7], off
	v_mov_b32_e32 v18, s29
	s_waitcnt vmcnt(0)
	v_subrev_co_u32_e32 v6, vcc, s28, v6
	v_subb_co_u32_e32 v7, vcc, v7, v18, vcc
	v_cmp_gt_i64_e32 vcc, v[6:7], v[12:13]
	v_cndmask_b32_e32 v2, v2, v4, vcc
	v_cndmask_b32_e32 v3, v3, v5, vcc
	;; [unrolled: 1-line block ×3, first 2 shown]
	v_add_co_u32_e64 v4, s[6:7], -1, v2
	v_cndmask_b32_e32 v1, v5, v1, vcc
	v_addc_co_u32_e64 v5, s[6:7], -1, v3, s[6:7]
	v_cmp_ge_i64_e32 vcc, v[0:1], v[2:3]
	v_cmp_eq_u64_e64 s[6:7], v[0:1], v[4:5]
	s_or_b64 s[6:7], vcc, s[6:7]
	s_and_b64 s[6:7], exec, s[6:7]
	s_or_b64 s[14:15], s[6:7], s[14:15]
	s_andn2_b64 exec, exec, s[14:15]
	s_cbranch_execnz .LBB105_44
; %bb.45:                               ;   in Loop: Header=BB105_42 Depth=1
	s_or_b64 exec, exec, s[14:15]
.LBB105_46:                             ;   in Loop: Header=BB105_42 Depth=1
	v_lshlrev_b64 v[4:5], 3, v[2:3]
	v_add_co_u32_e32 v4, vcc, s16, v4
	v_addc_co_u32_e32 v5, vcc, v26, v5, vcc
	v_lshlrev_b64 v[6:7], 2, v[12:13]
	global_load_dwordx2 v[4:5], v[4:5], off
	v_add_co_u32_e32 v6, vcc, s18, v6
	v_addc_co_u32_e32 v7, vcc, v28, v7, vcc
	global_load_dword v18, v[6:7], off
	s_waitcnt vmcnt(1)
	v_subrev_co_u32_e32 v6, vcc, s28, v4
	v_subb_co_u32_e32 v7, vcc, v5, v27, vcc
	v_cmp_gt_i64_e32 vcc, v[6:7], v[12:13]
	s_waitcnt vmcnt(0)
	v_subrev_u32_e32 v4, s28, v18
	v_cndmask_b32_e32 v1, v3, v1, vcc
	v_cndmask_b32_e32 v0, v2, v0, vcc
	v_ashrrev_i32_e32 v5, 31, v4
	v_cmp_ne_u64_e32 vcc, v[0:1], v[4:5]
	s_and_saveexec_b64 s[6:7], vcc
	s_cbranch_execz .LBB105_41
; %bb.47:                               ;   in Loop: Header=BB105_42 Depth=1
	v_lshlrev_b64 v[2:3], 3, v[12:13]
	v_mov_b32_e32 v7, s21
	v_add_co_u32_e32 v2, vcc, s20, v2
	v_addc_co_u32_e32 v3, vcc, v7, v3, vcc
	v_lshlrev_b64 v[0:1], 4, v[0:1]
	global_load_dwordx2 v[22:23], v[2:3], off
	v_mov_b32_e32 v2, s23
	v_add_co_u32_e32 v0, vcc, s22, v0
	v_lshlrev_b64 v[4:5], 4, v[4:5]
	v_addc_co_u32_e32 v1, vcc, v2, v1, vcc
	v_mov_b32_e32 v6, s31
	global_load_dwordx4 v[0:3], v[0:1], off
	v_add_co_u32_e32 v18, vcc, s30, v4
	v_addc_co_u32_e32 v19, vcc, v6, v5, vcc
	global_load_dwordx2 v[6:7], v[18:19], off
	s_mov_b64 s[14:15], 0
	s_waitcnt vmcnt(2)
	v_fma_f64 v[20:21], v[8:9], v[22:23], v[14:15]
	v_fma_f64 v[22:23], v[10:11], v[22:23], v[16:17]
	s_waitcnt vmcnt(1)
	v_mul_f64 v[24:25], v[2:3], -v[22:23]
	v_fmac_f64_e32 v[24:25], v[20:21], v[0:1]
.LBB105_48:                             ;   Parent Loop BB105_42 Depth=1
                                        ; =>  This Inner Loop Header: Depth=2
	s_waitcnt vmcnt(0)
	v_add_f64 v[4:5], v[6:7], v[24:25]
	global_atomic_cmpswap_x2 v[4:5], v[18:19], v[4:7], off glc
	s_waitcnt vmcnt(0)
	v_cmp_eq_u64_e32 vcc, v[4:5], v[6:7]
	s_or_b64 s[14:15], vcc, s[14:15]
	v_pk_mov_b32 v[6:7], v[4:5], v[4:5] op_sel:[0,1]
	s_andn2_b64 exec, exec, s[14:15]
	s_cbranch_execnz .LBB105_48
; %bb.49:                               ;   in Loop: Header=BB105_42 Depth=1
	s_or_b64 exec, exec, s[14:15]
	global_load_dwordx2 v[4:5], v[18:19], off offset:8
	v_mul_f64 v[6:7], v[20:21], v[2:3]
	v_fmac_f64_e32 v[6:7], v[22:23], v[0:1]
	s_mov_b64 s[14:15], 0
.LBB105_50:                             ;   Parent Loop BB105_42 Depth=1
                                        ; =>  This Inner Loop Header: Depth=2
	s_waitcnt vmcnt(0)
	v_add_f64 v[2:3], v[4:5], v[6:7]
	global_atomic_cmpswap_x2 v[0:1], v[18:19], v[2:5], off offset:8 glc
	s_waitcnt vmcnt(0)
	v_cmp_eq_u64_e32 vcc, v[0:1], v[4:5]
	s_or_b64 s[14:15], vcc, s[14:15]
	v_pk_mov_b32 v[4:5], v[0:1], v[0:1] op_sel:[0,1]
	s_andn2_b64 exec, exec, s[14:15]
	s_cbranch_execnz .LBB105_50
	s_branch .LBB105_41
.LBB105_51:
	s_endpgm
	.section	.rodata,"a",@progbits
	.p2align	6, 0x0
	.amdhsa_kernel _ZL33csrmvn_symm_large_adaptive_kernelIlid21rocsparse_complex_numIdES1_S1_EvbT_PKS2_N9rocsparse24const_host_device_scalarIT4_EES4_PKT0_PKT1_PKT2_S8_PT3_21rocsparse_index_base_b
		.amdhsa_group_segment_fixed_size 16384
		.amdhsa_private_segment_fixed_size 24
		.amdhsa_kernarg_size 104
		.amdhsa_user_sgpr_count 8
		.amdhsa_user_sgpr_private_segment_buffer 1
		.amdhsa_user_sgpr_dispatch_ptr 0
		.amdhsa_user_sgpr_queue_ptr 0
		.amdhsa_user_sgpr_kernarg_segment_ptr 1
		.amdhsa_user_sgpr_dispatch_id 0
		.amdhsa_user_sgpr_flat_scratch_init 1
		.amdhsa_user_sgpr_kernarg_preload_length 0
		.amdhsa_user_sgpr_kernarg_preload_offset 0
		.amdhsa_user_sgpr_private_segment_size 0
		.amdhsa_uses_dynamic_stack 0
		.amdhsa_system_sgpr_private_segment_wavefront_offset 1
		.amdhsa_system_sgpr_workgroup_id_x 1
		.amdhsa_system_sgpr_workgroup_id_y 0
		.amdhsa_system_sgpr_workgroup_id_z 0
		.amdhsa_system_sgpr_workgroup_info 0
		.amdhsa_system_vgpr_workitem_id 0
		.amdhsa_next_free_vgpr 29
		.amdhsa_next_free_sgpr 50
		.amdhsa_accum_offset 32
		.amdhsa_reserve_vcc 1
		.amdhsa_reserve_flat_scratch 1
		.amdhsa_float_round_mode_32 0
		.amdhsa_float_round_mode_16_64 0
		.amdhsa_float_denorm_mode_32 3
		.amdhsa_float_denorm_mode_16_64 3
		.amdhsa_dx10_clamp 1
		.amdhsa_ieee_mode 1
		.amdhsa_fp16_overflow 0
		.amdhsa_tg_split 0
		.amdhsa_exception_fp_ieee_invalid_op 0
		.amdhsa_exception_fp_denorm_src 0
		.amdhsa_exception_fp_ieee_div_zero 0
		.amdhsa_exception_fp_ieee_overflow 0
		.amdhsa_exception_fp_ieee_underflow 0
		.amdhsa_exception_fp_ieee_inexact 0
		.amdhsa_exception_int_div_zero 0
	.end_amdhsa_kernel
	.section	.text._ZL33csrmvn_symm_large_adaptive_kernelIlid21rocsparse_complex_numIdES1_S1_EvbT_PKS2_N9rocsparse24const_host_device_scalarIT4_EES4_PKT0_PKT1_PKT2_S8_PT3_21rocsparse_index_base_b,"axG",@progbits,_ZL33csrmvn_symm_large_adaptive_kernelIlid21rocsparse_complex_numIdES1_S1_EvbT_PKS2_N9rocsparse24const_host_device_scalarIT4_EES4_PKT0_PKT1_PKT2_S8_PT3_21rocsparse_index_base_b,comdat
.Lfunc_end105:
	.size	_ZL33csrmvn_symm_large_adaptive_kernelIlid21rocsparse_complex_numIdES1_S1_EvbT_PKS2_N9rocsparse24const_host_device_scalarIT4_EES4_PKT0_PKT1_PKT2_S8_PT3_21rocsparse_index_base_b, .Lfunc_end105-_ZL33csrmvn_symm_large_adaptive_kernelIlid21rocsparse_complex_numIdES1_S1_EvbT_PKS2_N9rocsparse24const_host_device_scalarIT4_EES4_PKT0_PKT1_PKT2_S8_PT3_21rocsparse_index_base_b
                                        ; -- End function
	.section	.AMDGPU.csdata,"",@progbits
; Kernel info:
; codeLenInByte = 2604
; NumSgprs: 56
; NumVgprs: 29
; NumAgprs: 0
; TotalNumVgprs: 29
; ScratchSize: 24
; MemoryBound: 0
; FloatMode: 240
; IeeeMode: 1
; LDSByteSize: 16384 bytes/workgroup (compile time only)
; SGPRBlocks: 6
; VGPRBlocks: 3
; NumSGPRsForWavesPerEU: 56
; NumVGPRsForWavesPerEU: 29
; AccumOffset: 32
; Occupancy: 4
; WaveLimiterHint : 1
; COMPUTE_PGM_RSRC2:SCRATCH_EN: 1
; COMPUTE_PGM_RSRC2:USER_SGPR: 8
; COMPUTE_PGM_RSRC2:TRAP_HANDLER: 0
; COMPUTE_PGM_RSRC2:TGID_X_EN: 1
; COMPUTE_PGM_RSRC2:TGID_Y_EN: 0
; COMPUTE_PGM_RSRC2:TGID_Z_EN: 0
; COMPUTE_PGM_RSRC2:TIDIG_COMP_CNT: 0
; COMPUTE_PGM_RSRC3_GFX90A:ACCUM_OFFSET: 7
; COMPUTE_PGM_RSRC3_GFX90A:TG_SPLIT: 0
	.section	.text._ZN9rocsparseL22csrmvn_adaptive_kernelIlld21rocsparse_complex_numIdES2_S2_EEvbT_PKS3_PjPKT0_NS_24const_host_device_scalarIT4_EES5_S9_PKT1_PKT2_SC_PT3_21rocsparse_index_base_b,"axG",@progbits,_ZN9rocsparseL22csrmvn_adaptive_kernelIlld21rocsparse_complex_numIdES2_S2_EEvbT_PKS3_PjPKT0_NS_24const_host_device_scalarIT4_EES5_S9_PKT1_PKT2_SC_PT3_21rocsparse_index_base_b,comdat
	.globl	_ZN9rocsparseL22csrmvn_adaptive_kernelIlld21rocsparse_complex_numIdES2_S2_EEvbT_PKS3_PjPKT0_NS_24const_host_device_scalarIT4_EES5_S9_PKT1_PKT2_SC_PT3_21rocsparse_index_base_b ; -- Begin function _ZN9rocsparseL22csrmvn_adaptive_kernelIlld21rocsparse_complex_numIdES2_S2_EEvbT_PKS3_PjPKT0_NS_24const_host_device_scalarIT4_EES5_S9_PKT1_PKT2_SC_PT3_21rocsparse_index_base_b
	.p2align	8
	.type	_ZN9rocsparseL22csrmvn_adaptive_kernelIlld21rocsparse_complex_numIdES2_S2_EEvbT_PKS3_PjPKT0_NS_24const_host_device_scalarIT4_EES5_S9_PKT1_PKT2_SC_PT3_21rocsparse_index_base_b,@function
_ZN9rocsparseL22csrmvn_adaptive_kernelIlld21rocsparse_complex_numIdES2_S2_EEvbT_PKS3_PjPKT0_NS_24const_host_device_scalarIT4_EES5_S9_PKT1_PKT2_SC_PT3_21rocsparse_index_base_b: ; @_ZN9rocsparseL22csrmvn_adaptive_kernelIlld21rocsparse_complex_numIdES2_S2_EEvbT_PKS3_PjPKT0_NS_24const_host_device_scalarIT4_EES5_S9_PKT1_PKT2_SC_PT3_21rocsparse_index_base_b
; %bb.0:
	s_add_u32 flat_scratch_lo, s6, s9
	s_load_dwordx2 s[48:49], s[4:5], 0x70
	s_load_dwordx4 s[16:19], s[4:5], 0x28
	s_addc_u32 flat_scratch_hi, s7, 0
	s_add_u32 s0, s0, s9
	s_load_dwordx4 s[12:15], s[4:5], 0x58
	s_addc_u32 s1, s1, 0
	s_waitcnt lgkmcnt(0)
	s_bitcmp1_b32 s49, 0
	v_mov_b32_e32 v1, 0
	v_mov_b32_e32 v3, s16
	s_cselect_b64 s[6:7], -1, 0
	v_cndmask_b32_e64 v2, v3, v1, s[6:7]
	v_mov_b32_e32 v1, s17
	s_mov_b64 s[10:11], src_private_base
	s_and_b64 vcc, s[6:7], exec
	buffer_store_dword v1, off, s[0:3], 0 offset:4
	buffer_store_dword v3, off, s[0:3], 0
	v_mov_b32_e32 v1, s13
	s_cselect_b32 s9, s11, s17
	buffer_store_dword v1, off, s[0:3], 0 offset:12
	v_mov_b32_e32 v1, s12
	buffer_store_dword v1, off, s[0:3], 0 offset:8
	v_mov_b32_e32 v3, s9
	flat_load_dwordx2 v[14:15], v[2:3]
	s_xor_b64 s[20:21], s[6:7], -1
	v_pk_mov_b32 v[16:17], s[18:19], s[18:19] op_sel:[0,1]
	s_cbranch_vccnz .LBB106_2
; %bb.1:
	v_pk_mov_b32 v[2:3], s[16:17], s[16:17] op_sel:[0,1]
	flat_load_dwordx2 v[16:17], v[2:3] offset:8
.LBB106_2:
	s_and_b64 s[16:17], s[6:7], exec
	s_cselect_b32 s9, s11, s13
	v_mov_b32_e32 v1, 8
	v_mov_b32_e32 v2, s12
	v_cndmask_b32_e64 v2, v2, v1, s[6:7]
	v_mov_b32_e32 v3, s9
	flat_load_dwordx2 v[10:11], v[2:3]
	s_andn2_b64 vcc, exec, s[20:21]
	v_pk_mov_b32 v[12:13], s[14:15], s[14:15] op_sel:[0,1]
	s_cbranch_vccnz .LBB106_4
; %bb.3:
	v_pk_mov_b32 v[2:3], s[12:13], s[12:13] op_sel:[0,1]
	flat_load_dwordx2 v[12:13], v[2:3] offset:8
.LBB106_4:
	s_waitcnt vmcnt(0) lgkmcnt(0)
	v_cmp_eq_f64_e32 vcc, 0, v[14:15]
	v_cmp_eq_f64_e64 s[6:7], 0, v[16:17]
	s_and_b64 s[12:13], vcc, s[6:7]
	s_mov_b64 s[6:7], -1
	s_and_saveexec_b64 s[10:11], s[12:13]
; %bb.5:
	v_cmp_neq_f64_e32 vcc, 1.0, v[10:11]
	v_cmp_neq_f64_e64 s[6:7], 0, v[12:13]
	s_or_b64 s[6:7], vcc, s[6:7]
	s_orn2_b64 s[6:7], s[6:7], exec
; %bb.6:
	s_or_b64 exec, exec, s[10:11]
	s_and_saveexec_b64 s[10:11], s[6:7]
	s_cbranch_execz .LBB106_121
; %bb.7:
	s_load_dwordx2 s[6:7], s[4:5], 0x10
	s_load_dwordx2 s[10:11], s[4:5], 0x20
	s_ashr_i32 s9, s8, 31
	s_lshl_b64 s[12:13], s[8:9], 3
	s_waitcnt lgkmcnt(0)
	s_add_u32 s6, s6, s12
	s_addc_u32 s7, s7, s13
	s_load_dwordx4 s[28:31], s[6:7], 0x0
	s_load_dwordx2 s[26:27], s[4:5], 0x68
	s_load_dwordx8 s[36:43], s[4:5], 0x38
	s_waitcnt lgkmcnt(0)
	s_sub_u32 s6, s30, s28
	s_subb_u32 s7, s31, s29
	s_add_u32 s10, s10, s12
	s_addc_u32 s11, s11, s13
	s_lshl_b64 s[12:13], s[28:29], 3
	s_add_u32 s46, s36, s12
	s_addc_u32 s47, s37, s13
	s_load_dwordx2 s[34:35], s[10:11], 0x0
	s_load_dwordx2 s[44:45], s[46:47], 0x0
	v_cmp_lt_i64_e64 s[12:13], s[6:7], 2
	s_mov_b64 s[10:11], -1
	s_and_b64 vcc, exec, s[12:13]
	s_cbranch_vccz .LBB106_77
; %bb.8:
	s_cmp_lg_u64 s[6:7], 1
	s_cselect_b64 s[6:7], -1, 0
	s_waitcnt lgkmcnt(0)
	s_cmp_lg_u64 s[34:35], 0
	s_cselect_b64 s[10:11], -1, 0
	s_or_b64 s[10:11], s[6:7], s[10:11]
	s_mov_b64 s[6:7], -1
	s_and_b64 vcc, exec, s[10:11]
	s_cbranch_vccnz .LBB106_37
; %bb.9:
	v_pk_mov_b32 v[2:3], s[28:29], s[28:29] op_sel:[0,1]
	v_cmp_le_i64_e32 vcc, s[30:31], v[2:3]
	s_cbranch_vccnz .LBB106_36
; %bb.10:
	v_subrev_co_u32_e32 v1, vcc, s48, v0
	v_subb_co_u32_e64 v24, s[6:7], 0, 0, vcc
	s_mov_b32 s6, 0
	v_cmp_neq_f64_e32 vcc, 0, v[10:11]
	v_cmp_neq_f64_e64 s[24:25], 0, v[12:13]
	s_brev_b32 s7, 1
	s_or_b64 s[50:51], vcc, s[24:25]
	s_mov_b32 s52, 0
	v_mul_f64 v[6:7], v[16:17], s[6:7]
	s_movk_i32 s6, 0x80
	s_add_u32 s33, s36, 8
	v_mul_f64 v[8:9], v[14:15], 0
	v_lshlrev_b32_e32 v25, 4, v0
	v_cmp_gt_u32_e64 s[6:7], s6, v0
	v_cmp_gt_u32_e64 s[10:11], 64, v0
	;; [unrolled: 1-line block ×7, first 2 shown]
	v_cmp_eq_u32_e64 s[22:23], 0, v0
	s_addc_u32 s49, s37, 0
	v_mov_b32_e32 v26, s52
	v_mov_b32_e32 v27, s43
	s_movk_i32 s62, 0x100
	v_mov_b32_e32 v28, 0
	s_mov_b64 s[54:55], s[44:45]
	s_mov_b64 s[52:53], s[28:29]
	s_branch .LBB106_13
.LBB106_11:                             ;   in Loop: Header=BB106_13 Depth=1
	s_or_b64 exec, exec, s[56:57]
	s_lshl_b64 s[56:57], s[52:53], 4
	s_add_u32 s56, s26, s56
	s_addc_u32 s57, s27, s57
	s_waitcnt lgkmcnt(0)
	global_store_dwordx4 v28, v[2:5], s[56:57]
.LBB106_12:                             ;   in Loop: Header=BB106_13 Depth=1
	s_or_b64 exec, exec, s[24:25]
	s_add_u32 s52, s52, 1
	s_addc_u32 s53, s53, 0
	v_pk_mov_b32 v[2:3], s[30:31], s[30:31] op_sel:[0,1]
	v_cmp_ge_i64_e32 vcc, s[52:53], v[2:3]
	s_cbranch_vccnz .LBB106_36
.LBB106_13:                             ; =>This Loop Header: Depth=1
                                        ;     Child Loop BB106_15 Depth 2
	s_mov_b64 s[24:25], s[54:55]
	s_lshl_b64 s[54:55], s[52:53], 3
	s_add_u32 s54, s33, s54
	s_addc_u32 s55, s49, s55
	s_load_dwordx2 s[54:55], s[54:55], 0x0
	v_mov_b32_e32 v2, s25
	v_add_co_u32_e32 v18, vcc, s24, v1
	v_addc_co_u32_e32 v19, vcc, v2, v24, vcc
	s_waitcnt lgkmcnt(0)
	s_sub_u32 s56, s54, s48
	s_subb_u32 s57, s55, 0
	v_pk_mov_b32 v[4:5], 0, 0
	v_cmp_gt_i64_e32 vcc, s[56:57], v[18:19]
	v_pk_mov_b32 v[2:3], v[4:5], v[4:5] op_sel:[0,1]
	s_and_saveexec_b64 s[58:59], vcc
	s_cbranch_execz .LBB106_17
; %bb.14:                               ;   in Loop: Header=BB106_13 Depth=1
	v_lshlrev_b64 v[2:3], 3, v[18:19]
	v_mov_b32_e32 v4, s41
	v_add_co_u32_e32 v20, vcc, s40, v2
	v_addc_co_u32_e32 v21, vcc, v4, v3, vcc
	v_mov_b32_e32 v4, s39
	v_add_co_u32_e32 v22, vcc, s38, v2
	v_addc_co_u32_e32 v23, vcc, v4, v3, vcc
	v_pk_mov_b32 v[4:5], 0, 0
	s_mov_b64 s[60:61], 0
	v_pk_mov_b32 v[2:3], v[4:5], v[4:5] op_sel:[0,1]
.LBB106_15:                             ;   Parent Loop BB106_13 Depth=1
                                        ; =>  This Inner Loop Header: Depth=2
	global_load_dwordx2 v[30:31], v[22:23], off
	global_load_dwordx2 v[34:35], v[20:21], off
	s_waitcnt vmcnt(1)
	v_subrev_co_u32_e32 v30, vcc, s48, v30
	v_subb_co_u32_e32 v31, vcc, v31, v26, vcc
	v_lshlrev_b64 v[30:31], 4, v[30:31]
	v_add_co_u32_e32 v30, vcc, s42, v30
	v_addc_co_u32_e32 v31, vcc, v27, v31, vcc
	global_load_dwordx4 v[30:33], v[30:31], off
	v_add_co_u32_e32 v18, vcc, s62, v18
	v_addc_co_u32_e32 v19, vcc, 0, v19, vcc
	v_add_co_u32_e32 v20, vcc, 0x800, v20
	v_addc_co_u32_e32 v21, vcc, 0, v21, vcc
	s_waitcnt vmcnt(1)
	v_fma_f64 v[36:37], v[14:15], v[34:35], v[6:7]
	v_fma_f64 v[34:35], v[16:17], v[34:35], v[8:9]
	v_add_co_u32_e32 v22, vcc, 0x800, v22
	v_cmp_le_i64_e64 s[24:25], s[56:57], v[18:19]
	v_addc_co_u32_e32 v23, vcc, 0, v23, vcc
	s_or_b64 s[60:61], s[24:25], s[60:61]
	s_waitcnt vmcnt(0)
	v_fmac_f64_e32 v[2:3], v[36:37], v[30:31]
	v_fmac_f64_e32 v[4:5], v[34:35], v[30:31]
	v_fma_f64 v[2:3], -v[34:35], v[32:33], v[2:3]
	v_fmac_f64_e32 v[4:5], v[36:37], v[32:33]
	s_andn2_b64 exec, exec, s[60:61]
	s_cbranch_execnz .LBB106_15
; %bb.16:                               ;   in Loop: Header=BB106_13 Depth=1
	s_or_b64 exec, exec, s[60:61]
.LBB106_17:                             ;   in Loop: Header=BB106_13 Depth=1
	s_or_b64 exec, exec, s[58:59]
	ds_write_b128 v25, v[2:5]
	s_waitcnt lgkmcnt(0)
	s_barrier
	s_and_saveexec_b64 s[24:25], s[6:7]
	s_cbranch_execz .LBB106_19
; %bb.18:                               ;   in Loop: Header=BB106_13 Depth=1
	ds_read_b128 v[2:5], v25 offset:2048
	ds_read_b128 v[18:21], v25
	s_waitcnt lgkmcnt(0)
	v_add_f64 v[2:3], v[2:3], v[18:19]
	v_add_f64 v[4:5], v[4:5], v[20:21]
	ds_write_b128 v25, v[2:5]
.LBB106_19:                             ;   in Loop: Header=BB106_13 Depth=1
	s_or_b64 exec, exec, s[24:25]
	s_waitcnt lgkmcnt(0)
	s_barrier
	s_and_saveexec_b64 s[24:25], s[10:11]
	s_cbranch_execz .LBB106_21
; %bb.20:                               ;   in Loop: Header=BB106_13 Depth=1
	ds_read_b128 v[2:5], v25 offset:1024
	ds_read_b128 v[18:21], v25
	s_waitcnt lgkmcnt(0)
	v_add_f64 v[2:3], v[2:3], v[18:19]
	v_add_f64 v[4:5], v[4:5], v[20:21]
	ds_write_b128 v25, v[2:5]
.LBB106_21:                             ;   in Loop: Header=BB106_13 Depth=1
	s_or_b64 exec, exec, s[24:25]
	;; [unrolled: 13-line block ×6, first 2 shown]
	s_waitcnt lgkmcnt(0)
	s_barrier
	s_and_saveexec_b64 s[24:25], s[20:21]
	s_cbranch_execz .LBB106_31
; %bb.30:                               ;   in Loop: Header=BB106_13 Depth=1
	ds_read_b128 v[2:5], v25
	ds_read_b128 v[18:21], v25 offset:32
	s_waitcnt lgkmcnt(0)
	v_add_f64 v[2:3], v[18:19], v[2:3]
	v_add_f64 v[4:5], v[20:21], v[4:5]
	ds_write_b128 v25, v[2:5]
.LBB106_31:                             ;   in Loop: Header=BB106_13 Depth=1
	s_or_b64 exec, exec, s[24:25]
	s_waitcnt lgkmcnt(0)
	s_barrier
	s_and_saveexec_b64 s[24:25], s[22:23]
	s_cbranch_execz .LBB106_33
; %bb.32:                               ;   in Loop: Header=BB106_13 Depth=1
	ds_read_b128 v[2:5], v28
	ds_read_b128 v[18:21], v28 offset:16
	s_waitcnt lgkmcnt(0)
	v_add_f64 v[2:3], v[18:19], v[2:3]
	v_add_f64 v[4:5], v[20:21], v[4:5]
	ds_write_b128 v28, v[2:5]
.LBB106_33:                             ;   in Loop: Header=BB106_13 Depth=1
	s_or_b64 exec, exec, s[24:25]
	s_waitcnt lgkmcnt(0)
	s_barrier
	s_and_saveexec_b64 s[24:25], s[22:23]
	s_cbranch_execz .LBB106_12
; %bb.34:                               ;   in Loop: Header=BB106_13 Depth=1
	ds_read_b128 v[2:5], v28
	s_and_saveexec_b64 s[56:57], s[50:51]
	s_cbranch_execz .LBB106_11
; %bb.35:                               ;   in Loop: Header=BB106_13 Depth=1
	s_lshl_b64 s[58:59], s[52:53], 4
	s_add_u32 s58, s26, s58
	s_addc_u32 s59, s27, s59
	global_load_dwordx4 v[18:21], v28, s[58:59]
	s_waitcnt vmcnt(0) lgkmcnt(0)
	v_fmac_f64_e32 v[2:3], v[10:11], v[18:19]
	v_fmac_f64_e32 v[4:5], v[12:13], v[18:19]
	v_fma_f64 v[2:3], -v[12:13], v[20:21], v[2:3]
	v_fmac_f64_e32 v[4:5], v[10:11], v[20:21]
	s_branch .LBB106_11
.LBB106_36:
	s_mov_b64 s[6:7], 0
.LBB106_37:
	s_andn2_b64 vcc, exec, s[6:7]
	s_cbranch_vccnz .LBB106_76
; %bb.38:
	s_load_dwordx2 s[12:13], s[4:5], 0x18
	s_sub_u32 s14, s8, s34
	s_subb_u32 s15, s9, s35
	s_lshl_b64 s[6:7], s[8:9], 2
	v_pk_mov_b32 v[2:3], 0, 0
	s_waitcnt lgkmcnt(0)
	s_add_u32 s10, s12, s6
	s_addc_u32 s11, s13, s7
	s_load_dword s24, s[10:11], 0x0
	s_cmp_eq_u64 s[34:35], 0
	s_cselect_b64 s[8:9], -1, 0
	s_cmp_lg_u64 s[34:35], 0
	v_cmp_eq_u32_e64 s[6:7], 0, v0
	s_cselect_b64 s[16:17], -1, 0
	s_mov_b32 s25, 0
	s_and_b64 s[18:19], s[6:7], s[8:9]
	v_pk_mov_b32 v[4:5], v[2:3], v[2:3] op_sel:[0,1]
	s_and_saveexec_b64 s[8:9], s[18:19]
	s_cbranch_execz .LBB106_42
; %bb.39:
	s_lshl_b64 s[20:21], s[28:29], 4
	s_add_u32 s20, s26, s20
	s_addc_u32 s21, s27, s21
	v_mov_b32_e32 v1, 0
	global_load_dwordx4 v[6:9], v1, s[20:21]
	s_mov_b64 s[18:19], exec
	v_mbcnt_lo_u32_b32 v2, s18, 0
	v_add_f64 v[18:19], v[10:11], -1.0
	v_mbcnt_hi_u32_b32 v20, s19, v2
	v_cmp_eq_u32_e32 vcc, 0, v20
	s_waitcnt vmcnt(0) expcnt(0) lgkmcnt(0)
	v_mul_f64 v[2:3], v[8:9], -v[12:13]
	v_mul_f64 v[4:5], v[18:19], v[8:9]
	s_and_saveexec_b64 s[20:21], vcc
	s_cbranch_execz .LBB106_41
; %bb.40:
	s_lshl_b64 s[22:23], s[14:15], 2
	s_add_u32 s22, s12, s22
	s_addc_u32 s23, s13, s23
	s_bcnt1_i32_b64 s18, s[18:19]
	s_and_b32 s18, s18, 1
	v_mov_b32_e32 v8, s18
	global_atomic_xor v1, v8, s[22:23]
.LBB106_41:
	s_or_b64 exec, exec, s[20:21]
	v_fmac_f64_e32 v[2:3], v[18:19], v[6:7]
	v_fmac_f64_e32 v[4:5], v[12:13], v[6:7]
.LBB106_42:
	s_or_b64 exec, exec, s[8:9]
	s_mul_i32 s8, s35, 0xc00
	s_mul_hi_u32 s9, s34, 0xc00
	s_add_i32 s18, s9, s8
	s_load_dwordx2 s[8:9], s[46:47], 0x8
	s_sub_u32 s20, s44, s48
	s_mul_i32 s19, s34, 0xc00
	s_subb_u32 s21, s45, 0
	s_add_u32 s20, s20, s19
	s_addc_u32 s21, s21, s18
	s_waitcnt lgkmcnt(0)
	s_sub_u32 s8, s8, s48
	v_mov_b32_e32 v1, s21
	v_add_co_u32_e32 v6, vcc, s20, v0
	s_subb_u32 s9, s9, 0
	v_addc_co_u32_e32 v7, vcc, 0, v1, vcc
	v_cmp_gt_i64_e32 vcc, s[8:9], v[6:7]
	s_and_saveexec_b64 s[18:19], vcc
	s_cbranch_execz .LBB106_46
; %bb.43:
	s_add_u32 s20, s20, 0xc00
	s_addc_u32 s21, s21, 0
	v_pk_mov_b32 v[8:9], s[8:9], s[8:9] op_sel:[0,1]
	v_cmp_lt_i64_e32 vcc, s[20:21], v[8:9]
	v_lshlrev_b64 v[22:23], 3, v[6:7]
	s_and_b64 s[22:23], vcc, exec
	v_mov_b32_e32 v1, s41
	v_add_co_u32_e32 v20, vcc, s40, v22
	s_cselect_b32 s21, s21, s9
	s_cselect_b32 s20, s20, s8
	s_mov_b32 s8, 0
	v_addc_co_u32_e32 v21, vcc, v1, v23, vcc
	s_brev_b32 s9, 1
	v_mov_b32_e32 v1, s39
	v_add_co_u32_e32 v22, vcc, s38, v22
	v_mul_f64 v[8:9], v[16:17], s[8:9]
	s_mov_b64 s[22:23], 0
	v_mul_f64 v[18:19], v[14:15], 0
	v_addc_co_u32_e32 v23, vcc, v1, v23, vcc
	v_mov_b32_e32 v1, s25
	v_mov_b32_e32 v24, s43
	s_movk_i32 s25, 0x100
.LBB106_44:                             ; =>This Inner Loop Header: Depth=1
	global_load_dwordx2 v[26:27], v[22:23], off
	global_load_dwordx2 v[30:31], v[20:21], off
	s_waitcnt vmcnt(1)
	v_subrev_co_u32_e32 v26, vcc, s48, v26
	v_subb_co_u32_e32 v27, vcc, v27, v1, vcc
	v_lshlrev_b64 v[26:27], 4, v[26:27]
	v_add_co_u32_e32 v26, vcc, s42, v26
	v_addc_co_u32_e32 v27, vcc, v24, v27, vcc
	global_load_dwordx4 v[26:29], v[26:27], off
	v_add_co_u32_e32 v6, vcc, s25, v6
	v_addc_co_u32_e32 v7, vcc, 0, v7, vcc
	v_add_co_u32_e32 v20, vcc, 0x800, v20
	v_addc_co_u32_e32 v21, vcc, 0, v21, vcc
	s_waitcnt vmcnt(1)
	v_fma_f64 v[32:33], v[14:15], v[30:31], v[8:9]
	v_fma_f64 v[30:31], v[16:17], v[30:31], v[18:19]
	v_add_co_u32_e32 v22, vcc, 0x800, v22
	v_cmp_le_i64_e64 s[8:9], s[20:21], v[6:7]
	v_addc_co_u32_e32 v23, vcc, 0, v23, vcc
	s_or_b64 s[22:23], s[8:9], s[22:23]
	s_waitcnt vmcnt(0)
	v_fmac_f64_e32 v[2:3], v[32:33], v[26:27]
	v_fmac_f64_e32 v[4:5], v[30:31], v[26:27]
	v_fma_f64 v[2:3], -v[30:31], v[28:29], v[2:3]
	v_fmac_f64_e32 v[4:5], v[32:33], v[28:29]
	s_andn2_b64 exec, exec, s[22:23]
	s_cbranch_execnz .LBB106_44
; %bb.45:
	s_or_b64 exec, exec, s[22:23]
.LBB106_46:
	s_or_b64 exec, exec, s[18:19]
	s_movk_i32 s8, 0x80
	v_lshlrev_b32_e32 v1, 4, v0
	v_cmp_gt_u32_e32 vcc, s8, v0
	ds_write_b128 v1, v[2:5]
	s_waitcnt lgkmcnt(0)
	s_barrier
	s_and_saveexec_b64 s[8:9], vcc
	s_cbranch_execz .LBB106_48
; %bb.47:
	ds_read_b128 v[2:5], v1 offset:2048
	ds_read_b128 v[6:9], v1
	s_waitcnt lgkmcnt(0)
	v_add_f64 v[2:3], v[2:3], v[6:7]
	v_add_f64 v[4:5], v[4:5], v[8:9]
	ds_write_b128 v1, v[2:5]
.LBB106_48:
	s_or_b64 exec, exec, s[8:9]
	v_cmp_gt_u32_e32 vcc, 64, v0
	s_waitcnt lgkmcnt(0)
	s_barrier
	s_and_saveexec_b64 s[8:9], vcc
	s_cbranch_execz .LBB106_50
; %bb.49:
	ds_read_b128 v[2:5], v1 offset:1024
	ds_read_b128 v[6:9], v1
	s_waitcnt lgkmcnt(0)
	v_add_f64 v[2:3], v[2:3], v[6:7]
	v_add_f64 v[4:5], v[4:5], v[8:9]
	ds_write_b128 v1, v[2:5]
.LBB106_50:
	s_or_b64 exec, exec, s[8:9]
	v_cmp_gt_u32_e32 vcc, 32, v0
	;; [unrolled: 14-line block ×6, first 2 shown]
	s_waitcnt lgkmcnt(0)
	s_barrier
	s_and_saveexec_b64 s[8:9], vcc
	s_cbranch_execz .LBB106_60
; %bb.59:
	ds_read_b128 v[2:5], v1
	ds_read_b128 v[6:9], v1 offset:32
	s_waitcnt lgkmcnt(0)
	v_add_f64 v[2:3], v[6:7], v[2:3]
	v_add_f64 v[4:5], v[8:9], v[4:5]
	ds_write_b128 v1, v[2:5]
.LBB106_60:
	s_or_b64 exec, exec, s[8:9]
	s_waitcnt lgkmcnt(0)
	s_barrier
	s_and_saveexec_b64 s[8:9], s[6:7]
	s_cbranch_execz .LBB106_62
; %bb.61:
	v_mov_b32_e32 v1, 0
	ds_read_b128 v[2:5], v1
	ds_read_b128 v[6:9], v1 offset:16
	s_waitcnt lgkmcnt(0)
	v_add_f64 v[2:3], v[6:7], v[2:3]
	v_add_f64 v[4:5], v[8:9], v[4:5]
	ds_write_b128 v1, v[2:5]
.LBB106_62:
	s_or_b64 exec, exec, s[8:9]
	s_waitcnt lgkmcnt(0)
	s_barrier
	s_and_saveexec_b64 s[8:9], s[6:7]
	s_cbranch_execz .LBB106_75
; %bb.63:
	s_andn2_b64 vcc, exec, s[16:17]
	s_cbranch_vccnz .LBB106_69
; %bb.64:
	s_lshl_b64 s[6:7], s[14:15], 2
	s_add_u32 s6, s12, s6
	s_addc_u32 s7, s13, s7
	v_mov_b32_e32 v1, 0
	s_branch .LBB106_66
.LBB106_65:                             ;   in Loop: Header=BB106_66 Depth=1
	s_or_b64 exec, exec, s[12:13]
	s_waitcnt vmcnt(0)
	v_readfirstlane_b32 s12, v2
	s_cmp_eq_u32 s12, s24
	s_cbranch_scc0 .LBB106_68
.LBB106_66:                             ; =>This Inner Loop Header: Depth=1
	v_mbcnt_lo_u32_b32 v2, exec_lo, 0
	v_mbcnt_hi_u32_b32 v2, exec_hi, v2
	v_cmp_eq_u32_e32 vcc, 0, v2
                                        ; implicit-def: $vgpr2
	s_and_saveexec_b64 s[12:13], vcc
	s_cbranch_execz .LBB106_65
; %bb.67:                               ;   in Loop: Header=BB106_66 Depth=1
	global_load_dword v2, v1, s[6:7] glc
	s_branch .LBB106_65
.LBB106_68:
	v_mov_b32_e32 v1, 0
	global_load_dword v2, v1, s[10:11]
	s_waitcnt vmcnt(0)
	v_xor_b32_e32 v2, 1, v2
	global_store_dword v1, v2, s[10:11]
.LBB106_69:
	v_mov_b32_e32 v1, 0
	ds_read_b128 v[2:5], v1
	s_mov_b64 s[12:13], exec
	s_lshl_b64 s[6:7], s[28:29], 4
	v_mbcnt_lo_u32_b32 v6, s12, 0
	s_add_u32 s6, s26, s6
	v_mbcnt_hi_u32_b32 v6, s13, v6
	s_addc_u32 s7, s27, s7
	v_cmp_eq_u32_e32 vcc, 0, v6
	s_and_saveexec_b64 s[10:11], vcc
	s_cbranch_execz .LBB106_72
; %bb.70:
	global_load_dwordx2 v[8:9], v1, s[6:7]
	s_bcnt1_i32_b64 s12, s[12:13]
	v_cvt_f64_u32_e32 v[6:7], s12
	s_waitcnt lgkmcnt(0)
	v_mul_f64 v[2:3], v[2:3], v[6:7]
	s_mov_b64 s[12:13], 0
.LBB106_71:                             ; =>This Inner Loop Header: Depth=1
	s_waitcnt vmcnt(0)
	v_add_f64 v[6:7], v[8:9], v[2:3]
	global_atomic_cmpswap_x2 v[6:7], v1, v[6:9], s[6:7] glc
	s_waitcnt vmcnt(0)
	v_cmp_eq_u64_e32 vcc, v[6:7], v[8:9]
	s_or_b64 s[12:13], vcc, s[12:13]
	v_pk_mov_b32 v[8:9], v[6:7], v[6:7] op_sel:[0,1]
	s_andn2_b64 exec, exec, s[12:13]
	s_cbranch_execnz .LBB106_71
.LBB106_72:
	s_or_b64 exec, exec, s[10:11]
	s_mov_b64 s[10:11], exec
	v_mbcnt_lo_u32_b32 v1, s10, 0
	v_mbcnt_hi_u32_b32 v1, s11, v1
	v_cmp_eq_u32_e32 vcc, 0, v1
	s_and_b64 s[12:13], exec, vcc
	s_mov_b64 exec, s[12:13]
	s_cbranch_execz .LBB106_75
; %bb.73:
	v_mov_b32_e32 v1, 0
	global_load_dwordx2 v[6:7], v1, s[6:7] offset:8
	s_bcnt1_i32_b64 s10, s[10:11]
	s_waitcnt lgkmcnt(0)
	v_cvt_f64_u32_e32 v[2:3], s10
	v_mul_f64 v[2:3], v[4:5], v[2:3]
	s_mov_b64 s[10:11], 0
.LBB106_74:                             ; =>This Inner Loop Header: Depth=1
	s_waitcnt vmcnt(0)
	v_add_f64 v[4:5], v[6:7], v[2:3]
	global_atomic_cmpswap_x2 v[4:5], v1, v[4:7], s[6:7] offset:8 glc
	s_waitcnt vmcnt(0)
	v_cmp_eq_u64_e32 vcc, v[4:5], v[6:7]
	s_or_b64 s[10:11], vcc, s[10:11]
	v_pk_mov_b32 v[6:7], v[4:5], v[4:5] op_sel:[0,1]
	s_andn2_b64 exec, exec, s[10:11]
	s_cbranch_execnz .LBB106_74
.LBB106_75:
	s_or_b64 exec, exec, s[8:9]
.LBB106_76:
	s_mov_b64 s[10:11], 0
.LBB106_77:
	s_andn2_b64 vcc, exec, s[10:11]
	s_cbranch_vccnz .LBB106_121
; %bb.78:
	s_load_dwordx2 s[4:5], s[4:5], 0x8
	v_subrev_co_u32_e32 v1, vcc, s48, v0
	s_waitcnt lgkmcnt(0)
	v_subb_co_u32_e64 v3, s[6:7], 0, 0, vcc
	v_mov_b32_e32 v4, s45
	v_add_co_u32_e32 v2, vcc, s44, v1
	v_addc_co_u32_e32 v3, vcc, v4, v3, vcc
	v_add_co_u32_e32 v4, vcc, 0x300, v2
	v_addc_co_u32_e32 v5, vcc, 0, v3, vcc
	s_mov_b32 s14, 0
	v_cmp_le_i64_e32 vcc, s[4:5], v[4:5]
	s_and_saveexec_b64 s[4:5], vcc
	s_xor_b64 s[6:7], exec, s[4:5]
	s_cbranch_execz .LBB106_83
; %bb.79:
	s_lshl_b64 s[4:5], s[30:31], 3
	s_add_u32 s4, s36, s4
	s_addc_u32 s5, s37, s5
	s_load_dwordx2 s[4:5], s[4:5], 0x0
	s_waitcnt lgkmcnt(0)
	s_sub_u32 s8, s4, s48
	s_subb_u32 s9, s5, 0
	v_cmp_gt_i64_e32 vcc, s[8:9], v[2:3]
	s_and_saveexec_b64 s[10:11], vcc
	s_cbranch_execz .LBB106_82
; %bb.80:
	v_lshlrev_b64 v[18:19], 3, v[2:3]
	v_mov_b32_e32 v9, s41
	v_add_co_u32_e32 v8, vcc, s40, v18
	s_mov_b32 s4, 0
	v_addc_co_u32_e32 v9, vcc, v9, v19, vcc
	s_brev_b32 s5, 1
	v_mov_b32_e32 v20, s39
	v_add_co_u32_e32 v18, vcc, s38, v18
	v_mul_f64 v[4:5], v[16:17], s[4:5]
	s_mov_b64 s[12:13], 0
	v_mul_f64 v[6:7], v[14:15], 0
	v_lshlrev_b32_e32 v1, 4, v0
	v_addc_co_u32_e32 v19, vcc, v20, v19, vcc
	v_mov_b32_e32 v20, s14
	v_mov_b32_e32 v21, s43
	s_movk_i32 s15, 0x100
.LBB106_81:                             ; =>This Inner Loop Header: Depth=1
	global_load_dwordx2 v[22:23], v[18:19], off
	global_load_dwordx2 v[26:27], v[8:9], off
	s_waitcnt vmcnt(1)
	v_subrev_co_u32_e32 v22, vcc, s48, v22
	v_subb_co_u32_e32 v23, vcc, v23, v20, vcc
	v_lshlrev_b64 v[22:23], 4, v[22:23]
	v_add_co_u32_e32 v22, vcc, s42, v22
	v_addc_co_u32_e32 v23, vcc, v21, v23, vcc
	global_load_dwordx4 v[22:25], v[22:23], off
	v_add_co_u32_e32 v2, vcc, s15, v2
	v_addc_co_u32_e32 v3, vcc, 0, v3, vcc
	v_add_co_u32_e32 v8, vcc, 0x800, v8
	s_waitcnt vmcnt(1)
	v_fma_f64 v[30:31], v[14:15], v[26:27], v[4:5]
	v_fma_f64 v[32:33], v[16:17], v[26:27], v[6:7]
	v_addc_co_u32_e32 v9, vcc, 0, v9, vcc
	v_add_co_u32_e32 v18, vcc, 0x800, v18
	v_cmp_le_i64_e64 s[4:5], s[8:9], v[2:3]
	v_addc_co_u32_e32 v19, vcc, 0, v19, vcc
	s_or_b64 s[12:13], s[4:5], s[12:13]
	s_waitcnt vmcnt(0)
	v_mul_f64 v[26:27], v[24:25], -v[32:33]
	v_mul_f64 v[28:29], v[30:31], v[24:25]
	v_fmac_f64_e32 v[26:27], v[30:31], v[22:23]
	v_fmac_f64_e32 v[28:29], v[32:33], v[22:23]
	ds_write_b128 v1, v[26:29]
	v_add_u32_e32 v1, 0x1000, v1
	s_andn2_b64 exec, exec, s[12:13]
	s_cbranch_execnz .LBB106_81
.LBB106_82:
	s_or_b64 exec, exec, s[10:11]
                                        ; implicit-def: $vgpr16_vgpr17
                                        ; implicit-def: $vgpr14_vgpr15
                                        ; implicit-def: $vgpr2_vgpr3
.LBB106_83:
	s_or_saveexec_b64 s[4:5], s[6:7]
	v_lshlrev_b32_e32 v18, 4, v0
	s_xor_b64 exec, exec, s[4:5]
	s_cbranch_execz .LBB106_85
; %bb.84:
	v_lshlrev_b64 v[2:3], 3, v[2:3]
	v_mov_b32_e32 v1, s39
	v_add_co_u32_e32 v4, vcc, s38, v2
	v_addc_co_u32_e32 v5, vcc, v1, v3, vcc
	global_load_dwordx2 v[6:7], v[4:5], off
	global_load_dwordx2 v[8:9], v[4:5], off offset:2048
	s_movk_i32 s6, 0x1000
	v_add_co_u32_e32 v4, vcc, s6, v4
	v_addc_co_u32_e32 v5, vcc, 0, v5, vcc
	global_load_dwordx2 v[20:21], v[4:5], off
	global_load_dwordx2 v[22:23], v[4:5], off offset:2048
	v_mov_b32_e32 v1, s41
	v_add_co_u32_e32 v2, vcc, s40, v2
	v_addc_co_u32_e32 v3, vcc, v1, v3, vcc
	global_load_dwordx2 v[28:29], v[2:3], off
	global_load_dwordx2 v[30:31], v[2:3], off offset:2048
	v_add_co_u32_e32 v2, vcc, s6, v2
	v_addc_co_u32_e32 v3, vcc, 0, v3, vcc
	v_mov_b32_e32 v19, s14
	global_load_dwordx2 v[32:33], v[2:3], off
	global_load_dwordx2 v[34:35], v[2:3], off offset:2048
	v_mov_b32_e32 v36, s43
	s_mov_b32 s6, 0
	s_brev_b32 s7, 1
	v_mul_f64 v[38:39], v[16:17], s[6:7]
	s_waitcnt vmcnt(7)
	v_subrev_co_u32_e32 v2, vcc, s48, v6
	v_subb_co_u32_e32 v3, vcc, v7, v19, vcc
	s_waitcnt vmcnt(6)
	v_subrev_co_u32_e32 v4, vcc, s48, v8
	v_subb_co_u32_e32 v5, vcc, v9, v19, vcc
	;; [unrolled: 3-line block ×3, first 2 shown]
	s_waitcnt vmcnt(4)
	v_subrev_co_u32_e32 v8, vcc, s48, v22
	v_lshlrev_b64 v[2:3], 4, v[2:3]
	v_subb_co_u32_e32 v9, vcc, v23, v19, vcc
	v_add_co_u32_e32 v20, vcc, s42, v2
	v_lshlrev_b64 v[4:5], 4, v[4:5]
	v_addc_co_u32_e32 v21, vcc, v36, v3, vcc
	v_add_co_u32_e32 v22, vcc, s42, v4
	v_addc_co_u32_e32 v23, vcc, v36, v5, vcc
	v_lshlrev_b64 v[24:25], 4, v[6:7]
	v_lshlrev_b64 v[26:27], 4, v[8:9]
	global_load_dwordx4 v[2:5], v[20:21], off
	global_load_dwordx4 v[6:9], v[22:23], off
	v_add_co_u32_e32 v20, vcc, s42, v24
	v_addc_co_u32_e32 v21, vcc, v36, v25, vcc
	v_add_co_u32_e32 v24, vcc, s42, v26
	global_load_dwordx4 v[20:23], v[20:21], off
	v_addc_co_u32_e32 v25, vcc, v36, v27, vcc
	global_load_dwordx4 v[24:27], v[24:25], off
	v_mul_f64 v[36:37], v[14:15], 0
	s_waitcnt vmcnt(7)
	v_fma_f64 v[40:41], v[14:15], v[28:29], v[38:39]
	v_fma_f64 v[42:43], v[16:17], v[28:29], v[36:37]
	s_waitcnt vmcnt(6)
	v_fma_f64 v[44:45], v[14:15], v[30:31], v[38:39]
	v_fma_f64 v[46:47], v[16:17], v[30:31], v[36:37]
	;; [unrolled: 3-line block ×3, first 2 shown]
	s_waitcnt vmcnt(4)
	v_fmac_f64_e32 v[38:39], v[14:15], v[34:35]
	v_fmac_f64_e32 v[36:37], v[16:17], v[34:35]
	s_waitcnt vmcnt(3)
	v_mul_f64 v[14:15], v[4:5], -v[42:43]
	v_mul_f64 v[16:17], v[40:41], v[4:5]
	s_waitcnt vmcnt(2)
	v_mul_f64 v[28:29], v[8:9], -v[46:47]
	v_mul_f64 v[30:31], v[44:45], v[8:9]
	v_fmac_f64_e32 v[14:15], v[40:41], v[2:3]
	v_fmac_f64_e32 v[16:17], v[42:43], v[2:3]
	;; [unrolled: 1-line block ×4, first 2 shown]
	s_waitcnt vmcnt(1)
	v_mul_f64 v[2:3], v[22:23], -v[32:33]
	v_mul_f64 v[4:5], v[48:49], v[22:23]
	v_fmac_f64_e32 v[2:3], v[48:49], v[20:21]
	s_waitcnt vmcnt(0)
	v_mul_f64 v[6:7], v[26:27], -v[36:37]
	v_mul_f64 v[8:9], v[38:39], v[26:27]
	v_fmac_f64_e32 v[4:5], v[32:33], v[20:21]
	ds_write_b128 v18, v[14:17]
	ds_write_b128 v18, v[28:31] offset:4096
	v_fmac_f64_e32 v[6:7], v[38:39], v[24:25]
	v_fmac_f64_e32 v[8:9], v[36:37], v[24:25]
	ds_write_b128 v18, v[2:5] offset:8192
	ds_write_b128 v18, v[6:9] offset:12288
.LBB106_85:
	s_or_b64 exec, exec, s[4:5]
	v_cmp_lt_i64_e64 s[6:7], s[34:35], 2
	s_mov_b64 s[4:5], -1
	s_and_b64 vcc, exec, s[6:7]
	s_waitcnt lgkmcnt(0)
	s_barrier
	s_cbranch_vccz .LBB106_96
; %bb.86:
	v_mov_b32_e32 v1, s29
	v_add_co_u32_e32 v14, vcc, s28, v0
	v_addc_co_u32_e32 v15, vcc, 0, v1, vcc
	v_cmp_gt_i64_e32 vcc, s[30:31], v[14:15]
	s_and_saveexec_b64 s[6:7], vcc
	s_cbranch_execz .LBB106_95
; %bb.87:
	v_cmp_neq_f64_e32 vcc, 0, v[10:11]
	v_cmp_neq_f64_e64 s[4:5], 0, v[12:13]
	s_lshl_b32 s10, s44, 4
	s_mov_b64 s[8:9], 0
	s_or_b64 s[4:5], vcc, s[4:5]
	s_sub_i32 s14, 0, s10
	v_mov_b32_e32 v1, s37
	v_mov_b32_e32 v19, s27
	s_branch .LBB106_89
.LBB106_88:                             ;   in Loop: Header=BB106_89 Depth=1
	s_or_b64 exec, exec, s[10:11]
	v_add_co_u32_e32 v6, vcc, s26, v6
	v_addc_co_u32_e32 v7, vcc, v19, v7, vcc
	v_add_co_u32_e32 v14, vcc, 0x100, v14
	v_addc_co_u32_e32 v15, vcc, 0, v15, vcc
	v_cmp_le_i64_e32 vcc, s[30:31], v[14:15]
	s_or_b64 s[8:9], vcc, s[8:9]
	global_store_dwordx4 v[6:7], v[2:5], off
	s_andn2_b64 exec, exec, s[8:9]
	s_cbranch_execz .LBB106_95
.LBB106_89:                             ; =>This Loop Header: Depth=1
                                        ;     Child Loop BB106_91 Depth 2
	v_lshlrev_b64 v[2:3], 3, v[14:15]
	v_add_co_u32_e32 v2, vcc, s36, v2
	v_addc_co_u32_e32 v3, vcc, v1, v3, vcc
	global_load_dwordx4 v[6:9], v[2:3], off
	v_pk_mov_b32 v[4:5], 0, 0
	v_pk_mov_b32 v[2:3], v[4:5], v[4:5] op_sel:[0,1]
	s_waitcnt vmcnt(0)
	v_cmp_lt_i64_e32 vcc, v[6:7], v[8:9]
	s_and_saveexec_b64 s[10:11], vcc
	s_cbranch_execz .LBB106_93
; %bb.90:                               ;   in Loop: Header=BB106_89 Depth=1
	v_mov_b32_e32 v2, s45
	v_subrev_co_u32_e32 v8, vcc, s44, v8
	v_subb_co_u32_e32 v9, vcc, v9, v2, vcc
	v_subrev_co_u32_e32 v16, vcc, s44, v6
	v_pk_mov_b32 v[4:5], 0, 0
	v_subb_co_u32_e32 v17, vcc, v7, v2, vcc
	v_lshl_add_u32 v6, v6, 4, s14
	s_mov_b64 s[12:13], 0
	v_pk_mov_b32 v[2:3], v[4:5], v[4:5] op_sel:[0,1]
.LBB106_91:                             ;   Parent Loop BB106_89 Depth=1
                                        ; =>  This Inner Loop Header: Depth=2
	ds_read_b128 v[20:23], v6
	v_add_co_u32_e32 v16, vcc, 1, v16
	v_addc_co_u32_e32 v17, vcc, 0, v17, vcc
	v_cmp_ge_i64_e32 vcc, v[16:17], v[8:9]
	v_add_u32_e32 v6, 16, v6
	s_or_b64 s[12:13], vcc, s[12:13]
	s_waitcnt lgkmcnt(0)
	v_add_f64 v[2:3], v[2:3], v[20:21]
	v_add_f64 v[4:5], v[4:5], v[22:23]
	s_andn2_b64 exec, exec, s[12:13]
	s_cbranch_execnz .LBB106_91
; %bb.92:                               ;   in Loop: Header=BB106_89 Depth=1
	s_or_b64 exec, exec, s[12:13]
.LBB106_93:                             ;   in Loop: Header=BB106_89 Depth=1
	s_or_b64 exec, exec, s[10:11]
	v_lshlrev_b64 v[6:7], 4, v[14:15]
	s_and_saveexec_b64 s[10:11], s[4:5]
	s_cbranch_execz .LBB106_88
; %bb.94:                               ;   in Loop: Header=BB106_89 Depth=1
	v_mov_b32_e32 v9, s27
	v_add_co_u32_e32 v8, vcc, s26, v6
	v_addc_co_u32_e32 v9, vcc, v9, v7, vcc
	global_load_dwordx4 v[20:23], v[8:9], off
	s_waitcnt vmcnt(0)
	v_fmac_f64_e32 v[2:3], v[10:11], v[20:21]
	v_fmac_f64_e32 v[4:5], v[12:13], v[20:21]
	v_fma_f64 v[2:3], -v[12:13], v[22:23], v[2:3]
	v_fmac_f64_e32 v[4:5], v[10:11], v[22:23]
	s_branch .LBB106_88
.LBB106_95:
	s_or_b64 exec, exec, s[6:7]
	s_mov_b64 s[4:5], 0
.LBB106_96:
	s_andn2_b64 vcc, exec, s[4:5]
	s_cbranch_vccnz .LBB106_121
; %bb.97:
	s_flbit_i32_b32 s4, s34
	s_min_u32 s4, s4, 32
	s_sub_i32 s4, 31, s4
	v_lshrrev_b32_e32 v8, s4, v0
	v_mov_b32_e32 v1, s29
	v_add_co_u32_e32 v4, vcc, s28, v8
	s_add_i32 s4, s34, -1
	v_addc_co_u32_e32 v5, vcc, 0, v1, vcc
	v_and_b32_e32 v6, s4, v0
	v_pk_mov_b32 v[0:1], 0, 0
	v_and_b32_e64 v7, s4, 0
	v_cmp_le_i64_e64 s[4:5], s[30:31], v[4:5]
	v_cmp_gt_i64_e32 vcc, s[30:31], v[4:5]
	v_pk_mov_b32 v[2:3], v[0:1], v[0:1] op_sel:[0,1]
	s_and_saveexec_b64 s[6:7], vcc
	s_cbranch_execz .LBB106_103
; %bb.98:
	v_lshlrev_b32_e32 v0, 3, v8
	global_load_dwordx4 v[14:17], v0, s[46:47]
	v_mov_b32_e32 v0, s45
	v_subrev_co_u32_e32 v1, vcc, s44, v6
	v_subb_co_u32_e32 v19, vcc, v7, v0, vcc
	v_pk_mov_b32 v[2:3], 0, 0
	s_waitcnt vmcnt(0)
	v_subrev_co_u32_e32 v8, vcc, s44, v16
	v_subb_co_u32_e32 v9, vcc, v17, v0, vcc
	v_add_co_u32_e32 v14, vcc, v14, v1
	v_addc_co_u32_e32 v15, vcc, v15, v19, vcc
	v_cmp_lt_i64_e32 vcc, v[14:15], v[8:9]
	v_pk_mov_b32 v[0:1], v[2:3], v[2:3] op_sel:[0,1]
	s_and_saveexec_b64 s[8:9], vcc
	s_cbranch_execz .LBB106_102
; %bb.99:
	v_pk_mov_b32 v[2:3], 0, 0
	v_lshlrev_b32_e32 v16, 4, v14
	s_lshl_b32 s12, s34, 4
	s_mov_b64 s[10:11], 0
	v_mov_b32_e32 v17, s35
	v_pk_mov_b32 v[0:1], v[2:3], v[2:3] op_sel:[0,1]
.LBB106_100:                            ; =>This Inner Loop Header: Depth=1
	ds_read_b128 v[20:23], v16
	v_add_co_u32_e32 v14, vcc, s34, v14
	v_addc_co_u32_e32 v15, vcc, v15, v17, vcc
	v_cmp_ge_i64_e32 vcc, v[14:15], v[8:9]
	v_add_u32_e32 v16, s12, v16
	s_or_b64 s[10:11], vcc, s[10:11]
	s_waitcnt lgkmcnt(0)
	v_add_f64 v[0:1], v[0:1], v[20:21]
	v_add_f64 v[2:3], v[2:3], v[22:23]
	s_andn2_b64 exec, exec, s[10:11]
	s_cbranch_execnz .LBB106_100
; %bb.101:
	s_or_b64 exec, exec, s[10:11]
.LBB106_102:
	s_or_b64 exec, exec, s[8:9]
.LBB106_103:
	s_or_b64 exec, exec, s[6:7]
	v_mov_b32_e32 v8, 0x81
	v_mov_b32_e32 v9, 0
	v_cmp_lt_i64_e32 vcc, s[34:35], v[8:9]
	s_and_b64 vcc, exec, vcc
	s_barrier
	ds_write_b128 v18, v[0:3]
	s_waitcnt lgkmcnt(0)
	s_barrier
	s_cbranch_vccnz .LBB106_105
; %bb.104:
	ds_read_b128 v[14:17], v18 offset:2048
	s_waitcnt lgkmcnt(0)
	s_barrier
	v_add_f64 v[0:1], v[0:1], v[14:15]
	v_add_f64 v[2:3], v[2:3], v[16:17]
	ds_write_b128 v18, v[0:3]
.LBB106_105:
	v_mov_b32_e32 v8, 0x41
	v_mov_b32_e32 v9, 0
	v_cmp_lt_i64_e32 vcc, s[34:35], v[8:9]
	s_waitcnt lgkmcnt(0)
	s_barrier
	s_cbranch_vccnz .LBB106_107
; %bb.106:
	ds_read_b128 v[14:17], v18 offset:1024
	s_waitcnt lgkmcnt(0)
	s_barrier
	v_add_f64 v[0:1], v[0:1], v[14:15]
	v_add_f64 v[2:3], v[2:3], v[16:17]
	ds_write_b128 v18, v[0:3]
.LBB106_107:
	v_cmp_lt_i64_e64 s[6:7], s[34:35], 33
	s_and_b64 vcc, exec, s[6:7]
	s_waitcnt lgkmcnt(0)
	s_barrier
	s_cbranch_vccnz .LBB106_109
; %bb.108:
	ds_read_b128 v[14:17], v18 offset:512
	s_waitcnt lgkmcnt(0)
	s_barrier
	v_add_f64 v[0:1], v[0:1], v[14:15]
	v_add_f64 v[2:3], v[2:3], v[16:17]
	ds_write_b128 v18, v[0:3]
.LBB106_109:
	v_cmp_lt_i64_e64 s[6:7], s[34:35], 17
	s_and_b64 vcc, exec, s[6:7]
	;; [unrolled: 13-line block ×4, first 2 shown]
	s_waitcnt lgkmcnt(0)
	s_barrier
	s_cbranch_vccnz .LBB106_115
; %bb.114:
	ds_read_b128 v[14:17], v18 offset:64
	s_waitcnt lgkmcnt(0)
	s_barrier
	v_add_f64 v[0:1], v[0:1], v[14:15]
	v_add_f64 v[2:3], v[2:3], v[16:17]
	ds_write_b128 v18, v[0:3]
.LBB106_115:
	s_cmp_eq_u64 s[34:35], 2
	s_waitcnt lgkmcnt(0)
	s_barrier
	s_cbranch_scc1 .LBB106_117
; %bb.116:
	ds_read_b128 v[14:17], v18 offset:32
	s_waitcnt lgkmcnt(0)
	s_barrier
	v_add_f64 v[0:1], v[0:1], v[14:15]
	v_add_f64 v[2:3], v[2:3], v[16:17]
	ds_write_b128 v18, v[0:3]
.LBB106_117:
	s_waitcnt lgkmcnt(0)
	s_barrier
	ds_read_b128 v[14:17], v18 offset:16
	v_cmp_eq_u64_e32 vcc, 0, v[6:7]
	s_xor_b64 s[4:5], s[4:5], -1
	s_and_b64 s[4:5], vcc, s[4:5]
	s_waitcnt lgkmcnt(0)
	v_add_f64 v[0:1], v[0:1], v[14:15]
	v_add_f64 v[2:3], v[2:3], v[16:17]
	s_barrier
	ds_write_b128 v18, v[0:3]
	s_and_b64 exec, exec, s[4:5]
	s_cbranch_execz .LBB106_121
; %bb.118:
	v_cmp_neq_f64_e32 vcc, 0, v[10:11]
	v_cmp_neq_f64_e64 s[4:5], 0, v[12:13]
	s_or_b64 s[6:7], vcc, s[4:5]
	v_lshlrev_b64 v[4:5], 4, v[4:5]
	s_and_saveexec_b64 s[4:5], s[6:7]
	s_cbranch_execz .LBB106_120
; %bb.119:
	v_mov_b32_e32 v7, s27
	v_add_co_u32_e32 v6, vcc, s26, v4
	v_addc_co_u32_e32 v7, vcc, v7, v5, vcc
	global_load_dwordx4 v[6:9], v[6:7], off
	s_waitcnt vmcnt(0)
	v_fmac_f64_e32 v[0:1], v[10:11], v[6:7]
	v_fmac_f64_e32 v[2:3], v[12:13], v[6:7]
	v_fma_f64 v[0:1], -v[12:13], v[8:9], v[0:1]
	v_fmac_f64_e32 v[2:3], v[10:11], v[8:9]
.LBB106_120:
	s_or_b64 exec, exec, s[4:5]
	v_mov_b32_e32 v6, s27
	v_add_co_u32_e32 v4, vcc, s26, v4
	v_addc_co_u32_e32 v5, vcc, v6, v5, vcc
	global_store_dwordx4 v[4:5], v[0:3], off
.LBB106_121:
	s_endpgm
	.section	.rodata,"a",@progbits
	.p2align	6, 0x0
	.amdhsa_kernel _ZN9rocsparseL22csrmvn_adaptive_kernelIlld21rocsparse_complex_numIdES2_S2_EEvbT_PKS3_PjPKT0_NS_24const_host_device_scalarIT4_EES5_S9_PKT1_PKT2_SC_PT3_21rocsparse_index_base_b
		.amdhsa_group_segment_fixed_size 16384
		.amdhsa_private_segment_fixed_size 24
		.amdhsa_kernarg_size 120
		.amdhsa_user_sgpr_count 8
		.amdhsa_user_sgpr_private_segment_buffer 1
		.amdhsa_user_sgpr_dispatch_ptr 0
		.amdhsa_user_sgpr_queue_ptr 0
		.amdhsa_user_sgpr_kernarg_segment_ptr 1
		.amdhsa_user_sgpr_dispatch_id 0
		.amdhsa_user_sgpr_flat_scratch_init 1
		.amdhsa_user_sgpr_kernarg_preload_length 0
		.amdhsa_user_sgpr_kernarg_preload_offset 0
		.amdhsa_user_sgpr_private_segment_size 0
		.amdhsa_uses_dynamic_stack 0
		.amdhsa_system_sgpr_private_segment_wavefront_offset 1
		.amdhsa_system_sgpr_workgroup_id_x 1
		.amdhsa_system_sgpr_workgroup_id_y 0
		.amdhsa_system_sgpr_workgroup_id_z 0
		.amdhsa_system_sgpr_workgroup_info 0
		.amdhsa_system_vgpr_workitem_id 0
		.amdhsa_next_free_vgpr 50
		.amdhsa_next_free_sgpr 63
		.amdhsa_accum_offset 52
		.amdhsa_reserve_vcc 1
		.amdhsa_reserve_flat_scratch 1
		.amdhsa_float_round_mode_32 0
		.amdhsa_float_round_mode_16_64 0
		.amdhsa_float_denorm_mode_32 3
		.amdhsa_float_denorm_mode_16_64 3
		.amdhsa_dx10_clamp 1
		.amdhsa_ieee_mode 1
		.amdhsa_fp16_overflow 0
		.amdhsa_tg_split 0
		.amdhsa_exception_fp_ieee_invalid_op 0
		.amdhsa_exception_fp_denorm_src 0
		.amdhsa_exception_fp_ieee_div_zero 0
		.amdhsa_exception_fp_ieee_overflow 0
		.amdhsa_exception_fp_ieee_underflow 0
		.amdhsa_exception_fp_ieee_inexact 0
		.amdhsa_exception_int_div_zero 0
	.end_amdhsa_kernel
	.section	.text._ZN9rocsparseL22csrmvn_adaptive_kernelIlld21rocsparse_complex_numIdES2_S2_EEvbT_PKS3_PjPKT0_NS_24const_host_device_scalarIT4_EES5_S9_PKT1_PKT2_SC_PT3_21rocsparse_index_base_b,"axG",@progbits,_ZN9rocsparseL22csrmvn_adaptive_kernelIlld21rocsparse_complex_numIdES2_S2_EEvbT_PKS3_PjPKT0_NS_24const_host_device_scalarIT4_EES5_S9_PKT1_PKT2_SC_PT3_21rocsparse_index_base_b,comdat
.Lfunc_end106:
	.size	_ZN9rocsparseL22csrmvn_adaptive_kernelIlld21rocsparse_complex_numIdES2_S2_EEvbT_PKS3_PjPKT0_NS_24const_host_device_scalarIT4_EES5_S9_PKT1_PKT2_SC_PT3_21rocsparse_index_base_b, .Lfunc_end106-_ZN9rocsparseL22csrmvn_adaptive_kernelIlld21rocsparse_complex_numIdES2_S2_EEvbT_PKS3_PjPKT0_NS_24const_host_device_scalarIT4_EES5_S9_PKT1_PKT2_SC_PT3_21rocsparse_index_base_b
                                        ; -- End function
	.section	.AMDGPU.csdata,"",@progbits
; Kernel info:
; codeLenInByte = 5304
; NumSgprs: 69
; NumVgprs: 50
; NumAgprs: 0
; TotalNumVgprs: 50
; ScratchSize: 24
; MemoryBound: 0
; FloatMode: 240
; IeeeMode: 1
; LDSByteSize: 16384 bytes/workgroup (compile time only)
; SGPRBlocks: 8
; VGPRBlocks: 6
; NumSGPRsForWavesPerEU: 69
; NumVGPRsForWavesPerEU: 50
; AccumOffset: 52
; Occupancy: 4
; WaveLimiterHint : 1
; COMPUTE_PGM_RSRC2:SCRATCH_EN: 1
; COMPUTE_PGM_RSRC2:USER_SGPR: 8
; COMPUTE_PGM_RSRC2:TRAP_HANDLER: 0
; COMPUTE_PGM_RSRC2:TGID_X_EN: 1
; COMPUTE_PGM_RSRC2:TGID_Y_EN: 0
; COMPUTE_PGM_RSRC2:TGID_Z_EN: 0
; COMPUTE_PGM_RSRC2:TIDIG_COMP_CNT: 0
; COMPUTE_PGM_RSRC3_GFX90A:ACCUM_OFFSET: 12
; COMPUTE_PGM_RSRC3_GFX90A:TG_SPLIT: 0
	.section	.text._ZN9rocsparseL27csrmvn_symm_adaptive_kernelIlld21rocsparse_complex_numIdES2_S2_EEvbT_S3_PKS3_NS_24const_host_device_scalarIT4_EES5_PKT0_PKT1_PKT2_S8_PT3_21rocsparse_index_base_b,"axG",@progbits,_ZN9rocsparseL27csrmvn_symm_adaptive_kernelIlld21rocsparse_complex_numIdES2_S2_EEvbT_S3_PKS3_NS_24const_host_device_scalarIT4_EES5_PKT0_PKT1_PKT2_S8_PT3_21rocsparse_index_base_b,comdat
	.globl	_ZN9rocsparseL27csrmvn_symm_adaptive_kernelIlld21rocsparse_complex_numIdES2_S2_EEvbT_S3_PKS3_NS_24const_host_device_scalarIT4_EES5_PKT0_PKT1_PKT2_S8_PT3_21rocsparse_index_base_b ; -- Begin function _ZN9rocsparseL27csrmvn_symm_adaptive_kernelIlld21rocsparse_complex_numIdES2_S2_EEvbT_S3_PKS3_NS_24const_host_device_scalarIT4_EES5_PKT0_PKT1_PKT2_S8_PT3_21rocsparse_index_base_b
	.p2align	8
	.type	_ZN9rocsparseL27csrmvn_symm_adaptive_kernelIlld21rocsparse_complex_numIdES2_S2_EEvbT_S3_PKS3_NS_24const_host_device_scalarIT4_EES5_PKT0_PKT1_PKT2_S8_PT3_21rocsparse_index_base_b,@function
_ZN9rocsparseL27csrmvn_symm_adaptive_kernelIlld21rocsparse_complex_numIdES2_S2_EEvbT_S3_PKS3_NS_24const_host_device_scalarIT4_EES5_PKT0_PKT1_PKT2_S8_PT3_21rocsparse_index_base_b: ; @_ZN9rocsparseL27csrmvn_symm_adaptive_kernelIlld21rocsparse_complex_numIdES2_S2_EEvbT_S3_PKS3_NS_24const_host_device_scalarIT4_EES5_PKT0_PKT1_PKT2_S8_PT3_21rocsparse_index_base_b
; %bb.0:
	s_add_u32 flat_scratch_lo, s6, s9
	s_addc_u32 flat_scratch_hi, s7, 0
	s_load_dwordx2 s[36:37], s[4:5], 0x68
	s_load_dwordx4 s[16:19], s[4:5], 0x20
	s_load_dwordx4 s[12:15], s[4:5], 0x50
	s_add_u32 s0, s0, s9
	s_addc_u32 s1, s1, 0
	s_waitcnt lgkmcnt(0)
	s_bitcmp1_b32 s37, 0
	v_mov_b32_e32 v1, 0
	v_mov_b32_e32 v3, s16
	s_cselect_b64 s[6:7], -1, 0
	v_cndmask_b32_e64 v2, v3, v1, s[6:7]
	v_mov_b32_e32 v1, s17
	s_mov_b64 s[10:11], src_private_base
	s_and_b64 vcc, s[6:7], exec
	buffer_store_dword v1, off, s[0:3], 0 offset:4
	buffer_store_dword v3, off, s[0:3], 0
	v_mov_b32_e32 v1, s13
	s_cselect_b32 s9, s11, s17
	buffer_store_dword v1, off, s[0:3], 0 offset:12
	v_mov_b32_e32 v1, s12
	buffer_store_dword v1, off, s[0:3], 0 offset:8
	v_mov_b32_e32 v3, s9
	flat_load_dwordx2 v[10:11], v[2:3]
	s_xor_b64 s[20:21], s[6:7], -1
	v_pk_mov_b32 v[12:13], s[18:19], s[18:19] op_sel:[0,1]
	s_cbranch_vccnz .LBB107_2
; %bb.1:
	v_pk_mov_b32 v[2:3], s[16:17], s[16:17] op_sel:[0,1]
	flat_load_dwordx2 v[12:13], v[2:3] offset:8
.LBB107_2:
	s_and_b64 s[16:17], s[6:7], exec
	s_cselect_b32 s9, s11, s13
	v_mov_b32_e32 v1, 8
	v_mov_b32_e32 v2, s12
	v_cndmask_b32_e64 v2, v2, v1, s[6:7]
	v_mov_b32_e32 v3, s9
	flat_load_dwordx2 v[2:3], v[2:3]
	s_andn2_b64 vcc, exec, s[20:21]
	v_pk_mov_b32 v[4:5], s[14:15], s[14:15] op_sel:[0,1]
	s_cbranch_vccnz .LBB107_4
; %bb.3:
	v_pk_mov_b32 v[4:5], s[12:13], s[12:13] op_sel:[0,1]
	flat_load_dwordx2 v[4:5], v[4:5] offset:8
.LBB107_4:
	s_waitcnt vmcnt(0) lgkmcnt(0)
	v_cmp_eq_f64_e32 vcc, 0, v[10:11]
	v_cmp_eq_f64_e64 s[6:7], 0, v[12:13]
	s_and_b64 s[12:13], vcc, s[6:7]
	s_mov_b64 s[6:7], -1
	s_and_saveexec_b64 s[10:11], s[12:13]
; %bb.5:
	v_cmp_neq_f64_e32 vcc, 1.0, v[2:3]
	v_cmp_neq_f64_e64 s[6:7], 0, v[4:5]
	s_or_b64 s[6:7], vcc, s[6:7]
	s_orn2_b64 s[6:7], s[6:7], exec
; %bb.6:
	s_or_b64 exec, exec, s[10:11]
	s_and_saveexec_b64 s[10:11], s[6:7]
	s_cbranch_execz .LBB107_196
; %bb.7:
	s_load_dwordx2 s[6:7], s[4:5], 0x18
	s_mov_b32 s33, 0
	s_ashr_i32 s9, s8, 31
	s_mov_b32 s12, s33
	s_mov_b32 s13, s33
	s_lshl_b64 s[8:9], s[8:9], 3
	s_mov_b32 s14, s33
	s_mov_b32 s15, s33
	v_pk_mov_b32 v[2:3], s[12:13], s[12:13] op_sel:[0,1]
	s_waitcnt lgkmcnt(0)
	s_add_u32 s6, s6, s8
	v_lshlrev_b32_e32 v28, 4, v0
	v_pk_mov_b32 v[4:5], s[14:15], s[14:15] op_sel:[0,1]
	s_addc_u32 s7, s7, s9
	ds_write_b128 v28, v[2:5]
	ds_write_b128 v28, v[2:5] offset:4096
	ds_write_b128 v28, v[2:5] offset:8192
	;; [unrolled: 1-line block ×3, first 2 shown]
	s_waitcnt lgkmcnt(0)
	s_barrier
	s_load_dwordx4 s[28:31], s[6:7], 0x0
	s_load_dwordx2 s[18:19], s[4:5], 0x60
	s_load_dwordx8 s[20:27], s[4:5], 0x30
	s_mov_b64 s[6:7], -1
	s_waitcnt lgkmcnt(0)
	s_sub_u32 s34, s30, s28
	s_subb_u32 s35, s31, s29
	v_cmp_gt_i64_e64 s[8:9], s[34:35], 2
	s_and_b64 vcc, exec, s[8:9]
	s_cbranch_vccnz .LBB107_53
; %bb.8:
	v_pk_mov_b32 v[2:3], s[28:29], s[28:29] op_sel:[0,1]
	v_cmp_gt_i64_e32 vcc, s[30:31], v[2:3]
	v_subrev_co_u32_e64 v1, s[6:7], s36, v0
	v_subb_co_u32_e64 v16, s[6:7], 0, 0, s[6:7]
	s_cbranch_vccnz .LBB107_10
; %bb.9:
	s_lshl_b64 s[6:7], s[28:29], 3
	s_add_u32 s6, s20, s6
	s_addc_u32 s7, s21, s7
	s_load_dwordx2 s[38:39], s[6:7], 0x0
	s_cbranch_execz .LBB107_11
	s_branch .LBB107_40
.LBB107_10:
                                        ; implicit-def: $sgpr38_sgpr39
.LBB107_11:
	s_lshl_b64 s[16:17], s[28:29], 3
	s_add_u32 s16, s20, s16
	s_addc_u32 s17, s21, s17
	s_waitcnt lgkmcnt(0)
	s_load_dwordx2 s[38:39], s[16:17], 0x0
	s_movk_i32 s37, 0x100
	s_add_u32 s50, s20, 8
	v_cmp_gt_u32_e64 s[6:7], s37, v0
	v_cmp_gt_u32_e64 s[8:9], 64, v0
	;; [unrolled: 1-line block ×4, first 2 shown]
	v_cmp_eq_u32_e64 s[14:15], 0, v0
	s_addc_u32 s51, s21, 0
	v_mov_b32_e32 v17, s33
	v_mov_b32_e32 v18, s27
	;; [unrolled: 1-line block ×3, first 2 shown]
	s_waitcnt lgkmcnt(0)
	s_mov_b64 s[42:43], s[38:39]
	s_mov_b64 s[40:41], s[28:29]
	s_branch .LBB107_13
.LBB107_12:                             ;   in Loop: Header=BB107_13 Depth=1
	s_or_b64 exec, exec, s[16:17]
	s_add_u32 s40, s40, 1
	s_addc_u32 s41, s41, 0
	v_pk_mov_b32 v[2:3], s[30:31], s[30:31] op_sel:[0,1]
	v_cmp_ge_i64_e32 vcc, s[40:41], v[2:3]
	s_cbranch_vccnz .LBB107_40
.LBB107_13:                             ; =>This Loop Header: Depth=1
                                        ;     Child Loop BB107_15 Depth 2
                                        ;     Child Loop BB107_29 Depth 2
	;; [unrolled: 1-line block ×5, first 2 shown]
	s_mov_b64 s[16:17], s[42:43]
	s_lshl_b64 s[42:43], s[40:41], 3
	s_add_u32 s42, s50, s42
	s_addc_u32 s43, s51, s43
	s_load_dwordx2 s[42:43], s[42:43], 0x0
	v_mov_b32_e32 v2, s17
	v_add_co_u32_e32 v6, vcc, s16, v1
	v_addc_co_u32_e32 v7, vcc, v2, v16, vcc
	s_waitcnt lgkmcnt(0)
	s_sub_u32 s44, s42, s36
	s_subb_u32 s45, s43, 0
	v_pk_mov_b32 v[4:5], 0, 0
	v_cmp_gt_i64_e32 vcc, s[44:45], v[6:7]
	v_pk_mov_b32 v[2:3], v[4:5], v[4:5] op_sel:[0,1]
	s_and_saveexec_b64 s[46:47], vcc
	s_cbranch_execz .LBB107_17
; %bb.14:                               ;   in Loop: Header=BB107_13 Depth=1
	v_lshlrev_b64 v[2:3], 3, v[6:7]
	v_mov_b32_e32 v4, s23
	v_add_co_u32_e32 v8, vcc, s22, v2
	v_addc_co_u32_e32 v9, vcc, v4, v3, vcc
	v_mov_b32_e32 v4, s25
	v_add_co_u32_e32 v14, vcc, s24, v2
	v_addc_co_u32_e32 v15, vcc, v4, v3, vcc
	v_pk_mov_b32 v[4:5], 0, 0
	s_mov_b64 s[48:49], 0
	v_pk_mov_b32 v[2:3], v[4:5], v[4:5] op_sel:[0,1]
.LBB107_15:                             ;   Parent Loop BB107_13 Depth=1
                                        ; =>  This Inner Loop Header: Depth=2
	global_load_dwordx2 v[20:21], v[8:9], off
	global_load_dwordx2 v[24:25], v[14:15], off
	s_waitcnt vmcnt(1)
	v_subrev_co_u32_e32 v20, vcc, s36, v20
	v_subb_co_u32_e32 v21, vcc, v21, v17, vcc
	v_lshlrev_b64 v[20:21], 4, v[20:21]
	v_add_co_u32_e32 v20, vcc, s26, v20
	v_addc_co_u32_e32 v21, vcc, v18, v21, vcc
	global_load_dwordx4 v[20:23], v[20:21], off
	v_add_co_u32_e32 v6, vcc, s37, v6
	v_addc_co_u32_e32 v7, vcc, 0, v7, vcc
	v_add_co_u32_e32 v8, vcc, 0x800, v8
	v_addc_co_u32_e32 v9, vcc, 0, v9, vcc
	v_add_co_u32_e32 v14, vcc, 0x800, v14
	v_cmp_le_i64_e64 s[16:17], s[44:45], v[6:7]
	v_addc_co_u32_e32 v15, vcc, 0, v15, vcc
	s_or_b64 s[48:49], s[16:17], s[48:49]
	s_waitcnt vmcnt(0)
	v_fmac_f64_e32 v[2:3], v[24:25], v[20:21]
	v_fmac_f64_e32 v[4:5], 0, v[20:21]
	;; [unrolled: 1-line block ×4, first 2 shown]
	s_andn2_b64 exec, exec, s[48:49]
	s_cbranch_execnz .LBB107_15
; %bb.16:                               ;   in Loop: Header=BB107_13 Depth=1
	s_or_b64 exec, exec, s[48:49]
.LBB107_17:                             ;   in Loop: Header=BB107_13 Depth=1
	s_or_b64 exec, exec, s[46:47]
	ds_write_b128 v28, v[2:5]
	s_waitcnt lgkmcnt(0)
	s_barrier
	s_and_saveexec_b64 s[16:17], s[6:7]
	s_cbranch_execz .LBB107_19
; %bb.18:                               ;   in Loop: Header=BB107_13 Depth=1
	ds_read_b128 v[2:5], v28 offset:4096
	ds_read_b128 v[6:9], v28 offset:8192
	ds_read_b128 v[20:23], v28 offset:12288
	ds_read_b128 v[24:27], v28
	s_waitcnt lgkmcnt(2)
	v_add_f64 v[2:3], v[6:7], v[2:3]
	v_add_f64 v[4:5], v[8:9], v[4:5]
	s_waitcnt lgkmcnt(1)
	v_add_f64 v[2:3], v[2:3], v[20:21]
	v_add_f64 v[4:5], v[4:5], v[22:23]
	s_waitcnt lgkmcnt(0)
	v_add_f64 v[2:3], v[2:3], v[24:25]
	v_add_f64 v[4:5], v[4:5], v[26:27]
	ds_write_b128 v28, v[2:5]
.LBB107_19:                             ;   in Loop: Header=BB107_13 Depth=1
	s_or_b64 exec, exec, s[16:17]
	s_waitcnt lgkmcnt(0)
	s_barrier
	s_and_saveexec_b64 s[16:17], s[8:9]
	s_cbranch_execz .LBB107_21
; %bb.20:                               ;   in Loop: Header=BB107_13 Depth=1
	ds_read_b128 v[2:5], v28 offset:1024
	ds_read_b128 v[6:9], v28 offset:2048
	ds_read_b128 v[20:23], v28 offset:3072
	ds_read_b128 v[24:27], v28
	s_waitcnt lgkmcnt(2)
	v_add_f64 v[2:3], v[6:7], v[2:3]
	v_add_f64 v[4:5], v[8:9], v[4:5]
	s_waitcnt lgkmcnt(1)
	v_add_f64 v[2:3], v[2:3], v[20:21]
	v_add_f64 v[4:5], v[4:5], v[22:23]
	s_waitcnt lgkmcnt(0)
	v_add_f64 v[2:3], v[2:3], v[24:25]
	v_add_f64 v[4:5], v[4:5], v[26:27]
	ds_write_b128 v28, v[2:5]
.LBB107_21:                             ;   in Loop: Header=BB107_13 Depth=1
	s_or_b64 exec, exec, s[16:17]
	;; [unrolled: 21-line block ×5, first 2 shown]
	s_waitcnt lgkmcnt(0)
	s_barrier
	s_and_saveexec_b64 s[16:17], s[14:15]
	s_cbranch_execz .LBB107_12
; %bb.28:                               ;   in Loop: Header=BB107_13 Depth=1
	ds_read_b128 v[2:5], v19
	v_mov_b32_e32 v14, 0
	s_mov_b64 s[44:45], exec
	v_bfrev_b32_e32 v15, 1
	s_waitcnt lgkmcnt(0)
	v_mul_f64 v[6:7], v[4:5], -v[12:13]
	v_fmac_f64_e32 v[6:7], v[10:11], v[2:3]
.LBB107_29:                             ;   Parent Loop BB107_13 Depth=1
                                        ; =>  This Inner Loop Header: Depth=2
	s_ff1_i32_b64 s48, s[44:45]
	v_readlane_b32 s47, v7, s48
	v_readlane_b32 s46, v6, s48
	s_lshl_b64 s[48:49], 1, s48
	s_andn2_b64 s[44:45], s[44:45], s[48:49]
	s_cmp_lg_u64 s[44:45], 0
	v_add_f64 v[14:15], v[14:15], s[46:47]
	s_cbranch_scc1 .LBB107_29
; %bb.30:                               ;   in Loop: Header=BB107_13 Depth=1
	s_lshl_b64 s[44:45], s[40:41], 4
	v_mbcnt_lo_u32_b32 v6, exec_lo, 0
	s_add_u32 s44, s18, s44
	v_mbcnt_hi_u32_b32 v6, exec_hi, v6
	s_addc_u32 s45, s19, s45
	v_cmp_eq_u32_e32 vcc, 0, v6
	s_and_saveexec_b64 s[46:47], vcc
	s_xor_b64 s[46:47], exec, s[46:47]
	s_cbranch_execz .LBB107_34
; %bb.31:                               ;   in Loop: Header=BB107_13 Depth=1
	global_load_dwordx2 v[8:9], v19, s[44:45]
	s_mov_b64 s[48:49], 0
.LBB107_32:                             ;   Parent Loop BB107_13 Depth=1
                                        ; =>  This Inner Loop Header: Depth=2
	s_waitcnt vmcnt(0)
	v_add_f64 v[6:7], v[8:9], v[14:15]
	global_atomic_cmpswap_x2 v[6:7], v19, v[6:9], s[44:45] glc
	s_waitcnt vmcnt(0)
	v_cmp_eq_u64_e32 vcc, v[6:7], v[8:9]
	s_or_b64 s[48:49], vcc, s[48:49]
	v_pk_mov_b32 v[8:9], v[6:7], v[6:7] op_sel:[0,1]
	s_andn2_b64 exec, exec, s[48:49]
	s_cbranch_execnz .LBB107_32
; %bb.33:                               ;   in Loop: Header=BB107_13 Depth=1
	s_or_b64 exec, exec, s[48:49]
.LBB107_34:                             ;   in Loop: Header=BB107_13 Depth=1
	s_or_b64 exec, exec, s[46:47]
	v_mul_f64 v[4:5], v[10:11], v[4:5]
	v_mov_b32_e32 v6, 0
	s_mov_b64 s[46:47], exec
	v_fmac_f64_e32 v[4:5], v[12:13], v[2:3]
	v_bfrev_b32_e32 v7, 1
.LBB107_35:                             ;   Parent Loop BB107_13 Depth=1
                                        ; =>  This Inner Loop Header: Depth=2
	s_ff1_i32_b64 s52, s[46:47]
	v_readlane_b32 s49, v5, s52
	v_readlane_b32 s48, v4, s52
	s_lshl_b64 s[52:53], 1, s52
	s_andn2_b64 s[46:47], s[46:47], s[52:53]
	s_cmp_lg_u64 s[46:47], 0
	v_add_f64 v[6:7], v[6:7], s[48:49]
	s_cbranch_scc1 .LBB107_35
; %bb.36:                               ;   in Loop: Header=BB107_13 Depth=1
	v_mbcnt_lo_u32_b32 v2, exec_lo, 0
	v_mbcnt_hi_u32_b32 v2, exec_hi, v2
	v_cmp_eq_u32_e32 vcc, 0, v2
	s_and_saveexec_b64 s[46:47], vcc
	s_xor_b64 s[46:47], exec, s[46:47]
	s_cbranch_execz .LBB107_12
; %bb.37:                               ;   in Loop: Header=BB107_13 Depth=1
	global_load_dwordx2 v[4:5], v19, s[44:45] offset:8
	s_mov_b64 s[46:47], 0
.LBB107_38:                             ;   Parent Loop BB107_13 Depth=1
                                        ; =>  This Inner Loop Header: Depth=2
	s_waitcnt vmcnt(0)
	v_add_f64 v[2:3], v[4:5], v[6:7]
	global_atomic_cmpswap_x2 v[2:3], v19, v[2:5], s[44:45] offset:8 glc
	s_waitcnt vmcnt(0)
	v_cmp_eq_u64_e32 vcc, v[2:3], v[4:5]
	s_or_b64 s[46:47], vcc, s[46:47]
	v_pk_mov_b32 v[4:5], v[2:3], v[2:3] op_sel:[0,1]
	s_andn2_b64 exec, exec, s[46:47]
	s_cbranch_execnz .LBB107_38
; %bb.39:                               ;   in Loop: Header=BB107_13 Depth=1
	s_or_b64 exec, exec, s[46:47]
	s_branch .LBB107_12
.LBB107_40:
	s_lshl_b64 s[6:7], s[30:31], 3
	s_add_u32 s6, s20, s6
	s_addc_u32 s7, s21, s7
	s_load_dwordx2 s[6:7], s[6:7], 0x0
	s_waitcnt lgkmcnt(0)
	v_mov_b32_e32 v2, s39
	v_add_co_u32_e32 v14, vcc, s38, v1
	v_addc_co_u32_e32 v15, vcc, v2, v16, vcc
	s_sub_u32 s10, s6, s36
	s_subb_u32 s11, s7, 0
	v_cmp_gt_i64_e32 vcc, s[10:11], v[14:15]
	s_and_saveexec_b64 s[12:13], vcc
	s_cbranch_execz .LBB107_52
; %bb.41:
	s_add_u32 s14, s30, -1
	s_addc_u32 s15, s31, -1
	s_add_u32 s6, s30, -2
	s_addc_u32 s7, s31, -1
	v_pk_mov_b32 v[2:3], s[28:29], s[28:29] op_sel:[0,1]
	s_cmp_lg_u64 s[6:7], s[28:29]
	v_cmp_gt_i64_e32 vcc, s[14:15], v[2:3]
	s_cselect_b64 s[6:7], -1, 0
	s_mov_b32 s8, 0
	s_and_b64 s[6:7], vcc, s[6:7]
	s_brev_b32 s9, 1
	v_cndmask_b32_e64 v1, 0, 1, s[6:7]
	v_mul_f64 v[16:17], v[12:13], s[8:9]
	s_mov_b64 s[16:17], 0
	v_mul_f64 v[18:19], v[10:11], 0
	v_cmp_ne_u32_e64 s[6:7], 1, v1
	v_mov_b32_e32 v1, s21
	v_mov_b32_e32 v29, s33
	;; [unrolled: 1-line block ×3, first 2 shown]
	s_branch .LBB107_43
.LBB107_42:                             ;   in Loop: Header=BB107_43 Depth=1
	s_or_b64 exec, exec, s[8:9]
	v_add_co_u32_e32 v14, vcc, 0x100, v14
	v_addc_co_u32_e32 v15, vcc, 0, v15, vcc
	v_cmp_le_i64_e32 vcc, s[10:11], v[14:15]
	s_or_b64 s[16:17], vcc, s[16:17]
	s_andn2_b64 exec, exec, s[16:17]
	s_cbranch_execz .LBB107_52
.LBB107_43:                             ; =>This Loop Header: Depth=1
                                        ;     Child Loop BB107_45 Depth 2
                                        ;     Child Loop BB107_49 Depth 2
	;; [unrolled: 1-line block ×3, first 2 shown]
	s_and_b64 vcc, exec, s[6:7]
	v_pk_mov_b32 v[2:3], s[28:29], s[28:29] op_sel:[0,1]
	v_pk_mov_b32 v[4:5], s[14:15], s[14:15] op_sel:[0,1]
	s_cbranch_vccnz .LBB107_47
; %bb.44:                               ;   in Loop: Header=BB107_43 Depth=1
	s_mov_b64 s[38:39], 0
	v_pk_mov_b32 v[2:3], s[28:29], s[28:29] op_sel:[0,1]
	v_pk_mov_b32 v[4:5], s[14:15], s[14:15] op_sel:[0,1]
.LBB107_45:                             ;   Parent Loop BB107_43 Depth=1
                                        ; =>  This Inner Loop Header: Depth=2
	v_add_co_u32_e32 v6, vcc, v4, v2
	v_addc_co_u32_e32 v7, vcc, v5, v3, vcc
	v_lshrrev_b32_e32 v8, 31, v7
	v_add_co_u32_e32 v6, vcc, v6, v8
	v_addc_co_u32_e32 v7, vcc, 0, v7, vcc
	v_ashrrev_i64 v[6:7], 1, v[6:7]
	v_lshlrev_b64 v[8:9], 3, v[6:7]
	v_mov_b32_e32 v20, s21
	v_add_co_u32_e32 v8, vcc, s20, v8
	v_addc_co_u32_e32 v9, vcc, v20, v9, vcc
	global_load_dwordx2 v[8:9], v[8:9], off
	v_mov_b32_e32 v20, s33
	s_waitcnt vmcnt(0)
	v_subrev_co_u32_e32 v8, vcc, s36, v8
	v_subb_co_u32_e32 v9, vcc, v9, v20, vcc
	v_cmp_gt_i64_e32 vcc, v[8:9], v[14:15]
	v_cndmask_b32_e32 v4, v4, v6, vcc
	v_cndmask_b32_e32 v5, v5, v7, vcc
	;; [unrolled: 1-line block ×3, first 2 shown]
	v_add_co_u32_e64 v6, s[8:9], -1, v4
	v_cndmask_b32_e32 v3, v7, v3, vcc
	v_addc_co_u32_e64 v7, s[8:9], -1, v5, s[8:9]
	v_cmp_ge_i64_e32 vcc, v[2:3], v[4:5]
	v_cmp_eq_u64_e64 s[8:9], v[2:3], v[6:7]
	s_or_b64 s[8:9], vcc, s[8:9]
	s_and_b64 s[8:9], exec, s[8:9]
	s_or_b64 s[38:39], s[8:9], s[38:39]
	s_andn2_b64 exec, exec, s[38:39]
	s_cbranch_execnz .LBB107_45
; %bb.46:                               ;   in Loop: Header=BB107_43 Depth=1
	s_or_b64 exec, exec, s[38:39]
.LBB107_47:                             ;   in Loop: Header=BB107_43 Depth=1
	v_lshlrev_b64 v[6:7], 3, v[4:5]
	v_add_co_u32_e32 v6, vcc, s20, v6
	v_addc_co_u32_e32 v7, vcc, v1, v7, vcc
	global_load_dwordx2 v[8:9], v[6:7], off
	v_lshlrev_b64 v[6:7], 3, v[14:15]
	v_add_co_u32_e32 v20, vcc, s22, v6
	v_addc_co_u32_e32 v21, vcc, v30, v7, vcc
	global_load_dwordx2 v[20:21], v[20:21], off
	s_waitcnt vmcnt(1)
	v_subrev_co_u32_e32 v8, vcc, s36, v8
	v_subb_co_u32_e32 v9, vcc, v9, v29, vcc
	v_cmp_gt_i64_e32 vcc, v[8:9], v[14:15]
	v_cndmask_b32_e32 v3, v5, v3, vcc
	v_cndmask_b32_e32 v2, v4, v2, vcc
	s_waitcnt vmcnt(0)
	v_subrev_co_u32_e32 v4, vcc, s36, v20
	v_subb_co_u32_e32 v5, vcc, v21, v29, vcc
	v_cmp_ne_u64_e32 vcc, v[4:5], v[2:3]
	s_and_saveexec_b64 s[8:9], vcc
	s_cbranch_execz .LBB107_42
; %bb.48:                               ;   in Loop: Header=BB107_43 Depth=1
	v_lshlrev_b64 v[8:9], 4, v[4:5]
	v_mov_b32_e32 v5, s25
	v_add_co_u32_e32 v4, vcc, s24, v6
	v_addc_co_u32_e32 v5, vcc, v5, v7, vcc
	v_lshlrev_b64 v[2:3], 4, v[2:3]
	global_load_dwordx2 v[6:7], v[4:5], off
	v_mov_b32_e32 v4, s27
	v_add_co_u32_e32 v2, vcc, s26, v2
	v_addc_co_u32_e32 v3, vcc, v4, v3, vcc
	v_mov_b32_e32 v21, s19
	global_load_dwordx4 v[2:5], v[2:3], off
	v_add_co_u32_e32 v20, vcc, s18, v8
	v_addc_co_u32_e32 v21, vcc, v21, v9, vcc
	global_load_dwordx2 v[8:9], v[20:21], off
	s_mov_b64 s[38:39], 0
	s_waitcnt vmcnt(2)
	v_fma_f64 v[24:25], v[12:13], v[6:7], v[18:19]
	v_fma_f64 v[22:23], v[10:11], v[6:7], v[16:17]
	s_waitcnt vmcnt(1)
	v_mul_f64 v[26:27], v[4:5], -v[24:25]
	v_fmac_f64_e32 v[26:27], v[22:23], v[2:3]
.LBB107_49:                             ;   Parent Loop BB107_43 Depth=1
                                        ; =>  This Inner Loop Header: Depth=2
	s_waitcnt vmcnt(0)
	v_add_f64 v[6:7], v[8:9], v[26:27]
	global_atomic_cmpswap_x2 v[6:7], v[20:21], v[6:9], off glc
	s_waitcnt vmcnt(0)
	v_cmp_eq_u64_e32 vcc, v[6:7], v[8:9]
	s_or_b64 s[38:39], vcc, s[38:39]
	v_pk_mov_b32 v[8:9], v[6:7], v[6:7] op_sel:[0,1]
	s_andn2_b64 exec, exec, s[38:39]
	s_cbranch_execnz .LBB107_49
; %bb.50:                               ;   in Loop: Header=BB107_43 Depth=1
	s_or_b64 exec, exec, s[38:39]
	global_load_dwordx2 v[6:7], v[20:21], off offset:8
	v_mul_f64 v[8:9], v[22:23], v[4:5]
	v_fmac_f64_e32 v[8:9], v[24:25], v[2:3]
	s_mov_b64 s[38:39], 0
.LBB107_51:                             ;   Parent Loop BB107_43 Depth=1
                                        ; =>  This Inner Loop Header: Depth=2
	s_waitcnt vmcnt(0)
	v_add_f64 v[4:5], v[6:7], v[8:9]
	global_atomic_cmpswap_x2 v[2:3], v[20:21], v[4:7], off offset:8 glc
	s_waitcnt vmcnt(0)
	v_cmp_eq_u64_e32 vcc, v[2:3], v[6:7]
	s_or_b64 s[38:39], vcc, s[38:39]
	v_pk_mov_b32 v[6:7], v[2:3], v[2:3] op_sel:[0,1]
	s_andn2_b64 exec, exec, s[38:39]
	s_cbranch_execnz .LBB107_51
	s_branch .LBB107_42
.LBB107_52:
	s_or_b64 exec, exec, s[12:13]
	s_mov_b64 s[6:7], 0
.LBB107_53:
	s_and_b64 vcc, exec, s[6:7]
	s_cbranch_vccz .LBB107_196
; %bb.54:
	s_load_dword s6, s[4:5], 0x7c
	s_mov_b32 s33, 0
	v_pk_mov_b32 v[2:3], s[34:35], s[34:35] op_sel:[0,1]
	s_mov_b32 s17, s33
	s_mov_b64 s[38:39], 0
	s_waitcnt lgkmcnt(0)
	s_and_b32 s16, s6, 0xffff
	v_cmp_lt_u64_e32 vcc, s[16:17], v[2:3]
	s_cbranch_vccnz .LBB107_56
; %bb.55:
	v_cvt_f32_u32_e32 v1, s34
	s_sub_i32 s6, 0, s34
	v_rcp_iflag_f32_e32 v1, v1
	v_mul_f32_e32 v1, 0x4f7ffffe, v1
	v_cvt_u32_f32_e32 v1, v1
	v_readfirstlane_b32 s7, v1
	s_mul_i32 s6, s6, s7
	s_mul_hi_u32 s6, s7, s6
	s_add_i32 s7, s7, s6
	s_mul_hi_u32 s6, s16, s7
	s_mul_i32 s8, s6, s34
	s_sub_i32 s8, s16, s8
	s_add_i32 s7, s6, 1
	s_sub_i32 s9, s8, s34
	s_cmp_ge_u32 s8, s34
	s_cselect_b32 s6, s7, s6
	s_cselect_b32 s8, s9, s8
	s_add_i32 s7, s6, 1
	s_cmp_ge_u32 s8, s34
	s_cselect_b32 s38, s7, s6
.LBB107_56:
	s_load_dwordx4 s[8:11], s[4:5], 0x8
	s_lshl_b64 s[4:5], s[28:29], 3
	s_add_u32 s14, s20, s4
	s_addc_u32 s15, s21, s5
	s_load_dwordx2 s[12:13], s[14:15], 0x0
	v_subrev_co_u32_e32 v2, vcc, s36, v0
	v_subb_co_u32_e64 v3, s[4:5], 0, 0, vcc
	s_waitcnt lgkmcnt(0)
	v_mov_b32_e32 v4, s13
	v_add_co_u32_e32 v14, vcc, s12, v2
	v_addc_co_u32_e32 v15, vcc, v4, v3, vcc
	v_add_co_u32_e32 v16, vcc, 0x300, v14
	v_addc_co_u32_e32 v17, vcc, 0, v15, vcc
	v_mov_b32_e32 v1, 0
	v_cmp_le_i64_e64 s[4:5], s[8:9], v[16:17]
	s_and_saveexec_b64 s[6:7], s[4:5]
	s_xor_b64 s[6:7], exec, s[6:7]
	s_cbranch_execnz .LBB107_59
; %bb.57:
	s_or_saveexec_b64 s[6:7], s[6:7]
	v_lshlrev_b64 v[2:3], 3, v[14:15]
	s_xor_b64 exec, exec, s[6:7]
	s_cbranch_execnz .LBB107_63
.LBB107_58:
	s_or_b64 exec, exec, s[6:7]
	v_cmp_gt_i64_e32 vcc, s[10:11], v[0:1]
	s_and_saveexec_b64 s[6:7], vcc
	s_cbranch_execnz .LBB107_64
	s_branch .LBB107_66
.LBB107_59:
	s_lshl_b64 s[8:9], s[30:31], 3
	s_add_u32 s8, s20, s8
	s_addc_u32 s9, s21, s9
	s_load_dwordx2 s[8:9], s[8:9], 0x0
	s_waitcnt lgkmcnt(0)
	s_sub_u32 s8, s8, s12
	s_subb_u32 s9, s9, s13
	v_cmp_gt_i64_e32 vcc, s[8:9], v[0:1]
	s_and_saveexec_b64 s[40:41], vcc
	s_cbranch_execz .LBB107_62
; %bb.60:
	v_lshlrev_b64 v[2:3], 3, v[14:15]
	s_mov_b32 s42, 0
	v_mov_b32_e32 v4, s25
	v_add_co_u32_e32 v2, vcc, s24, v2
	s_brev_b32 s43, 1
	v_addc_co_u32_e32 v3, vcc, v4, v3, vcc
	v_mul_f64 v[4:5], v[12:13], s[42:43]
	s_mov_b64 s[42:43], 0
	v_mul_f64 v[6:7], v[10:11], 0
	v_mov_b32_e32 v18, v28
	v_pk_mov_b32 v[8:9], v[0:1], v[0:1] op_sel:[0,1]
.LBB107_61:                             ; =>This Inner Loop Header: Depth=1
	global_load_dwordx2 v[22:23], v[2:3], off
	v_add_co_u32_e32 v2, vcc, 0x800, v2
	v_addc_co_u32_e32 v3, vcc, 0, v3, vcc
	v_add_co_u32_e32 v8, vcc, 0x100, v8
	v_addc_co_u32_e32 v9, vcc, 0, v9, vcc
	v_cmp_le_i64_e32 vcc, s[8:9], v[8:9]
	s_or_b64 s[42:43], vcc, s[42:43]
	s_waitcnt vmcnt(0)
	v_fma_f64 v[20:21], v[10:11], v[22:23], v[4:5]
	v_fma_f64 v[22:23], v[12:13], v[22:23], v[6:7]
	ds_write_b128 v18, v[20:23]
	v_add_u32_e32 v18, 0x1000, v18
	s_andn2_b64 exec, exec, s[42:43]
	s_cbranch_execnz .LBB107_61
.LBB107_62:
	s_or_b64 exec, exec, s[40:41]
                                        ; implicit-def: $vgpr12_vgpr13
                                        ; implicit-def: $vgpr10_vgpr11
	s_or_saveexec_b64 s[6:7], s[6:7]
	v_lshlrev_b64 v[2:3], 3, v[14:15]
	s_xor_b64 exec, exec, s[6:7]
	s_cbranch_execz .LBB107_58
.LBB107_63:
	v_mov_b32_e32 v5, s25
	v_add_co_u32_e32 v4, vcc, s24, v2
	v_addc_co_u32_e32 v5, vcc, v5, v3, vcc
	s_movk_i32 s8, 0x1000
	global_load_dwordx2 v[8:9], v[4:5], off
	global_load_dwordx2 v[24:25], v[4:5], off offset:2048
	v_add_co_u32_e32 v4, vcc, s8, v4
	v_addc_co_u32_e32 v5, vcc, 0, v5, vcc
	global_load_dwordx2 v[26:27], v[4:5], off
	global_load_dwordx2 v[30:31], v[4:5], off offset:2048
	s_mov_b32 s8, 0
	s_brev_b32 s9, 1
	v_mul_f64 v[6:7], v[10:11], 0
	v_mul_f64 v[4:5], v[12:13], s[8:9]
	s_waitcnt vmcnt(3)
	v_fma_f64 v[18:19], v[10:11], v[8:9], v[4:5]
	v_fma_f64 v[20:21], v[12:13], v[8:9], v[6:7]
	s_waitcnt vmcnt(2)
	v_fma_f64 v[22:23], v[10:11], v[24:25], v[4:5]
	v_fma_f64 v[24:25], v[12:13], v[24:25], v[6:7]
	ds_write_b128 v28, v[18:21]
	ds_write_b128 v28, v[22:25] offset:4096
	s_waitcnt vmcnt(1)
	v_fma_f64 v[18:19], v[10:11], v[26:27], v[4:5]
	v_fma_f64 v[20:21], v[12:13], v[26:27], v[6:7]
	s_waitcnt vmcnt(0)
	v_fmac_f64_e32 v[4:5], v[10:11], v[30:31]
	v_fmac_f64_e32 v[6:7], v[12:13], v[30:31]
	ds_write_b128 v28, v[18:21] offset:8192
	ds_write_b128 v28, v[4:7] offset:12288
	s_or_b64 exec, exec, s[6:7]
	v_cmp_gt_i64_e32 vcc, s[10:11], v[0:1]
	s_and_saveexec_b64 s[6:7], vcc
	s_cbranch_execz .LBB107_66
.LBB107_64:
	s_mov_b32 s24, 0
	v_mov_b32_e32 v4, 0x4000
	s_mov_b32 s25, s24
	s_mov_b32 s40, s24
	;; [unrolled: 1-line block ×3, first 2 shown]
	v_lshl_add_u32 v10, v0, 4, v4
	s_mov_b64 s[8:9], 0
	v_pk_mov_b32 v[4:5], s[24:25], s[24:25] op_sel:[0,1]
	v_pk_mov_b32 v[6:7], s[40:41], s[40:41] op_sel:[0,1]
	v_pk_mov_b32 v[8:9], v[0:1], v[0:1] op_sel:[0,1]
.LBB107_65:                             ; =>This Inner Loop Header: Depth=1
	v_add_co_u32_e32 v8, vcc, 0x100, v8
	v_addc_co_u32_e32 v9, vcc, 0, v9, vcc
	v_cmp_le_i64_e32 vcc, s[10:11], v[8:9]
	ds_write2_b64 v10, v[4:5], v[6:7] offset1:1
	s_or_b64 s[8:9], vcc, s[8:9]
	v_add_u32_e32 v10, 0x1000, v10
	s_andn2_b64 exec, exec, s[8:9]
	s_cbranch_execnz .LBB107_65
.LBB107_66:
	s_or_b64 exec, exec, s[6:7]
	s_sub_u32 s8, s30, s10
	v_pk_mov_b32 v[4:5], s[10:11], s[10:11] op_sel:[0,1]
	s_subb_u32 s9, s31, s11
	v_cmp_ge_i64_e32 vcc, s[30:31], v[4:5]
	s_and_b64 s[6:7], vcc, exec
	s_cselect_b32 s9, s9, 0
	s_cselect_b32 s8, s8, 0
	s_waitcnt lgkmcnt(0)
	s_barrier
	s_and_saveexec_b64 s[6:7], s[4:5]
	s_xor_b64 s[24:25], exec, s[6:7]
	s_cbranch_execz .LBB107_87
; %bb.67:
	s_lshl_b64 s[4:5], s[30:31], 3
	s_add_u32 s4, s20, s4
	s_addc_u32 s5, s21, s5
	s_load_dwordx2 s[4:5], s[4:5], 0x0
	s_waitcnt lgkmcnt(0)
	s_sub_u32 s40, s4, s12
	s_subb_u32 s41, s5, s13
	v_cmp_gt_i64_e32 vcc, s[40:41], v[0:1]
	s_and_saveexec_b64 s[42:43], vcc
	s_cbranch_execz .LBB107_86
; %bb.68:
	s_add_u32 s44, s30, -1
	s_addc_u32 s45, s31, -1
	s_add_u32 s6, s30, -2
	s_addc_u32 s7, s31, -1
	v_pk_mov_b32 v[2:3], s[28:29], s[28:29] op_sel:[0,1]
	s_cmp_lg_u64 s[6:7], s[28:29]
	v_cmp_gt_i64_e32 vcc, s[44:45], v[2:3]
	s_cselect_b64 s[6:7], -1, 0
	s_and_b64 s[6:7], vcc, s[6:7]
	s_sub_u32 s46, s4, s36
	v_cndmask_b32_e64 v2, 0, 1, s[6:7]
	s_subb_u32 s47, s5, 0
	s_mov_b64 s[48:49], 0
	v_cmp_ne_u32_e64 s[4:5], 1, v2
	v_mov_b32_e32 v24, s21
	v_mov_b32_e32 v25, s33
	;; [unrolled: 1-line block ×4, first 2 shown]
	s_mov_b64 s[50:51], 0
	s_branch .LBB107_71
.LBB107_69:                             ;   in Loop: Header=BB107_71 Depth=1
	s_or_b64 exec, exec, s[6:7]
.LBB107_70:                             ;   in Loop: Header=BB107_71 Depth=1
	s_or_b64 exec, exec, s[52:53]
	v_lshlrev_b64 v[6:7], 4, v[16:17]
	v_mov_b32_e32 v8, s27
	v_add_co_u32_e32 v6, vcc, s26, v6
	v_addc_co_u32_e32 v7, vcc, v8, v7, vcc
	global_load_dwordx4 v[6:9], v[6:7], off
	s_add_u32 s50, s50, 0x100
	s_addc_u32 s51, s51, 0
	v_mov_b32_e32 v11, s51
	v_add_co_u32_e32 v10, vcc, s50, v0
	v_addc_co_u32_e32 v11, vcc, 0, v11, vcc
	v_cmp_le_i64_e32 vcc, s[40:41], v[10:11]
	v_lshlrev_b32_e32 v16, 4, v29
	s_or_b64 s[48:49], vcc, s[48:49]
	s_waitcnt vmcnt(0)
	v_mul_f64 v[10:11], v[8:9], v[18:19]
	v_mul_f64 v[12:13], v[8:9], v[2:3]
	v_fmac_f64_e32 v[10:11], v[2:3], v[6:7]
	v_fmac_f64_e32 v[12:13], v[4:5], v[6:7]
	ds_write_b128 v16, v[10:13]
	s_andn2_b64 exec, exec, s[48:49]
	s_cbranch_execz .LBB107_86
.LBB107_71:                             ; =>This Loop Header: Depth=1
                                        ;     Child Loop BB107_73 Depth 2
                                        ;     Child Loop BB107_80 Depth 2
	;; [unrolled: 1-line block ×3, first 2 shown]
	v_mov_b32_e32 v3, s51
	v_add_co_u32_e32 v2, vcc, s50, v14
	v_addc_co_u32_e32 v3, vcc, v3, v15, vcc
	s_and_b64 vcc, exec, s[4:5]
	v_pk_mov_b32 v[4:5], s[28:29], s[28:29] op_sel:[0,1]
	v_pk_mov_b32 v[6:7], s[44:45], s[44:45] op_sel:[0,1]
	s_cbranch_vccnz .LBB107_75
; %bb.72:                               ;   in Loop: Header=BB107_71 Depth=1
	s_mov_b64 s[52:53], 0
	v_pk_mov_b32 v[4:5], s[28:29], s[28:29] op_sel:[0,1]
	v_pk_mov_b32 v[6:7], s[44:45], s[44:45] op_sel:[0,1]
.LBB107_73:                             ;   Parent Loop BB107_71 Depth=1
                                        ; =>  This Inner Loop Header: Depth=2
	v_add_co_u32_e32 v8, vcc, v6, v4
	v_addc_co_u32_e32 v9, vcc, v7, v5, vcc
	v_lshrrev_b32_e32 v10, 31, v9
	v_add_co_u32_e32 v8, vcc, v8, v10
	v_addc_co_u32_e32 v9, vcc, 0, v9, vcc
	v_ashrrev_i64 v[8:9], 1, v[8:9]
	v_lshlrev_b64 v[10:11], 3, v[8:9]
	v_mov_b32_e32 v12, s21
	v_add_co_u32_e32 v10, vcc, s20, v10
	v_addc_co_u32_e32 v11, vcc, v12, v11, vcc
	global_load_dwordx2 v[10:11], v[10:11], off
	v_mov_b32_e32 v12, s33
	s_waitcnt vmcnt(0)
	v_subrev_co_u32_e32 v10, vcc, s36, v10
	v_subb_co_u32_e32 v11, vcc, v11, v12, vcc
	v_cmp_gt_i64_e32 vcc, v[10:11], v[2:3]
	v_cndmask_b32_e32 v6, v6, v8, vcc
	v_cndmask_b32_e32 v7, v7, v9, vcc
	;; [unrolled: 1-line block ×3, first 2 shown]
	v_add_co_u32_e64 v8, s[6:7], -1, v6
	v_cndmask_b32_e32 v5, v9, v5, vcc
	v_addc_co_u32_e64 v9, s[6:7], -1, v7, s[6:7]
	v_cmp_ge_i64_e32 vcc, v[4:5], v[6:7]
	v_cmp_eq_u64_e64 s[6:7], v[4:5], v[8:9]
	s_or_b64 s[6:7], vcc, s[6:7]
	s_and_b64 s[6:7], exec, s[6:7]
	s_or_b64 s[52:53], s[6:7], s[52:53]
	s_andn2_b64 exec, exec, s[52:53]
	s_cbranch_execnz .LBB107_73
; %bb.74:                               ;   in Loop: Header=BB107_71 Depth=1
	s_or_b64 exec, exec, s[52:53]
.LBB107_75:                             ;   in Loop: Header=BB107_71 Depth=1
	v_lshlrev_b64 v[8:9], 3, v[6:7]
	v_add_co_u32_e32 v8, vcc, s20, v8
	v_addc_co_u32_e32 v9, vcc, v24, v9, vcc
	v_lshlrev_b64 v[10:11], 3, v[2:3]
	global_load_dwordx2 v[8:9], v[8:9], off
	v_add_co_u32_e32 v10, vcc, s22, v10
	v_addc_co_u32_e32 v11, vcc, v26, v11, vcc
	global_load_dwordx2 v[10:11], v[10:11], off
	v_add_co_u32_e32 v29, vcc, s50, v0
	v_cmp_le_i64_e32 vcc, s[46:47], v[2:3]
                                        ; implicit-def: $vgpr18_vgpr19
	s_waitcnt vmcnt(1)
	v_subrev_co_u32_e64 v8, s[6:7], s36, v8
	v_subb_co_u32_e64 v9, s[6:7], v9, v25, s[6:7]
	s_waitcnt vmcnt(0)
	v_subrev_co_u32_e64 v16, s[6:7], s36, v10
	v_subb_co_u32_e64 v17, s[6:7], v11, v25, s[6:7]
	v_cmp_gt_i64_e64 s[6:7], v[8:9], v[2:3]
	v_cndmask_b32_e64 v7, v7, v5, s[6:7]
	v_cndmask_b32_e64 v6, v6, v4, s[6:7]
	v_cmp_eq_u64_e64 s[6:7], v[16:17], v[6:7]
	s_or_b64 s[6:7], s[6:7], vcc
	v_lshlrev_b32_e32 v10, 4, v29
                                        ; implicit-def: $vgpr2_vgpr3
	s_and_saveexec_b64 s[52:53], s[6:7]
	s_xor_b64 s[6:7], exec, s[52:53]
	s_cbranch_execz .LBB107_77
; %bb.76:                               ;   in Loop: Header=BB107_71 Depth=1
	ds_read_b128 v[2:5], v10
                                        ; implicit-def: $vgpr10
                                        ; implicit-def: $vgpr6_vgpr7
	s_waitcnt lgkmcnt(0)
	v_xor_b32_e32 v19, 0x80000000, v5
	v_mov_b32_e32 v18, v4
.LBB107_77:                             ;   in Loop: Header=BB107_71 Depth=1
	s_andn2_saveexec_b64 s[52:53], s[6:7]
	s_cbranch_execz .LBB107_70
; %bb.78:                               ;   in Loop: Header=BB107_71 Depth=1
	v_cmp_gt_i64_e32 vcc, s[8:9], v[16:17]
	v_cmp_le_i64_e64 s[6:7], s[30:31], v[16:17]
	s_or_b64 s[6:7], vcc, s[6:7]
	v_lshlrev_b64 v[6:7], 4, v[6:7]
                                        ; implicit-def: $vgpr2_vgpr3
                                        ; implicit-def: $vgpr18_vgpr19
	s_and_saveexec_b64 s[54:55], s[6:7]
	s_xor_b64 s[6:7], exec, s[54:55]
	s_cbranch_execz .LBB107_84
; %bb.79:                               ;   in Loop: Header=BB107_71 Depth=1
	v_mov_b32_e32 v5, s27
	v_add_co_u32_e32 v4, vcc, s26, v6
	v_lshlrev_b64 v[2:3], 4, v[16:17]
	v_addc_co_u32_e32 v5, vcc, v5, v7, vcc
	v_mov_b32_e32 v11, s19
	global_load_dwordx4 v[6:9], v[4:5], off
	v_add_co_u32_e32 v20, vcc, s18, v2
	v_addc_co_u32_e32 v21, vcc, v11, v3, vcc
	global_load_dwordx2 v[12:13], v[20:21], off
	ds_read_b128 v[2:5], v10
	s_mov_b64 s[54:55], 0
	s_waitcnt lgkmcnt(0)
	v_xor_b32_e32 v19, 0x80000000, v5
	v_mov_b32_e32 v18, v4
	s_waitcnt vmcnt(1)
	v_mul_f64 v[22:23], v[8:9], -v[4:5]
	v_fmac_f64_e32 v[22:23], v[2:3], v[6:7]
.LBB107_80:                             ;   Parent Loop BB107_71 Depth=1
                                        ; =>  This Inner Loop Header: Depth=2
	s_waitcnt vmcnt(0)
	v_add_f64 v[10:11], v[12:13], v[22:23]
	global_atomic_cmpswap_x2 v[10:11], v[20:21], v[10:13], off glc
	s_waitcnt vmcnt(0)
	v_cmp_eq_u64_e32 vcc, v[10:11], v[12:13]
	s_or_b64 s[54:55], vcc, s[54:55]
	v_pk_mov_b32 v[12:13], v[10:11], v[10:11] op_sel:[0,1]
	s_andn2_b64 exec, exec, s[54:55]
	s_cbranch_execnz .LBB107_80
; %bb.81:                               ;   in Loop: Header=BB107_71 Depth=1
	s_or_b64 exec, exec, s[54:55]
	global_load_dwordx2 v[10:11], v[20:21], off offset:8
	v_mul_f64 v[12:13], v[8:9], v[2:3]
	v_fmac_f64_e32 v[12:13], v[4:5], v[6:7]
	s_mov_b64 s[54:55], 0
.LBB107_82:                             ;   Parent Loop BB107_71 Depth=1
                                        ; =>  This Inner Loop Header: Depth=2
	s_waitcnt vmcnt(0)
	v_add_f64 v[8:9], v[10:11], v[12:13]
	global_atomic_cmpswap_x2 v[6:7], v[20:21], v[8:11], off offset:8 glc
	s_waitcnt vmcnt(0)
	v_cmp_eq_u64_e32 vcc, v[6:7], v[10:11]
	s_or_b64 s[54:55], vcc, s[54:55]
	v_pk_mov_b32 v[10:11], v[6:7], v[6:7] op_sel:[0,1]
	s_andn2_b64 exec, exec, s[54:55]
	s_cbranch_execnz .LBB107_82
; %bb.83:                               ;   in Loop: Header=BB107_71 Depth=1
	s_or_b64 exec, exec, s[54:55]
                                        ; implicit-def: $vgpr6_vgpr7
                                        ; implicit-def: $vgpr10
.LBB107_84:                             ;   in Loop: Header=BB107_71 Depth=1
	s_andn2_saveexec_b64 s[6:7], s[6:7]
	s_cbranch_execz .LBB107_69
; %bb.85:                               ;   in Loop: Header=BB107_71 Depth=1
	v_mov_b32_e32 v3, s27
	v_add_co_u32_e32 v2, vcc, s26, v6
	v_addc_co_u32_e32 v3, vcc, v3, v7, vcc
	global_load_dwordx4 v[6:9], v[2:3], off
	ds_read_b128 v[2:5], v10
	v_subrev_u32_e32 v10, s8, v16
	v_lshl_add_u32 v12, v10, 4, v27
	s_waitcnt lgkmcnt(0)
	v_xor_b32_e32 v19, 0x80000000, v5
	v_mov_b32_e32 v18, v4
	s_waitcnt vmcnt(0)
	v_mul_f64 v[10:11], v[8:9], -v[4:5]
	v_mul_f64 v[8:9], v[8:9], v[2:3]
	v_fmac_f64_e32 v[10:11], v[2:3], v[6:7]
	v_fmac_f64_e32 v[8:9], v[4:5], v[6:7]
	ds_add_f64 v12, v[10:11]
	ds_add_f64 v12, v[8:9] offset:8
	s_branch .LBB107_69
.LBB107_86:
	s_or_b64 exec, exec, s[42:43]
                                        ; implicit-def: $vgpr16_vgpr17
                                        ; implicit-def: $vgpr14
                                        ; implicit-def: $vgpr2_vgpr3
.LBB107_87:
	s_andn2_saveexec_b64 s[24:25], s[24:25]
	s_cbranch_execz .LBB107_145
; %bb.88:
	s_add_u32 s40, s30, -1
	s_addc_u32 s41, s31, -1
	s_add_u32 s4, s30, -2
	s_addc_u32 s5, s31, -1
	v_pk_mov_b32 v[4:5], s[28:29], s[28:29] op_sel:[0,1]
	s_cmp_eq_u64 s[4:5], s[28:29]
	v_cmp_le_i64_e32 vcc, s[40:41], v[4:5]
	s_cselect_b64 s[4:5], -1, 0
	s_or_b64 s[6:7], vcc, s[4:5]
	s_and_b64 vcc, exec, s[6:7]
	v_pk_mov_b32 v[6:7], s[40:41], s[40:41] op_sel:[0,1]
	s_cbranch_vccnz .LBB107_92
; %bb.89:
	s_mov_b64 s[42:43], 0
	v_pk_mov_b32 v[4:5], s[28:29], s[28:29] op_sel:[0,1]
	v_pk_mov_b32 v[6:7], s[40:41], s[40:41] op_sel:[0,1]
	v_mov_b32_e32 v8, s21
	v_mov_b32_e32 v9, s33
.LBB107_90:                             ; =>This Inner Loop Header: Depth=1
	v_add_co_u32_e32 v10, vcc, v6, v4
	v_addc_co_u32_e32 v11, vcc, v7, v5, vcc
	v_lshrrev_b32_e32 v12, 31, v11
	v_add_co_u32_e32 v10, vcc, v10, v12
	v_addc_co_u32_e32 v11, vcc, 0, v11, vcc
	v_ashrrev_i64 v[10:11], 1, v[10:11]
	v_lshlrev_b64 v[12:13], 3, v[10:11]
	v_add_co_u32_e32 v12, vcc, s20, v12
	v_addc_co_u32_e32 v13, vcc, v8, v13, vcc
	global_load_dwordx2 v[12:13], v[12:13], off
	s_waitcnt vmcnt(0)
	v_subrev_co_u32_e32 v12, vcc, s36, v12
	v_subb_co_u32_e32 v13, vcc, v13, v9, vcc
	v_cmp_gt_i64_e32 vcc, v[12:13], v[14:15]
	v_cndmask_b32_e32 v6, v6, v10, vcc
	v_cndmask_b32_e32 v7, v7, v11, vcc
	v_cndmask_b32_e32 v4, v10, v4, vcc
	v_add_co_u32_e64 v10, s[4:5], -1, v6
	v_cndmask_b32_e32 v5, v11, v5, vcc
	v_addc_co_u32_e64 v11, s[4:5], -1, v7, s[4:5]
	v_cmp_ge_i64_e32 vcc, v[4:5], v[6:7]
	v_cmp_eq_u64_e64 s[4:5], v[4:5], v[10:11]
	s_or_b64 s[4:5], vcc, s[4:5]
	s_and_b64 s[4:5], exec, s[4:5]
	s_or_b64 s[42:43], s[4:5], s[42:43]
	s_andn2_b64 exec, exec, s[42:43]
	s_cbranch_execnz .LBB107_90
; %bb.91:
	s_or_b64 exec, exec, s[42:43]
.LBB107_92:
	v_lshlrev_b64 v[8:9], 3, v[6:7]
	v_mov_b32_e32 v10, s21
	v_add_co_u32_e32 v8, vcc, s20, v8
	v_addc_co_u32_e32 v9, vcc, v10, v9, vcc
	global_load_dwordx2 v[8:9], v[8:9], off
	v_mov_b32_e32 v10, s23
	v_add_co_u32_e32 v18, vcc, s22, v2
	v_addc_co_u32_e32 v19, vcc, v10, v3, vcc
	global_load_dwordx2 v[10:11], v[18:19], off
	v_mov_b32_e32 v12, s33
	s_xor_b64 s[6:7], s[6:7], -1
	s_lshl_b64 s[4:5], s[30:31], 3
	s_add_u32 s22, s20, s4
	s_addc_u32 s23, s21, s5
	s_waitcnt vmcnt(1)
	v_subrev_co_u32_e32 v2, vcc, s36, v8
	v_subb_co_u32_e32 v3, vcc, v9, v12, vcc
	v_cmp_gt_i64_e32 vcc, v[2:3], v[14:15]
	v_cndmask_b32_e32 v3, v7, v5, vcc
	v_cndmask_b32_e32 v2, v6, v4, vcc
	s_waitcnt vmcnt(0)
	v_subrev_co_u32_e32 v20, vcc, s36, v10
	v_subb_co_u32_e32 v21, vcc, v11, v12, vcc
	v_cmp_ne_u64_e32 vcc, v[20:21], v[2:3]
	s_and_saveexec_b64 s[42:43], vcc
	s_cbranch_execz .LBB107_102
; %bb.93:
	s_load_dwordx2 s[4:5], s[22:23], 0x0
	s_waitcnt lgkmcnt(0)
	s_sub_u32 s4, s4, s36
	s_subb_u32 s5, s5, 0
	v_cmp_gt_i64_e32 vcc, s[4:5], v[14:15]
	s_and_b64 exec, exec, vcc
	s_cbranch_execz .LBB107_102
; %bb.94:
	v_cmp_gt_i64_e32 vcc, s[8:9], v[20:21]
	v_cmp_le_i64_e64 s[4:5], s[30:31], v[20:21]
	s_or_b64 s[4:5], vcc, s[4:5]
	v_lshlrev_b64 v[2:3], 4, v[2:3]
	s_and_saveexec_b64 s[44:45], s[4:5]
	s_xor_b64 s[4:5], exec, s[44:45]
	s_cbranch_execz .LBB107_100
; %bb.95:
	v_mov_b32_e32 v4, s27
	v_add_co_u32_e32 v2, vcc, s26, v2
	v_lshlrev_b64 v[6:7], 4, v[20:21]
	v_addc_co_u32_e32 v3, vcc, v4, v3, vcc
	v_mov_b32_e32 v8, s19
	global_load_dwordx4 v[2:5], v[2:3], off
	v_add_co_u32_e32 v22, vcc, s18, v6
	v_addc_co_u32_e32 v23, vcc, v8, v7, vcc
	global_load_dwordx2 v[12:13], v[22:23], off
	ds_read_b128 v[6:9], v28
	s_mov_b64 s[44:45], 0
	s_waitcnt vmcnt(1) lgkmcnt(0)
	v_mul_f64 v[24:25], v[4:5], -v[8:9]
	v_fmac_f64_e32 v[24:25], v[6:7], v[2:3]
.LBB107_96:                             ; =>This Inner Loop Header: Depth=1
	s_waitcnt vmcnt(0)
	v_add_f64 v[10:11], v[12:13], v[24:25]
	global_atomic_cmpswap_x2 v[10:11], v[22:23], v[10:13], off glc
	s_waitcnt vmcnt(0)
	v_cmp_eq_u64_e32 vcc, v[10:11], v[12:13]
	s_or_b64 s[44:45], vcc, s[44:45]
	v_pk_mov_b32 v[12:13], v[10:11], v[10:11] op_sel:[0,1]
	s_andn2_b64 exec, exec, s[44:45]
	s_cbranch_execnz .LBB107_96
; %bb.97:
	s_or_b64 exec, exec, s[44:45]
	global_load_dwordx2 v[10:11], v[22:23], off offset:8
	v_mul_f64 v[4:5], v[4:5], v[6:7]
	v_fmac_f64_e32 v[4:5], v[8:9], v[2:3]
	s_mov_b64 s[44:45], 0
.LBB107_98:                             ; =>This Inner Loop Header: Depth=1
	s_waitcnt vmcnt(0)
	v_add_f64 v[8:9], v[10:11], v[4:5]
	global_atomic_cmpswap_x2 v[2:3], v[22:23], v[8:11], off offset:8 glc
	s_waitcnt vmcnt(0)
	v_cmp_eq_u64_e32 vcc, v[2:3], v[10:11]
	s_or_b64 s[44:45], vcc, s[44:45]
	v_pk_mov_b32 v[10:11], v[2:3], v[2:3] op_sel:[0,1]
	s_andn2_b64 exec, exec, s[44:45]
	s_cbranch_execnz .LBB107_98
; %bb.99:
	s_or_b64 exec, exec, s[44:45]
                                        ; implicit-def: $vgpr2_vgpr3
.LBB107_100:
	s_andn2_saveexec_b64 s[4:5], s[4:5]
	s_cbranch_execz .LBB107_102
; %bb.101:
	v_mov_b32_e32 v4, s27
	v_add_co_u32_e32 v2, vcc, s26, v2
	v_addc_co_u32_e32 v3, vcc, v4, v3, vcc
	global_load_dwordx4 v[2:5], v[2:3], off
	ds_read_b128 v[6:9], v28
	v_subrev_u32_e32 v10, s8, v20
	v_mov_b32_e32 v11, 0x4000
	v_lshl_add_u32 v12, v10, 4, v11
	s_waitcnt vmcnt(0) lgkmcnt(0)
	v_mul_f64 v[10:11], v[4:5], -v[8:9]
	v_mul_f64 v[4:5], v[4:5], v[6:7]
	v_fmac_f64_e32 v[10:11], v[6:7], v[2:3]
	v_fmac_f64_e32 v[4:5], v[8:9], v[2:3]
	ds_add_f64 v12, v[10:11]
	ds_add_f64 v12, v[4:5] offset:8
.LBB107_102:
	s_or_b64 exec, exec, s[42:43]
	v_lshlrev_b64 v[2:3], 4, v[20:21]
	v_mov_b32_e32 v4, s27
	v_add_co_u32_e32 v2, vcc, s26, v2
	v_addc_co_u32_e32 v3, vcc, v4, v3, vcc
	global_load_dwordx4 v[6:9], v[2:3], off
	ds_read_b128 v[10:13], v28
	v_add_co_u32_e32 v2, vcc, 0x100, v14
	v_cndmask_b32_e64 v20, 0, 1, s[6:7]
	v_addc_co_u32_e32 v3, vcc, 0, v15, vcc
	v_cmp_ne_u32_e64 s[4:5], 1, v20
	v_pk_mov_b32 v[4:5], s[28:29], s[28:29] op_sel:[0,1]
	s_andn2_b64 vcc, exec, s[6:7]
	s_waitcnt vmcnt(0) lgkmcnt(0)
	v_mul_f64 v[20:21], v[8:9], -v[12:13]
	v_mul_f64 v[22:23], v[8:9], v[10:11]
	v_fmac_f64_e32 v[20:21], v[10:11], v[6:7]
	v_fmac_f64_e32 v[22:23], v[12:13], v[6:7]
	v_pk_mov_b32 v[6:7], s[40:41], s[40:41] op_sel:[0,1]
	ds_write_b128 v28, v[20:23]
	s_cbranch_vccnz .LBB107_106
; %bb.103:
	s_mov_b64 s[42:43], 0
	v_pk_mov_b32 v[4:5], s[28:29], s[28:29] op_sel:[0,1]
	v_pk_mov_b32 v[6:7], s[40:41], s[40:41] op_sel:[0,1]
	v_mov_b32_e32 v8, s21
	v_mov_b32_e32 v9, s33
.LBB107_104:                            ; =>This Inner Loop Header: Depth=1
	v_add_co_u32_e32 v10, vcc, v6, v4
	v_addc_co_u32_e32 v11, vcc, v7, v5, vcc
	v_lshrrev_b32_e32 v12, 31, v11
	v_add_co_u32_e32 v10, vcc, v10, v12
	v_addc_co_u32_e32 v11, vcc, 0, v11, vcc
	v_ashrrev_i64 v[10:11], 1, v[10:11]
	v_lshlrev_b64 v[12:13], 3, v[10:11]
	v_add_co_u32_e32 v12, vcc, s20, v12
	v_addc_co_u32_e32 v13, vcc, v8, v13, vcc
	global_load_dwordx2 v[12:13], v[12:13], off
	s_waitcnt vmcnt(0)
	v_subrev_co_u32_e32 v12, vcc, s36, v12
	v_subb_co_u32_e32 v13, vcc, v13, v9, vcc
	v_cmp_gt_i64_e32 vcc, v[12:13], v[2:3]
	v_cndmask_b32_e32 v6, v6, v10, vcc
	v_cndmask_b32_e32 v7, v7, v11, vcc
	;; [unrolled: 1-line block ×3, first 2 shown]
	v_add_co_u32_e64 v10, s[6:7], -1, v6
	v_cndmask_b32_e32 v5, v11, v5, vcc
	v_addc_co_u32_e64 v11, s[6:7], -1, v7, s[6:7]
	v_cmp_ge_i64_e32 vcc, v[4:5], v[6:7]
	v_cmp_eq_u64_e64 s[6:7], v[4:5], v[10:11]
	s_or_b64 s[6:7], vcc, s[6:7]
	s_and_b64 s[6:7], exec, s[6:7]
	s_or_b64 s[42:43], s[6:7], s[42:43]
	s_andn2_b64 exec, exec, s[42:43]
	s_cbranch_execnz .LBB107_104
; %bb.105:
	s_or_b64 exec, exec, s[42:43]
.LBB107_106:
	v_lshlrev_b64 v[8:9], 3, v[6:7]
	v_mov_b32_e32 v10, s21
	v_add_co_u32_e32 v8, vcc, s20, v8
	v_addc_co_u32_e32 v9, vcc, v10, v9, vcc
	global_load_dwordx2 v[10:11], v[8:9], off
	global_load_dwordx2 v[12:13], v[18:19], off offset:2048
	v_mov_b32_e32 v21, s33
	s_waitcnt vmcnt(1)
	v_subrev_co_u32_e32 v8, vcc, s36, v10
	v_subb_co_u32_e32 v9, vcc, v11, v21, vcc
	v_cmp_gt_i64_e32 vcc, v[8:9], v[2:3]
	v_cndmask_b32_e32 v5, v7, v5, vcc
	v_cndmask_b32_e32 v4, v6, v4, vcc
	s_waitcnt vmcnt(0)
	v_subrev_co_u32_e32 v20, vcc, s36, v12
	v_subb_co_u32_e32 v21, vcc, v13, v21, vcc
	v_cmp_ne_u64_e32 vcc, v[20:21], v[4:5]
	s_and_saveexec_b64 s[42:43], vcc
	s_cbranch_execz .LBB107_116
; %bb.107:
	s_load_dwordx2 s[6:7], s[22:23], 0x0
	s_waitcnt lgkmcnt(0)
	s_sub_u32 s6, s6, s36
	s_subb_u32 s7, s7, 0
	v_cmp_gt_i64_e32 vcc, s[6:7], v[2:3]
	s_and_b64 exec, exec, vcc
	s_cbranch_execz .LBB107_116
; %bb.108:
	v_cmp_gt_i64_e32 vcc, s[8:9], v[20:21]
	v_cmp_le_i64_e64 s[6:7], s[30:31], v[20:21]
	s_or_b64 s[6:7], vcc, s[6:7]
	v_lshlrev_b64 v[2:3], 4, v[4:5]
	s_and_saveexec_b64 s[44:45], s[6:7]
	s_xor_b64 s[6:7], exec, s[44:45]
	s_cbranch_execz .LBB107_114
; %bb.109:
	v_mov_b32_e32 v4, s27
	v_add_co_u32_e32 v2, vcc, s26, v2
	v_lshlrev_b64 v[6:7], 4, v[20:21]
	v_addc_co_u32_e32 v3, vcc, v4, v3, vcc
	v_mov_b32_e32 v8, s19
	global_load_dwordx4 v[2:5], v[2:3], off
	v_add_co_u32_e32 v22, vcc, s18, v6
	v_addc_co_u32_e32 v23, vcc, v8, v7, vcc
	global_load_dwordx2 v[12:13], v[22:23], off
	ds_read_b128 v[6:9], v28 offset:4096
	s_mov_b64 s[44:45], 0
	s_waitcnt vmcnt(1) lgkmcnt(0)
	v_mul_f64 v[24:25], v[4:5], -v[8:9]
	v_fmac_f64_e32 v[24:25], v[6:7], v[2:3]
.LBB107_110:                            ; =>This Inner Loop Header: Depth=1
	s_waitcnt vmcnt(0)
	v_add_f64 v[10:11], v[12:13], v[24:25]
	global_atomic_cmpswap_x2 v[10:11], v[22:23], v[10:13], off glc
	s_waitcnt vmcnt(0)
	v_cmp_eq_u64_e32 vcc, v[10:11], v[12:13]
	s_or_b64 s[44:45], vcc, s[44:45]
	v_pk_mov_b32 v[12:13], v[10:11], v[10:11] op_sel:[0,1]
	s_andn2_b64 exec, exec, s[44:45]
	s_cbranch_execnz .LBB107_110
; %bb.111:
	s_or_b64 exec, exec, s[44:45]
	global_load_dwordx2 v[10:11], v[22:23], off offset:8
	v_mul_f64 v[4:5], v[4:5], v[6:7]
	v_fmac_f64_e32 v[4:5], v[8:9], v[2:3]
	s_mov_b64 s[44:45], 0
.LBB107_112:                            ; =>This Inner Loop Header: Depth=1
	s_waitcnt vmcnt(0)
	v_add_f64 v[8:9], v[10:11], v[4:5]
	global_atomic_cmpswap_x2 v[2:3], v[22:23], v[8:11], off offset:8 glc
	s_waitcnt vmcnt(0)
	v_cmp_eq_u64_e32 vcc, v[2:3], v[10:11]
	s_or_b64 s[44:45], vcc, s[44:45]
	v_pk_mov_b32 v[10:11], v[2:3], v[2:3] op_sel:[0,1]
	s_andn2_b64 exec, exec, s[44:45]
	s_cbranch_execnz .LBB107_112
; %bb.113:
	s_or_b64 exec, exec, s[44:45]
                                        ; implicit-def: $vgpr2_vgpr3
.LBB107_114:
	s_andn2_saveexec_b64 s[6:7], s[6:7]
	s_cbranch_execz .LBB107_116
; %bb.115:
	v_mov_b32_e32 v4, s27
	v_add_co_u32_e32 v2, vcc, s26, v2
	v_addc_co_u32_e32 v3, vcc, v4, v3, vcc
	global_load_dwordx4 v[2:5], v[2:3], off
	ds_read_b128 v[6:9], v28 offset:4096
	v_subrev_u32_e32 v10, s8, v20
	v_mov_b32_e32 v11, 0x4000
	v_lshl_add_u32 v12, v10, 4, v11
	s_waitcnt vmcnt(0) lgkmcnt(0)
	v_mul_f64 v[10:11], v[4:5], -v[8:9]
	v_mul_f64 v[4:5], v[4:5], v[6:7]
	v_fmac_f64_e32 v[10:11], v[6:7], v[2:3]
	v_fmac_f64_e32 v[4:5], v[8:9], v[2:3]
	ds_add_f64 v12, v[10:11]
	ds_add_f64 v12, v[4:5] offset:8
.LBB107_116:
	s_or_b64 exec, exec, s[42:43]
	v_lshlrev_b64 v[2:3], 4, v[20:21]
	v_mov_b32_e32 v4, s27
	v_add_co_u32_e32 v2, vcc, s26, v2
	v_addc_co_u32_e32 v3, vcc, v4, v3, vcc
	global_load_dwordx4 v[6:9], v[2:3], off
	ds_read_b128 v[10:13], v28 offset:4096
	v_add_co_u32_e32 v2, vcc, 0x200, v14
	v_addc_co_u32_e32 v3, vcc, 0, v15, vcc
	v_pk_mov_b32 v[4:5], s[28:29], s[28:29] op_sel:[0,1]
	s_and_b64 vcc, exec, s[4:5]
	s_waitcnt vmcnt(0) lgkmcnt(0)
	v_mul_f64 v[20:21], v[8:9], -v[12:13]
	v_mul_f64 v[22:23], v[8:9], v[10:11]
	v_fmac_f64_e32 v[20:21], v[10:11], v[6:7]
	v_fmac_f64_e32 v[22:23], v[12:13], v[6:7]
	v_pk_mov_b32 v[6:7], s[40:41], s[40:41] op_sel:[0,1]
	ds_write_b128 v28, v[20:23] offset:4096
	s_cbranch_vccnz .LBB107_120
; %bb.117:
	s_mov_b64 s[42:43], 0
	v_pk_mov_b32 v[4:5], s[28:29], s[28:29] op_sel:[0,1]
	v_pk_mov_b32 v[6:7], s[40:41], s[40:41] op_sel:[0,1]
	v_mov_b32_e32 v8, s21
	v_mov_b32_e32 v9, s33
.LBB107_118:                            ; =>This Inner Loop Header: Depth=1
	v_add_co_u32_e32 v10, vcc, v6, v4
	v_addc_co_u32_e32 v11, vcc, v7, v5, vcc
	v_lshrrev_b32_e32 v12, 31, v11
	v_add_co_u32_e32 v10, vcc, v10, v12
	v_addc_co_u32_e32 v11, vcc, 0, v11, vcc
	v_ashrrev_i64 v[10:11], 1, v[10:11]
	v_lshlrev_b64 v[12:13], 3, v[10:11]
	v_add_co_u32_e32 v12, vcc, s20, v12
	v_addc_co_u32_e32 v13, vcc, v8, v13, vcc
	global_load_dwordx2 v[12:13], v[12:13], off
	s_waitcnt vmcnt(0)
	v_subrev_co_u32_e32 v12, vcc, s36, v12
	v_subb_co_u32_e32 v13, vcc, v13, v9, vcc
	v_cmp_gt_i64_e32 vcc, v[12:13], v[2:3]
	v_cndmask_b32_e32 v6, v6, v10, vcc
	v_cndmask_b32_e32 v7, v7, v11, vcc
	;; [unrolled: 1-line block ×3, first 2 shown]
	v_add_co_u32_e64 v10, s[6:7], -1, v6
	v_cndmask_b32_e32 v5, v11, v5, vcc
	v_addc_co_u32_e64 v11, s[6:7], -1, v7, s[6:7]
	v_cmp_ge_i64_e32 vcc, v[4:5], v[6:7]
	v_cmp_eq_u64_e64 s[6:7], v[4:5], v[10:11]
	s_or_b64 s[6:7], vcc, s[6:7]
	s_and_b64 s[6:7], exec, s[6:7]
	s_or_b64 s[42:43], s[6:7], s[42:43]
	s_andn2_b64 exec, exec, s[42:43]
	s_cbranch_execnz .LBB107_118
; %bb.119:
	s_or_b64 exec, exec, s[42:43]
.LBB107_120:
	v_lshlrev_b64 v[8:9], 3, v[6:7]
	v_mov_b32_e32 v10, s21
	v_add_co_u32_e32 v8, vcc, s20, v8
	v_addc_co_u32_e32 v9, vcc, v10, v9, vcc
	global_load_dwordx2 v[8:9], v[8:9], off
	v_add_co_u32_e32 v10, vcc, 0x1000, v18
	v_addc_co_u32_e32 v11, vcc, 0, v19, vcc
	global_load_dwordx2 v[10:11], v[10:11], off
	v_mov_b32_e32 v12, s33
	s_waitcnt vmcnt(1)
	v_subrev_co_u32_e32 v8, vcc, s36, v8
	v_subb_co_u32_e32 v9, vcc, v9, v12, vcc
	v_cmp_gt_i64_e32 vcc, v[8:9], v[2:3]
	v_cndmask_b32_e32 v5, v7, v5, vcc
	v_cndmask_b32_e32 v4, v6, v4, vcc
	s_waitcnt vmcnt(0)
	v_subrev_co_u32_e32 v14, vcc, s36, v10
	v_subb_co_u32_e32 v15, vcc, v11, v12, vcc
	v_cmp_ne_u64_e32 vcc, v[14:15], v[4:5]
	s_and_saveexec_b64 s[42:43], vcc
	s_cbranch_execz .LBB107_130
; %bb.121:
	s_load_dwordx2 s[6:7], s[22:23], 0x0
	s_waitcnt lgkmcnt(0)
	s_sub_u32 s6, s6, s36
	s_subb_u32 s7, s7, 0
	v_cmp_gt_i64_e32 vcc, s[6:7], v[2:3]
	s_and_b64 exec, exec, vcc
	s_cbranch_execz .LBB107_130
; %bb.122:
	v_cmp_gt_i64_e32 vcc, s[8:9], v[14:15]
	v_cmp_le_i64_e64 s[6:7], s[30:31], v[14:15]
	s_or_b64 s[6:7], vcc, s[6:7]
	v_lshlrev_b64 v[2:3], 4, v[4:5]
	s_and_saveexec_b64 s[44:45], s[6:7]
	s_xor_b64 s[6:7], exec, s[44:45]
	s_cbranch_execz .LBB107_128
; %bb.123:
	v_mov_b32_e32 v4, s27
	v_add_co_u32_e32 v2, vcc, s26, v2
	v_lshlrev_b64 v[6:7], 4, v[14:15]
	v_addc_co_u32_e32 v3, vcc, v4, v3, vcc
	v_mov_b32_e32 v8, s19
	global_load_dwordx4 v[2:5], v[2:3], off
	v_add_co_u32_e32 v20, vcc, s18, v6
	v_addc_co_u32_e32 v21, vcc, v8, v7, vcc
	global_load_dwordx2 v[12:13], v[20:21], off
	ds_read_b128 v[6:9], v28 offset:8192
	s_mov_b64 s[44:45], 0
	s_waitcnt vmcnt(1) lgkmcnt(0)
	v_mul_f64 v[22:23], v[4:5], -v[8:9]
	v_fmac_f64_e32 v[22:23], v[6:7], v[2:3]
.LBB107_124:                            ; =>This Inner Loop Header: Depth=1
	s_waitcnt vmcnt(0)
	v_add_f64 v[10:11], v[12:13], v[22:23]
	global_atomic_cmpswap_x2 v[10:11], v[20:21], v[10:13], off glc
	s_waitcnt vmcnt(0)
	v_cmp_eq_u64_e32 vcc, v[10:11], v[12:13]
	s_or_b64 s[44:45], vcc, s[44:45]
	v_pk_mov_b32 v[12:13], v[10:11], v[10:11] op_sel:[0,1]
	s_andn2_b64 exec, exec, s[44:45]
	s_cbranch_execnz .LBB107_124
; %bb.125:
	s_or_b64 exec, exec, s[44:45]
	global_load_dwordx2 v[10:11], v[20:21], off offset:8
	v_mul_f64 v[4:5], v[4:5], v[6:7]
	v_fmac_f64_e32 v[4:5], v[8:9], v[2:3]
	s_mov_b64 s[44:45], 0
.LBB107_126:                            ; =>This Inner Loop Header: Depth=1
	s_waitcnt vmcnt(0)
	v_add_f64 v[8:9], v[10:11], v[4:5]
	global_atomic_cmpswap_x2 v[2:3], v[20:21], v[8:11], off offset:8 glc
	s_waitcnt vmcnt(0)
	v_cmp_eq_u64_e32 vcc, v[2:3], v[10:11]
	s_or_b64 s[44:45], vcc, s[44:45]
	v_pk_mov_b32 v[10:11], v[2:3], v[2:3] op_sel:[0,1]
	s_andn2_b64 exec, exec, s[44:45]
	s_cbranch_execnz .LBB107_126
; %bb.127:
	s_or_b64 exec, exec, s[44:45]
                                        ; implicit-def: $vgpr2_vgpr3
.LBB107_128:
	s_andn2_saveexec_b64 s[6:7], s[6:7]
	s_cbranch_execz .LBB107_130
; %bb.129:
	v_mov_b32_e32 v4, s27
	v_add_co_u32_e32 v2, vcc, s26, v2
	v_addc_co_u32_e32 v3, vcc, v4, v3, vcc
	global_load_dwordx4 v[2:5], v[2:3], off
	ds_read_b128 v[6:9], v28 offset:8192
	v_subrev_u32_e32 v10, s8, v14
	v_mov_b32_e32 v11, 0x4000
	v_lshl_add_u32 v12, v10, 4, v11
	s_waitcnt vmcnt(0) lgkmcnt(0)
	v_mul_f64 v[10:11], v[4:5], -v[8:9]
	v_mul_f64 v[4:5], v[4:5], v[6:7]
	v_fmac_f64_e32 v[10:11], v[6:7], v[2:3]
	v_fmac_f64_e32 v[4:5], v[8:9], v[2:3]
	ds_add_f64 v12, v[10:11]
	ds_add_f64 v12, v[4:5] offset:8
.LBB107_130:
	s_or_b64 exec, exec, s[42:43]
	v_lshlrev_b64 v[2:3], 4, v[14:15]
	v_mov_b32_e32 v4, s27
	v_add_co_u32_e32 v2, vcc, s26, v2
	v_addc_co_u32_e32 v3, vcc, v4, v3, vcc
	global_load_dwordx4 v[4:7], v[2:3], off
	ds_read_b128 v[8:11], v28 offset:8192
	s_and_b64 vcc, exec, s[4:5]
	v_pk_mov_b32 v[2:3], s[28:29], s[28:29] op_sel:[0,1]
	s_waitcnt vmcnt(0) lgkmcnt(0)
	v_mul_f64 v[12:13], v[6:7], -v[10:11]
	v_mul_f64 v[14:15], v[6:7], v[8:9]
	v_fmac_f64_e32 v[12:13], v[8:9], v[4:5]
	v_fmac_f64_e32 v[14:15], v[10:11], v[4:5]
	v_pk_mov_b32 v[4:5], s[40:41], s[40:41] op_sel:[0,1]
	ds_write_b128 v28, v[12:15] offset:8192
	s_cbranch_vccnz .LBB107_134
; %bb.131:
	s_mov_b64 s[6:7], 0
	v_pk_mov_b32 v[2:3], s[28:29], s[28:29] op_sel:[0,1]
	v_pk_mov_b32 v[4:5], s[40:41], s[40:41] op_sel:[0,1]
	v_mov_b32_e32 v6, s21
	v_mov_b32_e32 v7, s33
.LBB107_132:                            ; =>This Inner Loop Header: Depth=1
	v_add_co_u32_e32 v8, vcc, v4, v2
	v_addc_co_u32_e32 v9, vcc, v5, v3, vcc
	v_lshrrev_b32_e32 v10, 31, v9
	v_add_co_u32_e32 v8, vcc, v8, v10
	v_addc_co_u32_e32 v9, vcc, 0, v9, vcc
	v_ashrrev_i64 v[8:9], 1, v[8:9]
	v_lshlrev_b64 v[10:11], 3, v[8:9]
	v_add_co_u32_e32 v10, vcc, s20, v10
	v_addc_co_u32_e32 v11, vcc, v6, v11, vcc
	global_load_dwordx2 v[10:11], v[10:11], off
	s_waitcnt vmcnt(0)
	v_subrev_co_u32_e32 v10, vcc, s36, v10
	v_subb_co_u32_e32 v11, vcc, v11, v7, vcc
	v_cmp_gt_i64_e32 vcc, v[10:11], v[16:17]
	v_cndmask_b32_e32 v4, v4, v8, vcc
	v_cndmask_b32_e32 v5, v5, v9, vcc
	;; [unrolled: 1-line block ×3, first 2 shown]
	v_add_co_u32_e64 v8, s[4:5], -1, v4
	v_cndmask_b32_e32 v3, v9, v3, vcc
	v_addc_co_u32_e64 v9, s[4:5], -1, v5, s[4:5]
	v_cmp_ge_i64_e32 vcc, v[2:3], v[4:5]
	v_cmp_eq_u64_e64 s[4:5], v[2:3], v[8:9]
	s_or_b64 s[4:5], vcc, s[4:5]
	s_and_b64 s[4:5], exec, s[4:5]
	s_or_b64 s[6:7], s[4:5], s[6:7]
	s_andn2_b64 exec, exec, s[6:7]
	s_cbranch_execnz .LBB107_132
; %bb.133:
	s_or_b64 exec, exec, s[6:7]
.LBB107_134:
	v_lshlrev_b64 v[6:7], 3, v[4:5]
	v_mov_b32_e32 v8, s21
	v_add_co_u32_e32 v6, vcc, s20, v6
	v_addc_co_u32_e32 v7, vcc, v8, v7, vcc
	global_load_dwordx2 v[6:7], v[6:7], off
	v_add_co_u32_e32 v8, vcc, 0x1000, v18
	v_addc_co_u32_e32 v9, vcc, 0, v19, vcc
	global_load_dwordx2 v[8:9], v[8:9], off offset:2048
	v_mov_b32_e32 v10, s33
	s_waitcnt vmcnt(1)
	v_subrev_co_u32_e32 v6, vcc, s36, v6
	v_subb_co_u32_e32 v7, vcc, v7, v10, vcc
	v_cmp_gt_i64_e32 vcc, v[6:7], v[16:17]
	v_cndmask_b32_e32 v3, v5, v3, vcc
	v_cndmask_b32_e32 v2, v4, v2, vcc
	s_waitcnt vmcnt(0)
	v_subrev_co_u32_e32 v14, vcc, s36, v8
	v_subb_co_u32_e32 v15, vcc, v9, v10, vcc
	v_cmp_ne_u64_e32 vcc, v[14:15], v[2:3]
	s_and_saveexec_b64 s[6:7], vcc
	s_cbranch_execz .LBB107_144
; %bb.135:
	s_load_dwordx2 s[4:5], s[22:23], 0x0
	s_waitcnt lgkmcnt(0)
	s_sub_u32 s4, s4, s36
	s_subb_u32 s5, s5, 0
	v_cmp_gt_i64_e32 vcc, s[4:5], v[16:17]
	s_and_b64 exec, exec, vcc
	s_cbranch_execz .LBB107_144
; %bb.136:
	v_cmp_gt_i64_e32 vcc, s[8:9], v[14:15]
	v_cmp_le_i64_e64 s[4:5], s[30:31], v[14:15]
	s_or_b64 s[4:5], vcc, s[4:5]
	v_lshlrev_b64 v[2:3], 4, v[2:3]
	s_and_saveexec_b64 s[22:23], s[4:5]
	s_xor_b64 s[4:5], exec, s[22:23]
	s_cbranch_execz .LBB107_142
; %bb.137:
	v_mov_b32_e32 v4, s27
	v_add_co_u32_e32 v2, vcc, s26, v2
	v_lshlrev_b64 v[6:7], 4, v[14:15]
	v_addc_co_u32_e32 v3, vcc, v4, v3, vcc
	v_mov_b32_e32 v8, s19
	global_load_dwordx4 v[2:5], v[2:3], off
	v_add_co_u32_e32 v16, vcc, s18, v6
	v_addc_co_u32_e32 v17, vcc, v8, v7, vcc
	global_load_dwordx2 v[12:13], v[16:17], off
	ds_read_b128 v[6:9], v28 offset:12288
	s_mov_b64 s[22:23], 0
	s_waitcnt vmcnt(1) lgkmcnt(0)
	v_mul_f64 v[18:19], v[4:5], -v[8:9]
	v_fmac_f64_e32 v[18:19], v[6:7], v[2:3]
.LBB107_138:                            ; =>This Inner Loop Header: Depth=1
	s_waitcnt vmcnt(0)
	v_add_f64 v[10:11], v[12:13], v[18:19]
	global_atomic_cmpswap_x2 v[10:11], v[16:17], v[10:13], off glc
	s_waitcnt vmcnt(0)
	v_cmp_eq_u64_e32 vcc, v[10:11], v[12:13]
	s_or_b64 s[22:23], vcc, s[22:23]
	v_pk_mov_b32 v[12:13], v[10:11], v[10:11] op_sel:[0,1]
	s_andn2_b64 exec, exec, s[22:23]
	s_cbranch_execnz .LBB107_138
; %bb.139:
	s_or_b64 exec, exec, s[22:23]
	global_load_dwordx2 v[10:11], v[16:17], off offset:8
	v_mul_f64 v[4:5], v[4:5], v[6:7]
	v_fmac_f64_e32 v[4:5], v[8:9], v[2:3]
	s_mov_b64 s[22:23], 0
.LBB107_140:                            ; =>This Inner Loop Header: Depth=1
	s_waitcnt vmcnt(0)
	v_add_f64 v[8:9], v[10:11], v[4:5]
	global_atomic_cmpswap_x2 v[2:3], v[16:17], v[8:11], off offset:8 glc
	s_waitcnt vmcnt(0)
	v_cmp_eq_u64_e32 vcc, v[2:3], v[10:11]
	s_or_b64 s[22:23], vcc, s[22:23]
	v_pk_mov_b32 v[10:11], v[2:3], v[2:3] op_sel:[0,1]
	s_andn2_b64 exec, exec, s[22:23]
	s_cbranch_execnz .LBB107_140
; %bb.141:
	s_or_b64 exec, exec, s[22:23]
                                        ; implicit-def: $vgpr2_vgpr3
.LBB107_142:
	s_andn2_saveexec_b64 s[4:5], s[4:5]
	s_cbranch_execz .LBB107_144
; %bb.143:
	v_mov_b32_e32 v4, s27
	v_add_co_u32_e32 v2, vcc, s26, v2
	v_addc_co_u32_e32 v3, vcc, v4, v3, vcc
	global_load_dwordx4 v[2:5], v[2:3], off
	ds_read_b128 v[6:9], v28 offset:12288
	v_subrev_u32_e32 v10, s8, v14
	v_mov_b32_e32 v11, 0x4000
	v_lshl_add_u32 v12, v10, 4, v11
	s_waitcnt vmcnt(0) lgkmcnt(0)
	v_mul_f64 v[10:11], v[4:5], -v[8:9]
	v_mul_f64 v[4:5], v[4:5], v[6:7]
	v_fmac_f64_e32 v[10:11], v[6:7], v[2:3]
	v_fmac_f64_e32 v[4:5], v[8:9], v[2:3]
	ds_add_f64 v12, v[10:11]
	ds_add_f64 v12, v[4:5] offset:8
.LBB107_144:
	s_or_b64 exec, exec, s[6:7]
	v_lshlrev_b64 v[2:3], 4, v[14:15]
	v_mov_b32_e32 v4, s27
	v_add_co_u32_e32 v2, vcc, s26, v2
	v_addc_co_u32_e32 v3, vcc, v4, v3, vcc
	global_load_dwordx4 v[2:5], v[2:3], off
	ds_read_b128 v[6:9], v28 offset:12288
	s_waitcnt vmcnt(0) lgkmcnt(0)
	v_mul_f64 v[10:11], v[4:5], -v[8:9]
	v_mul_f64 v[12:13], v[4:5], v[6:7]
	v_fmac_f64_e32 v[10:11], v[6:7], v[2:3]
	v_fmac_f64_e32 v[12:13], v[8:9], v[2:3]
	ds_write_b128 v28, v[10:13] offset:12288
.LBB107_145:
	s_or_b64 exec, exec, s[24:25]
	v_pk_mov_b32 v[2:3], s[10:11], s[10:11] op_sel:[0,1]
	v_cmp_lt_i64_e32 vcc, s[30:31], v[2:3]
	s_and_b64 s[4:5], vcc, exec
	s_cselect_b32 s22, s30, s10
	s_cselect_b32 s4, s31, s11
	s_sub_u32 s6, s22, s34
	s_subb_u32 s7, s4, s35
	v_cmp_gt_i64_e32 vcc, s[6:7], v[0:1]
	s_waitcnt lgkmcnt(0)
	s_barrier
	s_and_saveexec_b64 s[4:5], vcc
	s_cbranch_execz .LBB107_152
; %bb.146:
	s_lshl_b64 s[8:9], s[8:9], 4
	s_add_u32 s23, s18, s8
	s_addc_u32 s10, s19, s9
	s_mov_b64 s[8:9], 0
	v_mov_b32_e32 v14, s10
	v_mov_b32_e32 v15, 0x4000
	v_pk_mov_b32 v[10:11], v[0:1], v[0:1] op_sel:[0,1]
.LBB107_147:                            ; =>This Loop Header: Depth=1
                                        ;     Child Loop BB107_148 Depth 2
                                        ;     Child Loop BB107_150 Depth 2
	v_lshlrev_b64 v[2:3], 4, v[10:11]
	v_add_co_u32_e32 v12, vcc, s23, v2
	v_addc_co_u32_e32 v13, vcc, v14, v3, vcc
	global_load_dwordx2 v[8:9], v[12:13], off
	v_lshl_add_u32 v2, v10, 4, v15
	ds_read2_b64 v[2:5], v2 offset1:1
	s_mov_b64 s[10:11], 0
.LBB107_148:                            ;   Parent Loop BB107_147 Depth=1
                                        ; =>  This Inner Loop Header: Depth=2
	s_waitcnt vmcnt(0) lgkmcnt(0)
	v_add_f64 v[6:7], v[8:9], v[2:3]
	global_atomic_cmpswap_x2 v[6:7], v[12:13], v[6:9], off glc
	s_waitcnt vmcnt(0)
	v_cmp_eq_u64_e32 vcc, v[6:7], v[8:9]
	s_or_b64 s[10:11], vcc, s[10:11]
	v_pk_mov_b32 v[8:9], v[6:7], v[6:7] op_sel:[0,1]
	s_andn2_b64 exec, exec, s[10:11]
	s_cbranch_execnz .LBB107_148
; %bb.149:                              ;   in Loop: Header=BB107_147 Depth=1
	s_or_b64 exec, exec, s[10:11]
	global_load_dwordx2 v[8:9], v[12:13], off offset:8
	s_mov_b64 s[10:11], 0
.LBB107_150:                            ;   Parent Loop BB107_147 Depth=1
                                        ; =>  This Inner Loop Header: Depth=2
	s_waitcnt vmcnt(0)
	v_add_f64 v[6:7], v[8:9], v[4:5]
	global_atomic_cmpswap_x2 v[2:3], v[12:13], v[6:9], off offset:8 glc
	s_waitcnt vmcnt(0)
	v_cmp_eq_u64_e32 vcc, v[2:3], v[8:9]
	s_or_b64 s[10:11], vcc, s[10:11]
	v_pk_mov_b32 v[8:9], v[2:3], v[2:3] op_sel:[0,1]
	s_andn2_b64 exec, exec, s[10:11]
	s_cbranch_execnz .LBB107_150
; %bb.151:                              ;   in Loop: Header=BB107_147 Depth=1
	s_or_b64 exec, exec, s[10:11]
	v_add_co_u32_e32 v10, vcc, 0x100, v10
	v_addc_co_u32_e32 v11, vcc, 0, v11, vcc
	v_cmp_le_i64_e32 vcc, s[6:7], v[10:11]
	s_or_b64 s[8:9], vcc, s[8:9]
	s_andn2_b64 exec, exec, s[8:9]
	s_cbranch_execnz .LBB107_147
.LBB107_152:
	s_or_b64 exec, exec, s[4:5]
	s_add_i32 s4, s38, -1
	s_ashr_i32 s5, s4, 1
	s_or_b32 s4, s5, s4
	s_ashr_i32 s5, s4, 2
	s_or_b32 s4, s5, s4
	;; [unrolled: 2-line block ×5, first 2 shown]
	s_add_i32 s7, s7, 1
	s_ashr_i32 s24, s7, 1
	v_mov_b32_e32 v2, s29
	v_add_co_u32_e32 v10, vcc, s28, v0
	v_addc_co_u32_e32 v11, vcc, 0, v2, vcc
	s_cmp_gt_i32 s24, 1
	s_mov_b64 s[4:5], -1
	s_barrier
	s_cbranch_scc1 .LBB107_165
; %bb.153:
	v_cmp_gt_i64_e32 vcc, s[30:31], v[10:11]
	s_and_saveexec_b64 s[4:5], vcc
	s_cbranch_execz .LBB107_164
; %bb.154:
	s_sub_i32 s8, s22, s30
	s_lshl_b32 s8, s8, 4
	s_add_i32 s25, s8, 0x4000
	s_lshl_b32 s8, s12, 4
	s_sub_i32 s26, 0, s8
	s_mov_b64 s[8:9], 0
	v_mov_b32_e32 v18, s21
	v_mov_b32_e32 v19, s19
	;; [unrolled: 1-line block ×3, first 2 shown]
	v_pk_mov_b32 v[12:13], v[10:11], v[10:11] op_sel:[0,1]
.LBB107_155:                            ; =>This Loop Header: Depth=1
                                        ;     Child Loop BB107_157 Depth 2
                                        ;     Child Loop BB107_160 Depth 2
	;; [unrolled: 1-line block ×3, first 2 shown]
	v_lshlrev_b64 v[2:3], 3, v[12:13]
	v_add_co_u32_e32 v2, vcc, s20, v2
	v_addc_co_u32_e32 v3, vcc, v18, v3, vcc
	global_load_dwordx4 v[2:5], v[2:3], off
	v_pk_mov_b32 v[14:15], 0, 0
	v_pk_mov_b32 v[6:7], v[14:15], v[14:15] op_sel:[0,1]
	s_waitcnt vmcnt(0)
	v_cmp_lt_i64_e32 vcc, v[2:3], v[4:5]
	s_and_saveexec_b64 s[10:11], vcc
	s_cbranch_execz .LBB107_159
; %bb.156:                              ;   in Loop: Header=BB107_155 Depth=1
	v_mov_b32_e32 v6, s13
	v_subrev_co_u32_e32 v4, vcc, s12, v4
	v_subb_co_u32_e32 v5, vcc, v5, v6, vcc
	v_subrev_co_u32_e32 v8, vcc, s12, v2
	v_pk_mov_b32 v[14:15], 0, 0
	v_subb_co_u32_e32 v9, vcc, v3, v6, vcc
	v_lshl_add_u32 v2, v2, 4, s26
	s_mov_b64 s[22:23], 0
	v_pk_mov_b32 v[6:7], v[14:15], v[14:15] op_sel:[0,1]
.LBB107_157:                            ;   Parent Loop BB107_155 Depth=1
                                        ; =>  This Inner Loop Header: Depth=2
	ds_read_b128 v[22:25], v2
	v_add_co_u32_e32 v8, vcc, 1, v8
	v_addc_co_u32_e32 v9, vcc, 0, v9, vcc
	v_cmp_ge_i64_e32 vcc, v[8:9], v[4:5]
	v_add_u32_e32 v2, 16, v2
	s_or_b64 s[22:23], vcc, s[22:23]
	s_waitcnt lgkmcnt(0)
	v_add_f64 v[6:7], v[6:7], v[22:23]
	v_add_f64 v[14:15], v[14:15], v[24:25]
	s_andn2_b64 exec, exec, s[22:23]
	s_cbranch_execnz .LBB107_157
; %bb.158:                              ;   in Loop: Header=BB107_155 Depth=1
	s_or_b64 exec, exec, s[22:23]
.LBB107_159:                            ;   in Loop: Header=BB107_155 Depth=1
	s_or_b64 exec, exec, s[10:11]
	v_lshlrev_b64 v[2:3], 4, v[12:13]
	v_add_co_u32_e32 v16, vcc, s18, v2
	v_addc_co_u32_e32 v17, vcc, v19, v3, vcc
	global_load_dwordx2 v[8:9], v[16:17], off
	v_lshl_add_u32 v2, v12, 4, s25
	ds_read2_b64 v[2:5], v2 offset1:1
	s_mov_b64 s[10:11], 0
	s_waitcnt lgkmcnt(0)
	v_add_f64 v[2:3], v[6:7], v[2:3]
.LBB107_160:                            ;   Parent Loop BB107_155 Depth=1
                                        ; =>  This Inner Loop Header: Depth=2
	s_waitcnt vmcnt(0)
	v_add_f64 v[6:7], v[8:9], v[2:3]
	global_atomic_cmpswap_x2 v[6:7], v[16:17], v[6:9], off glc
	s_waitcnt vmcnt(0)
	v_cmp_eq_u64_e32 vcc, v[6:7], v[8:9]
	s_or_b64 s[10:11], vcc, s[10:11]
	v_pk_mov_b32 v[8:9], v[6:7], v[6:7] op_sel:[0,1]
	s_andn2_b64 exec, exec, s[10:11]
	s_cbranch_execnz .LBB107_160
; %bb.161:                              ;   in Loop: Header=BB107_155 Depth=1
	s_or_b64 exec, exec, s[10:11]
	global_load_dwordx2 v[6:7], v[16:17], off offset:8
	v_add_f64 v[2:3], v[14:15], v[4:5]
	s_mov_b64 s[10:11], 0
.LBB107_162:                            ;   Parent Loop BB107_155 Depth=1
                                        ; =>  This Inner Loop Header: Depth=2
	s_waitcnt vmcnt(0)
	v_add_f64 v[4:5], v[6:7], v[2:3]
	global_atomic_cmpswap_x2 v[4:5], v[16:17], v[4:7], off offset:8 glc
	s_waitcnt vmcnt(0)
	v_cmp_eq_u64_e32 vcc, v[4:5], v[6:7]
	s_or_b64 s[10:11], vcc, s[10:11]
	v_pk_mov_b32 v[6:7], v[4:5], v[4:5] op_sel:[0,1]
	s_andn2_b64 exec, exec, s[10:11]
	s_cbranch_execnz .LBB107_162
; %bb.163:                              ;   in Loop: Header=BB107_155 Depth=1
	s_or_b64 exec, exec, s[10:11]
	v_add_co_u32_e32 v12, vcc, s16, v12
	v_addc_co_u32_e32 v13, vcc, v13, v20, vcc
	v_cmp_le_i64_e32 vcc, s[30:31], v[12:13]
	s_or_b64 s[8:9], vcc, s[8:9]
	s_andn2_b64 exec, exec, s[8:9]
	s_cbranch_execnz .LBB107_155
.LBB107_164:
	s_or_b64 exec, exec, s[4:5]
	s_mov_b64 s[4:5], 0
.LBB107_165:
	s_andn2_b64 vcc, exec, s[4:5]
	s_cbranch_vccnz .LBB107_196
; %bb.166:
	v_cvt_f32_u32_e32 v14, s24
	s_sub_i32 s10, 0, s24
	v_mov_b32_e32 v7, 0
	v_mov_b32_e32 v4, s15
	v_rcp_iflag_f32_e32 v2, v14
	v_mov_b32_e32 v12, s13
	v_mul_f32_e32 v2, 0x4f7ffffe, v2
	v_cvt_u32_f32_e32 v2, v2
	v_mul_lo_u32 v3, s10, v2
	v_mul_hi_u32 v3, v2, v3
	v_add_u32_e32 v2, v2, v3
	v_mul_hi_u32 v2, v0, v2
	v_mul_lo_u32 v3, v2, s24
	v_sub_u32_e32 v3, v0, v3
	v_add_u32_e32 v5, 1, v2
	v_cmp_le_u32_e32 vcc, s24, v3
	v_cndmask_b32_e32 v2, v2, v5, vcc
	v_subrev_u32_e32 v5, s24, v3
	v_cndmask_b32_e32 v3, v3, v5, vcc
	v_add_u32_e32 v5, 1, v2
	v_cmp_le_u32_e32 vcc, s24, v3
	v_cndmask_b32_e32 v6, v2, v5, vcc
	v_lshlrev_b64 v[2:3], 3, v[6:7]
	v_add_co_u32_e32 v2, vcc, s14, v2
	v_addc_co_u32_e32 v3, vcc, v4, v3, vcc
	global_load_dwordx4 v[2:5], v[2:3], off
	s_waitcnt vmcnt(0)
	v_subrev_co_u32_e32 v8, vcc, s12, v2
	v_subb_co_u32_e32 v9, vcc, v3, v12, vcc
	v_subrev_co_u32_e32 v20, vcc, s12, v4
	v_subb_co_u32_e32 v21, vcc, v5, v12, vcc
	v_sub_co_u32_e32 v3, vcc, v20, v8
	v_subb_co_u32_e32 v5, vcc, v21, v9, vcc
	v_mov_b32_e32 v4, v7
	v_cmp_ne_u64_e32 vcc, 0, v[4:5]
                                        ; implicit-def: $vgpr12_vgpr13
	s_and_saveexec_b64 s[4:5], vcc
	s_xor_b64 s[8:9], exec, s[4:5]
	s_cbranch_execz .LBB107_168
; %bb.167:
	v_cvt_f32_ubyte0_e32 v4, 0
	v_madmk_f32 v4, v4, 0x4f800000, v14
	v_rcp_f32_e32 v4, v4
	s_sub_u32 s4, 0, s24
	s_subb_u32 s5, 0, 0
	v_mul_f32_e32 v4, 0x5f7ffffc, v4
	v_mul_f32_e32 v12, 0x2f800000, v4
	v_trunc_f32_e32 v12, v12
	v_madmk_f32 v4, v12, 0xcf800000, v4
	v_cvt_u32_f32_e32 v12, v12
	v_cvt_u32_f32_e32 v4, v4
	v_mul_lo_u32 v13, s4, v12
	v_mul_hi_u32 v15, s4, v4
	v_mul_lo_u32 v14, s5, v4
	v_add_u32_e32 v13, v15, v13
	v_add_u32_e32 v13, v13, v14
	v_mul_lo_u32 v16, s4, v4
	v_mul_lo_u32 v15, v4, v13
	v_mul_hi_u32 v17, v4, v16
	v_mul_hi_u32 v14, v4, v13
	v_add_co_u32_e32 v15, vcc, v17, v15
	v_addc_co_u32_e32 v14, vcc, 0, v14, vcc
	v_mul_hi_u32 v18, v12, v16
	v_mul_lo_u32 v16, v12, v16
	v_add_co_u32_e32 v15, vcc, v15, v16
	v_mul_hi_u32 v17, v12, v13
	v_addc_co_u32_e32 v14, vcc, v14, v18, vcc
	v_addc_co_u32_e32 v15, vcc, 0, v17, vcc
	v_mul_lo_u32 v13, v12, v13
	v_add_co_u32_e32 v13, vcc, v14, v13
	v_addc_co_u32_e32 v14, vcc, 0, v15, vcc
	v_add_co_u32_e32 v4, vcc, v4, v13
	v_addc_co_u32_e32 v12, vcc, v12, v14, vcc
	v_mul_lo_u32 v13, s4, v12
	v_mul_hi_u32 v14, s4, v4
	v_add_u32_e32 v13, v14, v13
	v_mul_lo_u32 v14, s5, v4
	v_add_u32_e32 v13, v13, v14
	v_mul_lo_u32 v15, s4, v4
	v_mul_hi_u32 v16, v12, v15
	v_mul_lo_u32 v17, v12, v15
	v_mul_lo_u32 v19, v4, v13
	v_mul_hi_u32 v15, v4, v15
	v_mul_hi_u32 v18, v4, v13
	v_add_co_u32_e32 v15, vcc, v15, v19
	v_addc_co_u32_e32 v18, vcc, 0, v18, vcc
	v_add_co_u32_e32 v15, vcc, v15, v17
	v_mul_hi_u32 v14, v12, v13
	v_addc_co_u32_e32 v15, vcc, v18, v16, vcc
	v_addc_co_u32_e32 v14, vcc, 0, v14, vcc
	v_mul_lo_u32 v13, v12, v13
	v_add_co_u32_e32 v13, vcc, v15, v13
	v_addc_co_u32_e32 v14, vcc, 0, v14, vcc
	v_add_co_u32_e32 v13, vcc, v4, v13
	v_addc_co_u32_e32 v12, vcc, v12, v14, vcc
	v_ashrrev_i32_e32 v14, 31, v5
	v_add_co_u32_e32 v3, vcc, v3, v14
	v_addc_co_u32_e32 v4, vcc, v5, v14, vcc
	v_xor_b32_e32 v3, v3, v14
	v_xor_b32_e32 v15, v4, v14
	v_mad_u64_u32 v[4:5], s[4:5], v3, v12, 0
	v_mul_hi_u32 v16, v3, v13
	v_add_co_u32_e32 v16, vcc, v16, v4
	v_addc_co_u32_e32 v17, vcc, 0, v5, vcc
	v_mad_u64_u32 v[4:5], s[4:5], v15, v12, 0
	v_mad_u64_u32 v[12:13], s[4:5], v15, v13, 0
	v_add_co_u32_e32 v12, vcc, v16, v12
	v_addc_co_u32_e32 v12, vcc, v17, v13, vcc
	v_addc_co_u32_e32 v5, vcc, 0, v5, vcc
	v_add_co_u32_e32 v16, vcc, v12, v4
	v_addc_co_u32_e32 v17, vcc, 0, v5, vcc
	v_mad_u64_u32 v[4:5], s[4:5], s24, v16, 0
	v_mov_b32_e32 v12, v5
	v_mad_u64_u32 v[12:13], s[4:5], s24, v17, v[12:13]
	v_sub_co_u32_e32 v3, vcc, v3, v4
	v_subb_co_u32_e32 v4, vcc, v15, v12, vcc
	v_subrev_co_u32_e32 v5, vcc, s24, v3
	v_subbrev_co_u32_e32 v12, vcc, 0, v4, vcc
	v_cmp_le_u32_e32 vcc, s24, v5
	v_cndmask_b32_e64 v5, 0, -1, vcc
	v_cmp_eq_u32_e32 vcc, 0, v12
	v_cndmask_b32_e32 v5, -1, v5, vcc
	v_add_co_u32_e32 v12, vcc, 2, v16
	v_addc_co_u32_e32 v13, vcc, 0, v17, vcc
	v_add_co_u32_e32 v15, vcc, 1, v16
	v_cmp_le_u32_e64 s[4:5], s24, v3
	v_addc_co_u32_e32 v18, vcc, 0, v17, vcc
	v_cndmask_b32_e64 v3, 0, -1, s[4:5]
	v_cmp_eq_u32_e64 s[4:5], 0, v4
	v_cmp_ne_u32_e32 vcc, 0, v5
	v_cndmask_b32_e64 v3, -1, v3, s[4:5]
	v_cmp_ne_u32_e64 s[4:5], 0, v3
	v_cndmask_b32_e32 v4, v15, v12, vcc
	v_cndmask_b32_e32 v5, v18, v13, vcc
	v_cndmask_b32_e64 v4, v16, v4, s[4:5]
	v_cndmask_b32_e64 v3, v17, v5, s[4:5]
	v_xor_b32_e32 v4, v4, v14
	v_xor_b32_e32 v3, v3, v14
	v_sub_co_u32_e32 v12, vcc, v4, v14
	v_subb_co_u32_e32 v13, vcc, v3, v14, vcc
                                        ; implicit-def: $vgpr3
.LBB107_168:
	s_andn2_saveexec_b64 s[4:5], s[8:9]
	s_cbranch_execz .LBB107_170
; %bb.169:
	v_cvt_f32_u32_e32 v4, s24
	v_mov_b32_e32 v13, 0
	v_rcp_iflag_f32_e32 v4, v4
	v_mul_f32_e32 v4, 0x4f7ffffe, v4
	v_cvt_u32_f32_e32 v4, v4
	v_mul_lo_u32 v5, s10, v4
	v_mul_hi_u32 v5, v4, v5
	v_add_u32_e32 v4, v4, v5
	v_mul_hi_u32 v4, v3, v4
	v_mul_lo_u32 v5, v4, s24
	v_sub_u32_e32 v3, v3, v5
	v_add_u32_e32 v12, 1, v4
	v_subrev_u32_e32 v5, s24, v3
	v_cmp_le_u32_e32 vcc, s24, v3
	v_cndmask_b32_e32 v3, v3, v5, vcc
	v_cndmask_b32_e32 v4, v4, v12, vcc
	v_add_u32_e32 v5, 1, v4
	v_cmp_le_u32_e32 vcc, s24, v3
	v_cndmask_b32_e32 v12, v4, v5, vcc
.LBB107_170:
	s_or_b64 exec, exec, s[4:5]
	v_cmp_gt_i64_e32 vcc, s[34:35], v[6:7]
	v_pk_mov_b32 v[6:7], 0, 0
	v_pk_mov_b32 v[4:5], v[6:7], v[6:7] op_sel:[0,1]
	s_and_saveexec_b64 s[4:5], vcc
	s_cbranch_execz .LBB107_184
; %bb.171:
	s_add_i32 s8, s24, -1
	v_pk_mov_b32 v[6:7], 0, 0
	v_and_b32_e32 v14, s8, v0
	v_cmp_lt_i64_e32 vcc, 0, v[12:13]
	v_pk_mov_b32 v[4:5], v[6:7], v[6:7] op_sel:[0,1]
	s_and_saveexec_b64 s[8:9], vcc
	s_cbranch_execz .LBB107_181
; %bb.172:
	v_pk_mov_b32 v[4:5], 0, 0
	v_cmp_lt_u64_e32 vcc, 3, v[12:13]
	v_pk_mov_b32 v[16:17], 0, 0
	v_pk_mov_b32 v[6:7], v[4:5], v[4:5] op_sel:[0,1]
	s_and_saveexec_b64 s[10:11], vcc
	s_cbranch_execz .LBB107_176
; %bb.173:
	v_add_u32_e32 v3, v14, v2
	v_subrev_u32_e32 v3, s12, v3
	v_pk_mov_b32 v[6:7], 0, 0
	v_and_b32_e32 v17, 0x7fffffff, v13
	v_and_b32_e32 v16, -4, v12
	v_lshlrev_b32_e32 v3, 4, v3
	s_lshl_b32 s13, s24, 6
	s_lshl_b32 s20, s24, 4
	s_mov_b64 s[14:15], 0
	s_mov_b64 s[16:17], 0
	v_pk_mov_b32 v[4:5], v[6:7], v[6:7] op_sel:[0,1]
.LBB107_174:                            ; =>This Inner Loop Header: Depth=1
	ds_read_b128 v[22:25], v3
	v_add_u32_e32 v15, s20, v3
	v_add_u32_e32 v18, s20, v15
	ds_read_b128 v[30:33], v15
	ds_read_b128 v[34:37], v18
	v_add_u32_e32 v15, s20, v18
	ds_read_b128 v[38:41], v15
	s_add_u32 s16, s16, 4
	s_waitcnt lgkmcnt(3)
	v_add_f64 v[4:5], v[4:5], v[22:23]
	v_add_f64 v[6:7], v[6:7], v[24:25]
	s_addc_u32 s17, s17, 0
	s_waitcnt lgkmcnt(2)
	v_add_f64 v[4:5], v[4:5], v[30:31]
	v_add_f64 v[6:7], v[6:7], v[32:33]
	v_cmp_eq_u64_e32 vcc, s[16:17], v[16:17]
	s_waitcnt lgkmcnt(1)
	v_add_f64 v[4:5], v[4:5], v[34:35]
	v_add_f64 v[6:7], v[6:7], v[36:37]
	v_add_u32_e32 v3, s13, v3
	s_or_b64 s[14:15], vcc, s[14:15]
	s_waitcnt lgkmcnt(0)
	v_add_f64 v[4:5], v[4:5], v[38:39]
	v_add_f64 v[6:7], v[6:7], v[40:41]
	s_andn2_b64 exec, exec, s[14:15]
	s_cbranch_execnz .LBB107_174
; %bb.175:
	s_or_b64 exec, exec, s[14:15]
.LBB107_176:
	s_or_b64 exec, exec, s[10:11]
	v_and_b32_e32 v18, 3, v12
	v_mov_b32_e32 v19, 0
	s_mov_b64 s[14:15], 0
	v_cmp_ne_u64_e32 vcc, 0, v[18:19]
	s_and_saveexec_b64 s[10:11], vcc
	s_cbranch_execz .LBB107_180
; %bb.177:
	v_mul_lo_u32 v3, s24, v16
	v_add3_u32 v2, v14, v3, v2
	v_subrev_u32_e32 v2, s12, v2
	v_lshlrev_b32_e32 v2, 4, v2
	s_lshl_b32 s12, s24, 4
.LBB107_178:                            ; =>This Inner Loop Header: Depth=1
	ds_read_b128 v[22:25], v2
	v_add_co_u32_e32 v18, vcc, -1, v18
	v_addc_co_u32_e32 v19, vcc, -1, v19, vcc
	v_cmp_eq_u64_e32 vcc, 0, v[18:19]
	v_add_u32_e32 v2, s12, v2
	s_or_b64 s[14:15], vcc, s[14:15]
	s_waitcnt lgkmcnt(0)
	v_add_f64 v[4:5], v[4:5], v[22:23]
	v_add_f64 v[6:7], v[6:7], v[24:25]
	s_andn2_b64 exec, exec, s[14:15]
	s_cbranch_execnz .LBB107_178
; %bb.179:
	s_or_b64 exec, exec, s[14:15]
.LBB107_180:
	s_or_b64 exec, exec, s[10:11]
.LBB107_181:
	s_or_b64 exec, exec, s[8:9]
	v_mad_u64_u32 v[2:3], s[8:9], v12, s24, v[8:9]
	v_mov_b32_e32 v8, v3
	v_mad_u64_u32 v[8:9], s[8:9], v13, s24, v[8:9]
	v_mov_b32_e32 v3, v8
	v_sub_co_u32_e32 v8, vcc, v20, v2
	v_mov_b32_e32 v15, 0
	v_subb_co_u32_e32 v9, vcc, v21, v3, vcc
	v_cmp_gt_i64_e32 vcc, v[8:9], v[14:15]
	s_and_saveexec_b64 s[8:9], vcc
	s_cbranch_execz .LBB107_183
; %bb.182:
	v_add_lshl_u32 v2, v14, v2, 4
	ds_read_b128 v[12:15], v2
	s_waitcnt lgkmcnt(0)
	v_add_f64 v[4:5], v[4:5], v[12:13]
	v_add_f64 v[6:7], v[6:7], v[14:15]
.LBB107_183:
	s_or_b64 exec, exec, s[8:9]
.LBB107_184:
	s_or_b64 exec, exec, s[4:5]
	v_cmp_gt_i64_e32 vcc, s[34:35], v[0:1]
	s_barrier
	ds_write_b128 v28, v[4:7]
	s_waitcnt lgkmcnt(0)
	s_barrier
	s_and_b64 exec, exec, vcc
	s_cbranch_execz .LBB107_196
; %bb.185:
	v_mul_lo_u32 v1, s24, v0
	s_cmp_lt_u32 s24, 8
	v_pk_mov_b32 v[4:5], 0, 0
	s_cbranch_scc1 .LBB107_188
; %bb.186:
	v_pk_mov_b32 v[8:9], 0, 0
	s_and_b32 s4, s24, 0x7ffffff8
	v_lshlrev_b32_e32 v2, 4, v1
	s_mov_b32 s5, 0
	v_pk_mov_b32 v[4:5], v[8:9], v[8:9] op_sel:[0,1]
.LBB107_187:                            ; =>This Inner Loop Header: Depth=1
	ds_read_b128 v[12:15], v2
	ds_read_b128 v[16:19], v2 offset:16
	ds_read_b128 v[20:23], v2 offset:32
	;; [unrolled: 1-line block ×7, first 2 shown]
	s_waitcnt lgkmcnt(7)
	v_add_f64 v[4:5], v[4:5], v[12:13]
	v_add_f64 v[6:7], v[8:9], v[14:15]
	s_waitcnt lgkmcnt(6)
	v_add_f64 v[4:5], v[4:5], v[16:17]
	v_add_f64 v[6:7], v[6:7], v[18:19]
	;; [unrolled: 3-line block ×6, first 2 shown]
	s_add_i32 s5, s5, 8
	s_waitcnt lgkmcnt(1)
	v_add_f64 v[4:5], v[4:5], v[36:37]
	v_add_f64 v[6:7], v[6:7], v[38:39]
	v_add_u32_e32 v2, 0x80, v2
	s_cmp_eq_u32 s4, s5
	s_waitcnt lgkmcnt(0)
	v_add_f64 v[4:5], v[4:5], v[40:41]
	v_add_f64 v[8:9], v[6:7], v[42:43]
	s_cbranch_scc0 .LBB107_187
	s_branch .LBB107_189
.LBB107_188:
	s_mov_b32 s4, 0
	v_pk_mov_b32 v[8:9], v[4:5], v[4:5] op_sel:[0,1]
.LBB107_189:
	s_bfe_u32 s5, s7, 0x30001
	s_cmp_eq_u32 s5, 0
	s_cbranch_scc1 .LBB107_192
; %bb.190:
	v_add_lshl_u32 v1, s4, v1, 4
.LBB107_191:                            ; =>This Inner Loop Header: Depth=1
	ds_read_b128 v[12:15], v1
	s_add_i32 s5, s5, -1
	v_add_u32_e32 v1, 16, v1
	s_cmp_lg_u32 s5, 0
	s_waitcnt lgkmcnt(0)
	v_add_f64 v[4:5], v[4:5], v[12:13]
	v_add_f64 v[8:9], v[8:9], v[14:15]
	s_cbranch_scc1 .LBB107_191
.LBB107_192:
	v_lshlrev_b64 v[2:3], 4, v[10:11]
	v_mov_b32_e32 v1, s19
	v_add_co_u32_e32 v10, vcc, s18, v2
	v_addc_co_u32_e32 v11, vcc, v1, v3, vcc
	global_load_dwordx2 v[6:7], v[10:11], off
	s_lshl_b32 s4, s6, 4
	s_addk_i32 s4, 0x4000
	v_lshl_add_u32 v0, v0, 4, s4
	ds_read2_b64 v[0:3], v0 offset1:1
	s_mov_b64 s[4:5], 0
	s_waitcnt lgkmcnt(0)
	v_add_f64 v[0:1], v[4:5], v[0:1]
.LBB107_193:                            ; =>This Inner Loop Header: Depth=1
	s_waitcnt vmcnt(0)
	v_add_f64 v[4:5], v[6:7], v[0:1]
	global_atomic_cmpswap_x2 v[4:5], v[10:11], v[4:7], off glc
	s_waitcnt vmcnt(0)
	v_cmp_eq_u64_e32 vcc, v[4:5], v[6:7]
	s_or_b64 s[4:5], vcc, s[4:5]
	v_pk_mov_b32 v[6:7], v[4:5], v[4:5] op_sel:[0,1]
	s_andn2_b64 exec, exec, s[4:5]
	s_cbranch_execnz .LBB107_193
; %bb.194:
	s_or_b64 exec, exec, s[4:5]
	global_load_dwordx2 v[4:5], v[10:11], off offset:8
	v_add_f64 v[0:1], v[8:9], v[2:3]
	s_mov_b64 s[4:5], 0
.LBB107_195:                            ; =>This Inner Loop Header: Depth=1
	s_waitcnt vmcnt(0)
	v_add_f64 v[2:3], v[4:5], v[0:1]
	global_atomic_cmpswap_x2 v[2:3], v[10:11], v[2:5], off offset:8 glc
	s_waitcnt vmcnt(0)
	v_cmp_eq_u64_e32 vcc, v[2:3], v[4:5]
	s_or_b64 s[4:5], vcc, s[4:5]
	v_pk_mov_b32 v[4:5], v[2:3], v[2:3] op_sel:[0,1]
	s_andn2_b64 exec, exec, s[4:5]
	s_cbranch_execnz .LBB107_195
.LBB107_196:
	s_endpgm
	.section	.rodata,"a",@progbits
	.p2align	6, 0x0
	.amdhsa_kernel _ZN9rocsparseL27csrmvn_symm_adaptive_kernelIlld21rocsparse_complex_numIdES2_S2_EEvbT_S3_PKS3_NS_24const_host_device_scalarIT4_EES5_PKT0_PKT1_PKT2_S8_PT3_21rocsparse_index_base_b
		.amdhsa_group_segment_fixed_size 16384
		.amdhsa_private_segment_fixed_size 24
		.amdhsa_kernarg_size 368
		.amdhsa_user_sgpr_count 8
		.amdhsa_user_sgpr_private_segment_buffer 1
		.amdhsa_user_sgpr_dispatch_ptr 0
		.amdhsa_user_sgpr_queue_ptr 0
		.amdhsa_user_sgpr_kernarg_segment_ptr 1
		.amdhsa_user_sgpr_dispatch_id 0
		.amdhsa_user_sgpr_flat_scratch_init 1
		.amdhsa_user_sgpr_kernarg_preload_length 0
		.amdhsa_user_sgpr_kernarg_preload_offset 0
		.amdhsa_user_sgpr_private_segment_size 0
		.amdhsa_uses_dynamic_stack 0
		.amdhsa_system_sgpr_private_segment_wavefront_offset 1
		.amdhsa_system_sgpr_workgroup_id_x 1
		.amdhsa_system_sgpr_workgroup_id_y 0
		.amdhsa_system_sgpr_workgroup_id_z 0
		.amdhsa_system_sgpr_workgroup_info 0
		.amdhsa_system_vgpr_workitem_id 0
		.amdhsa_next_free_vgpr 44
		.amdhsa_next_free_sgpr 56
		.amdhsa_accum_offset 44
		.amdhsa_reserve_vcc 1
		.amdhsa_reserve_flat_scratch 1
		.amdhsa_float_round_mode_32 0
		.amdhsa_float_round_mode_16_64 0
		.amdhsa_float_denorm_mode_32 3
		.amdhsa_float_denorm_mode_16_64 3
		.amdhsa_dx10_clamp 1
		.amdhsa_ieee_mode 1
		.amdhsa_fp16_overflow 0
		.amdhsa_tg_split 0
		.amdhsa_exception_fp_ieee_invalid_op 0
		.amdhsa_exception_fp_denorm_src 0
		.amdhsa_exception_fp_ieee_div_zero 0
		.amdhsa_exception_fp_ieee_overflow 0
		.amdhsa_exception_fp_ieee_underflow 0
		.amdhsa_exception_fp_ieee_inexact 0
		.amdhsa_exception_int_div_zero 0
	.end_amdhsa_kernel
	.section	.text._ZN9rocsparseL27csrmvn_symm_adaptive_kernelIlld21rocsparse_complex_numIdES2_S2_EEvbT_S3_PKS3_NS_24const_host_device_scalarIT4_EES5_PKT0_PKT1_PKT2_S8_PT3_21rocsparse_index_base_b,"axG",@progbits,_ZN9rocsparseL27csrmvn_symm_adaptive_kernelIlld21rocsparse_complex_numIdES2_S2_EEvbT_S3_PKS3_NS_24const_host_device_scalarIT4_EES5_PKT0_PKT1_PKT2_S8_PT3_21rocsparse_index_base_b,comdat
.Lfunc_end107:
	.size	_ZN9rocsparseL27csrmvn_symm_adaptive_kernelIlld21rocsparse_complex_numIdES2_S2_EEvbT_S3_PKS3_NS_24const_host_device_scalarIT4_EES5_PKT0_PKT1_PKT2_S8_PT3_21rocsparse_index_base_b, .Lfunc_end107-_ZN9rocsparseL27csrmvn_symm_adaptive_kernelIlld21rocsparse_complex_numIdES2_S2_EEvbT_S3_PKS3_NS_24const_host_device_scalarIT4_EES5_PKT0_PKT1_PKT2_S8_PT3_21rocsparse_index_base_b
                                        ; -- End function
	.section	.AMDGPU.csdata,"",@progbits
; Kernel info:
; codeLenInByte = 10308
; NumSgprs: 62
; NumVgprs: 44
; NumAgprs: 0
; TotalNumVgprs: 44
; ScratchSize: 24
; MemoryBound: 0
; FloatMode: 240
; IeeeMode: 1
; LDSByteSize: 16384 bytes/workgroup (compile time only)
; SGPRBlocks: 7
; VGPRBlocks: 5
; NumSGPRsForWavesPerEU: 62
; NumVGPRsForWavesPerEU: 44
; AccumOffset: 44
; Occupancy: 4
; WaveLimiterHint : 1
; COMPUTE_PGM_RSRC2:SCRATCH_EN: 1
; COMPUTE_PGM_RSRC2:USER_SGPR: 8
; COMPUTE_PGM_RSRC2:TRAP_HANDLER: 0
; COMPUTE_PGM_RSRC2:TGID_X_EN: 1
; COMPUTE_PGM_RSRC2:TGID_Y_EN: 0
; COMPUTE_PGM_RSRC2:TGID_Z_EN: 0
; COMPUTE_PGM_RSRC2:TIDIG_COMP_CNT: 0
; COMPUTE_PGM_RSRC3_GFX90A:ACCUM_OFFSET: 10
; COMPUTE_PGM_RSRC3_GFX90A:TG_SPLIT: 0
	.section	.text._ZL33csrmvn_symm_large_adaptive_kernelIlld21rocsparse_complex_numIdES1_S1_EvbT_PKS2_N9rocsparse24const_host_device_scalarIT4_EES4_PKT0_PKT1_PKT2_S8_PT3_21rocsparse_index_base_b,"axG",@progbits,_ZL33csrmvn_symm_large_adaptive_kernelIlld21rocsparse_complex_numIdES1_S1_EvbT_PKS2_N9rocsparse24const_host_device_scalarIT4_EES4_PKT0_PKT1_PKT2_S8_PT3_21rocsparse_index_base_b,comdat
	.globl	_ZL33csrmvn_symm_large_adaptive_kernelIlld21rocsparse_complex_numIdES1_S1_EvbT_PKS2_N9rocsparse24const_host_device_scalarIT4_EES4_PKT0_PKT1_PKT2_S8_PT3_21rocsparse_index_base_b ; -- Begin function _ZL33csrmvn_symm_large_adaptive_kernelIlld21rocsparse_complex_numIdES1_S1_EvbT_PKS2_N9rocsparse24const_host_device_scalarIT4_EES4_PKT0_PKT1_PKT2_S8_PT3_21rocsparse_index_base_b
	.p2align	8
	.type	_ZL33csrmvn_symm_large_adaptive_kernelIlld21rocsparse_complex_numIdES1_S1_EvbT_PKS2_N9rocsparse24const_host_device_scalarIT4_EES4_PKT0_PKT1_PKT2_S8_PT3_21rocsparse_index_base_b,@function
_ZL33csrmvn_symm_large_adaptive_kernelIlld21rocsparse_complex_numIdES1_S1_EvbT_PKS2_N9rocsparse24const_host_device_scalarIT4_EES4_PKT0_PKT1_PKT2_S8_PT3_21rocsparse_index_base_b: ; @_ZL33csrmvn_symm_large_adaptive_kernelIlld21rocsparse_complex_numIdES1_S1_EvbT_PKS2_N9rocsparse24const_host_device_scalarIT4_EES4_PKT0_PKT1_PKT2_S8_PT3_21rocsparse_index_base_b
; %bb.0:
	s_add_u32 flat_scratch_lo, s6, s9
	s_addc_u32 flat_scratch_hi, s7, 0
	s_load_dwordx2 s[28:29], s[4:5], 0x60
	s_load_dwordx4 s[16:19], s[4:5], 0x18
	s_load_dwordx4 s[12:15], s[4:5], 0x48
	s_add_u32 s0, s0, s9
	s_addc_u32 s1, s1, 0
	s_waitcnt lgkmcnt(0)
	s_bitcmp1_b32 s29, 0
	v_mov_b32_e32 v1, 0
	v_mov_b32_e32 v3, s16
	s_cselect_b64 s[6:7], -1, 0
	v_cndmask_b32_e64 v2, v3, v1, s[6:7]
	v_mov_b32_e32 v1, s17
	s_mov_b64 s[10:11], src_private_base
	s_and_b64 vcc, s[6:7], exec
	buffer_store_dword v1, off, s[0:3], 0 offset:4
	buffer_store_dword v3, off, s[0:3], 0
	v_mov_b32_e32 v1, s13
	s_cselect_b32 s9, s11, s17
	buffer_store_dword v1, off, s[0:3], 0 offset:12
	v_mov_b32_e32 v1, s12
	buffer_store_dword v1, off, s[0:3], 0 offset:8
	v_mov_b32_e32 v3, s9
	flat_load_dwordx2 v[8:9], v[2:3]
	s_xor_b64 s[20:21], s[6:7], -1
	v_pk_mov_b32 v[10:11], s[18:19], s[18:19] op_sel:[0,1]
	s_cbranch_vccnz .LBB108_2
; %bb.1:
	v_pk_mov_b32 v[2:3], s[16:17], s[16:17] op_sel:[0,1]
	flat_load_dwordx2 v[10:11], v[2:3] offset:8
.LBB108_2:
	s_and_b64 s[16:17], s[6:7], exec
	s_cselect_b32 s9, s11, s13
	v_mov_b32_e32 v1, 8
	v_mov_b32_e32 v2, s12
	v_cndmask_b32_e64 v2, v2, v1, s[6:7]
	v_mov_b32_e32 v3, s9
	flat_load_dwordx2 v[2:3], v[2:3]
	s_andn2_b64 vcc, exec, s[20:21]
	v_pk_mov_b32 v[4:5], s[14:15], s[14:15] op_sel:[0,1]
	s_cbranch_vccnz .LBB108_4
; %bb.3:
	v_pk_mov_b32 v[4:5], s[12:13], s[12:13] op_sel:[0,1]
	flat_load_dwordx2 v[4:5], v[4:5] offset:8
.LBB108_4:
	s_waitcnt vmcnt(0) lgkmcnt(0)
	v_cmp_eq_f64_e32 vcc, 0, v[8:9]
	v_cmp_eq_f64_e64 s[6:7], 0, v[10:11]
	s_and_b64 s[12:13], vcc, s[6:7]
	s_mov_b64 s[6:7], -1
	s_and_saveexec_b64 s[10:11], s[12:13]
; %bb.5:
	v_cmp_neq_f64_e32 vcc, 1.0, v[2:3]
	v_cmp_neq_f64_e64 s[6:7], 0, v[4:5]
	s_or_b64 s[6:7], vcc, s[6:7]
	s_orn2_b64 s[6:7], s[6:7], exec
; %bb.6:
	s_or_b64 exec, exec, s[10:11]
	s_and_saveexec_b64 s[10:11], s[6:7]
	s_cbranch_execz .LBB108_51
; %bb.7:
	s_load_dwordx2 s[6:7], s[4:5], 0x10
	s_mov_b32 s12, 0
	s_ashr_i32 s9, s8, 31
	s_mov_b32 s13, s12
	s_lshl_b64 s[8:9], s[8:9], 3
	s_mov_b32 s14, s12
	s_mov_b32 s15, s12
	v_pk_mov_b32 v[2:3], s[12:13], s[12:13] op_sel:[0,1]
	s_waitcnt lgkmcnt(0)
	s_add_u32 s6, s6, s8
	v_lshlrev_b32_e32 v14, 4, v0
	v_pk_mov_b32 v[4:5], s[14:15], s[14:15] op_sel:[0,1]
	s_addc_u32 s7, s7, s9
	ds_write_b128 v14, v[2:5]
	ds_write_b128 v14, v[2:5] offset:4096
	ds_write_b128 v14, v[2:5] offset:8192
	;; [unrolled: 1-line block ×3, first 2 shown]
	s_waitcnt lgkmcnt(0)
	s_barrier
	s_load_dwordx4 s[24:27], s[6:7], 0x0
	s_load_dwordx2 s[30:31], s[4:5], 0x58
	s_load_dwordx8 s[16:23], s[4:5], 0x28
	v_subrev_co_u32_e64 v15, s[4:5], s28, v0
	s_waitcnt lgkmcnt(0)
	v_pk_mov_b32 v[2:3], s[26:27], s[26:27] op_sel:[0,1]
	v_cmp_lt_i64_e32 vcc, s[24:25], v[2:3]
	s_mov_b32 s29, s12
	v_subb_co_u32_e64 v16, s[4:5], 0, 0, s[4:5]
	s_cbranch_vccnz .LBB108_9
; %bb.8:
	s_lshl_b64 s[4:5], s[24:25], 3
	s_add_u32 s4, s16, s4
	s_addc_u32 s5, s17, s5
	s_load_dwordx2 s[34:35], s[4:5], 0x0
	s_cbranch_execz .LBB108_10
	s_branch .LBB108_39
.LBB108_9:
                                        ; implicit-def: $sgpr34_sgpr35
.LBB108_10:
	s_lshl_b64 s[14:15], s[24:25], 3
	s_add_u32 s14, s16, s14
	s_addc_u32 s15, s17, s15
	s_waitcnt lgkmcnt(0)
	s_load_dwordx2 s[34:35], s[14:15], 0x0
	s_movk_i32 s33, 0x100
	s_add_u32 s46, s16, 8
	v_cmp_gt_u32_e64 s[4:5], s33, v0
	v_cmp_gt_u32_e64 s[6:7], 64, v0
	;; [unrolled: 1-line block ×4, first 2 shown]
	v_cmp_eq_u32_e64 s[12:13], 0, v0
	s_addc_u32 s47, s17, 0
	v_mov_b32_e32 v17, s29
	v_mov_b32_e32 v18, s23
	;; [unrolled: 1-line block ×3, first 2 shown]
	s_waitcnt lgkmcnt(0)
	s_mov_b64 s[38:39], s[34:35]
	s_mov_b64 s[36:37], s[24:25]
	s_branch .LBB108_12
.LBB108_11:                             ;   in Loop: Header=BB108_12 Depth=1
	s_or_b64 exec, exec, s[14:15]
	s_add_u32 s36, s36, 1
	s_addc_u32 s37, s37, 0
	v_pk_mov_b32 v[0:1], s[26:27], s[26:27] op_sel:[0,1]
	v_cmp_ge_i64_e32 vcc, s[36:37], v[0:1]
	s_cbranch_vccnz .LBB108_39
.LBB108_12:                             ; =>This Loop Header: Depth=1
                                        ;     Child Loop BB108_14 Depth 2
                                        ;     Child Loop BB108_28 Depth 2
	;; [unrolled: 1-line block ×5, first 2 shown]
	s_mov_b64 s[14:15], s[38:39]
	s_lshl_b64 s[38:39], s[36:37], 3
	s_add_u32 s38, s46, s38
	s_addc_u32 s39, s47, s39
	s_load_dwordx2 s[38:39], s[38:39], 0x0
	v_mov_b32_e32 v0, s15
	v_add_co_u32_e32 v4, vcc, s14, v15
	v_addc_co_u32_e32 v5, vcc, v0, v16, vcc
	s_waitcnt lgkmcnt(0)
	s_sub_u32 s40, s38, s28
	s_subb_u32 s41, s39, 0
	v_pk_mov_b32 v[2:3], 0, 0
	v_cmp_gt_i64_e32 vcc, s[40:41], v[4:5]
	v_pk_mov_b32 v[0:1], v[2:3], v[2:3] op_sel:[0,1]
	s_and_saveexec_b64 s[42:43], vcc
	s_cbranch_execz .LBB108_16
; %bb.13:                               ;   in Loop: Header=BB108_12 Depth=1
	v_lshlrev_b64 v[0:1], 3, v[4:5]
	v_mov_b32_e32 v2, s19
	v_add_co_u32_e32 v6, vcc, s18, v0
	v_addc_co_u32_e32 v7, vcc, v2, v1, vcc
	v_mov_b32_e32 v2, s21
	v_add_co_u32_e32 v12, vcc, s20, v0
	v_addc_co_u32_e32 v13, vcc, v2, v1, vcc
	v_pk_mov_b32 v[2:3], 0, 0
	s_mov_b64 s[44:45], 0
	v_pk_mov_b32 v[0:1], v[2:3], v[2:3] op_sel:[0,1]
.LBB108_14:                             ;   Parent Loop BB108_12 Depth=1
                                        ; =>  This Inner Loop Header: Depth=2
	global_load_dwordx2 v[20:21], v[6:7], off
	global_load_dwordx2 v[24:25], v[12:13], off
	s_waitcnt vmcnt(1)
	v_subrev_co_u32_e32 v20, vcc, s28, v20
	v_subb_co_u32_e32 v21, vcc, v21, v17, vcc
	v_lshlrev_b64 v[20:21], 4, v[20:21]
	v_add_co_u32_e32 v20, vcc, s22, v20
	v_addc_co_u32_e32 v21, vcc, v18, v21, vcc
	global_load_dwordx4 v[20:23], v[20:21], off
	v_add_co_u32_e32 v4, vcc, s33, v4
	v_addc_co_u32_e32 v5, vcc, 0, v5, vcc
	v_add_co_u32_e32 v6, vcc, 0x800, v6
	v_addc_co_u32_e32 v7, vcc, 0, v7, vcc
	v_add_co_u32_e32 v12, vcc, 0x800, v12
	v_cmp_le_i64_e64 s[14:15], s[40:41], v[4:5]
	v_addc_co_u32_e32 v13, vcc, 0, v13, vcc
	s_or_b64 s[44:45], s[14:15], s[44:45]
	s_waitcnt vmcnt(0)
	v_fmac_f64_e32 v[0:1], v[24:25], v[20:21]
	v_fmac_f64_e32 v[2:3], 0, v[20:21]
	;; [unrolled: 1-line block ×4, first 2 shown]
	s_andn2_b64 exec, exec, s[44:45]
	s_cbranch_execnz .LBB108_14
; %bb.15:                               ;   in Loop: Header=BB108_12 Depth=1
	s_or_b64 exec, exec, s[44:45]
.LBB108_16:                             ;   in Loop: Header=BB108_12 Depth=1
	s_or_b64 exec, exec, s[42:43]
	ds_write_b128 v14, v[0:3]
	s_waitcnt lgkmcnt(0)
	s_barrier
	s_and_saveexec_b64 s[14:15], s[4:5]
	s_cbranch_execz .LBB108_18
; %bb.17:                               ;   in Loop: Header=BB108_12 Depth=1
	ds_read_b128 v[0:3], v14 offset:4096
	ds_read_b128 v[4:7], v14 offset:8192
	ds_read_b128 v[20:23], v14 offset:12288
	ds_read_b128 v[24:27], v14
	s_waitcnt lgkmcnt(2)
	v_add_f64 v[0:1], v[4:5], v[0:1]
	v_add_f64 v[2:3], v[6:7], v[2:3]
	s_waitcnt lgkmcnt(1)
	v_add_f64 v[0:1], v[0:1], v[20:21]
	v_add_f64 v[2:3], v[2:3], v[22:23]
	s_waitcnt lgkmcnt(0)
	v_add_f64 v[0:1], v[0:1], v[24:25]
	v_add_f64 v[2:3], v[2:3], v[26:27]
	ds_write_b128 v14, v[0:3]
.LBB108_18:                             ;   in Loop: Header=BB108_12 Depth=1
	s_or_b64 exec, exec, s[14:15]
	s_waitcnt lgkmcnt(0)
	s_barrier
	s_and_saveexec_b64 s[14:15], s[6:7]
	s_cbranch_execz .LBB108_20
; %bb.19:                               ;   in Loop: Header=BB108_12 Depth=1
	ds_read_b128 v[0:3], v14 offset:1024
	ds_read_b128 v[4:7], v14 offset:2048
	ds_read_b128 v[20:23], v14 offset:3072
	ds_read_b128 v[24:27], v14
	s_waitcnt lgkmcnt(2)
	v_add_f64 v[0:1], v[4:5], v[0:1]
	v_add_f64 v[2:3], v[6:7], v[2:3]
	s_waitcnt lgkmcnt(1)
	v_add_f64 v[0:1], v[0:1], v[20:21]
	v_add_f64 v[2:3], v[2:3], v[22:23]
	s_waitcnt lgkmcnt(0)
	v_add_f64 v[0:1], v[0:1], v[24:25]
	v_add_f64 v[2:3], v[2:3], v[26:27]
	ds_write_b128 v14, v[0:3]
.LBB108_20:                             ;   in Loop: Header=BB108_12 Depth=1
	s_or_b64 exec, exec, s[14:15]
	;; [unrolled: 21-line block ×5, first 2 shown]
	s_waitcnt lgkmcnt(0)
	s_barrier
	s_and_saveexec_b64 s[14:15], s[12:13]
	s_cbranch_execz .LBB108_11
; %bb.27:                               ;   in Loop: Header=BB108_12 Depth=1
	ds_read_b128 v[0:3], v19
	v_mov_b32_e32 v12, 0
	s_mov_b64 s[40:41], exec
	v_bfrev_b32_e32 v13, 1
	s_waitcnt lgkmcnt(0)
	v_mul_f64 v[4:5], v[2:3], -v[10:11]
	v_fmac_f64_e32 v[4:5], v[8:9], v[0:1]
.LBB108_28:                             ;   Parent Loop BB108_12 Depth=1
                                        ; =>  This Inner Loop Header: Depth=2
	s_ff1_i32_b64 s44, s[40:41]
	v_readlane_b32 s43, v5, s44
	v_readlane_b32 s42, v4, s44
	s_lshl_b64 s[44:45], 1, s44
	s_andn2_b64 s[40:41], s[40:41], s[44:45]
	s_cmp_lg_u64 s[40:41], 0
	v_add_f64 v[12:13], v[12:13], s[42:43]
	s_cbranch_scc1 .LBB108_28
; %bb.29:                               ;   in Loop: Header=BB108_12 Depth=1
	s_lshl_b64 s[40:41], s[36:37], 4
	v_mbcnt_lo_u32_b32 v4, exec_lo, 0
	s_add_u32 s40, s30, s40
	v_mbcnt_hi_u32_b32 v4, exec_hi, v4
	s_addc_u32 s41, s31, s41
	v_cmp_eq_u32_e32 vcc, 0, v4
	s_and_saveexec_b64 s[42:43], vcc
	s_xor_b64 s[42:43], exec, s[42:43]
	s_cbranch_execz .LBB108_33
; %bb.30:                               ;   in Loop: Header=BB108_12 Depth=1
	global_load_dwordx2 v[6:7], v19, s[40:41]
	s_mov_b64 s[44:45], 0
.LBB108_31:                             ;   Parent Loop BB108_12 Depth=1
                                        ; =>  This Inner Loop Header: Depth=2
	s_waitcnt vmcnt(0)
	v_add_f64 v[4:5], v[6:7], v[12:13]
	global_atomic_cmpswap_x2 v[4:5], v19, v[4:7], s[40:41] glc
	s_waitcnt vmcnt(0)
	v_cmp_eq_u64_e32 vcc, v[4:5], v[6:7]
	s_or_b64 s[44:45], vcc, s[44:45]
	v_pk_mov_b32 v[6:7], v[4:5], v[4:5] op_sel:[0,1]
	s_andn2_b64 exec, exec, s[44:45]
	s_cbranch_execnz .LBB108_31
; %bb.32:                               ;   in Loop: Header=BB108_12 Depth=1
	s_or_b64 exec, exec, s[44:45]
.LBB108_33:                             ;   in Loop: Header=BB108_12 Depth=1
	s_or_b64 exec, exec, s[42:43]
	v_mul_f64 v[2:3], v[8:9], v[2:3]
	v_mov_b32_e32 v4, 0
	s_mov_b64 s[42:43], exec
	v_fmac_f64_e32 v[2:3], v[10:11], v[0:1]
	v_bfrev_b32_e32 v5, 1
.LBB108_34:                             ;   Parent Loop BB108_12 Depth=1
                                        ; =>  This Inner Loop Header: Depth=2
	s_ff1_i32_b64 s48, s[42:43]
	v_readlane_b32 s45, v3, s48
	v_readlane_b32 s44, v2, s48
	s_lshl_b64 s[48:49], 1, s48
	s_andn2_b64 s[42:43], s[42:43], s[48:49]
	s_cmp_lg_u64 s[42:43], 0
	v_add_f64 v[4:5], v[4:5], s[44:45]
	s_cbranch_scc1 .LBB108_34
; %bb.35:                               ;   in Loop: Header=BB108_12 Depth=1
	v_mbcnt_lo_u32_b32 v0, exec_lo, 0
	v_mbcnt_hi_u32_b32 v0, exec_hi, v0
	v_cmp_eq_u32_e32 vcc, 0, v0
	s_and_saveexec_b64 s[42:43], vcc
	s_xor_b64 s[42:43], exec, s[42:43]
	s_cbranch_execz .LBB108_11
; %bb.36:                               ;   in Loop: Header=BB108_12 Depth=1
	global_load_dwordx2 v[2:3], v19, s[40:41] offset:8
	s_mov_b64 s[42:43], 0
.LBB108_37:                             ;   Parent Loop BB108_12 Depth=1
                                        ; =>  This Inner Loop Header: Depth=2
	s_waitcnt vmcnt(0)
	v_add_f64 v[0:1], v[2:3], v[4:5]
	global_atomic_cmpswap_x2 v[0:1], v19, v[0:3], s[40:41] offset:8 glc
	s_waitcnt vmcnt(0)
	v_cmp_eq_u64_e32 vcc, v[0:1], v[2:3]
	s_or_b64 s[42:43], vcc, s[42:43]
	v_pk_mov_b32 v[2:3], v[0:1], v[0:1] op_sel:[0,1]
	s_andn2_b64 exec, exec, s[42:43]
	s_cbranch_execnz .LBB108_37
; %bb.38:                               ;   in Loop: Header=BB108_12 Depth=1
	s_or_b64 exec, exec, s[42:43]
	s_branch .LBB108_11
.LBB108_39:
	s_lshl_b64 s[4:5], s[26:27], 3
	s_add_u32 s4, s16, s4
	s_addc_u32 s5, s17, s5
	s_load_dwordx2 s[4:5], s[4:5], 0x0
	s_waitcnt lgkmcnt(0)
	v_mov_b32_e32 v0, s35
	v_add_co_u32_e32 v12, vcc, s34, v15
	v_addc_co_u32_e32 v13, vcc, v0, v16, vcc
	s_sub_u32 s8, s4, s28
	s_subb_u32 s9, s5, 0
	v_cmp_gt_i64_e32 vcc, s[8:9], v[12:13]
	s_and_b64 exec, exec, vcc
	s_cbranch_execz .LBB108_51
; %bb.40:
	s_add_u32 s10, s26, -1
	s_addc_u32 s11, s27, -1
	s_add_u32 s4, s26, -2
	s_addc_u32 s5, s27, -1
	v_pk_mov_b32 v[0:1], s[24:25], s[24:25] op_sel:[0,1]
	s_cmp_lg_u64 s[4:5], s[24:25]
	v_cmp_gt_i64_e32 vcc, s[10:11], v[0:1]
	s_cselect_b64 s[4:5], -1, 0
	s_mov_b32 s6, 0
	s_and_b64 s[4:5], vcc, s[4:5]
	s_brev_b32 s7, 1
	v_cndmask_b32_e64 v0, 0, 1, s[4:5]
	v_mul_f64 v[14:15], v[10:11], s[6:7]
	s_mov_b64 s[12:13], 0
	v_mul_f64 v[16:17], v[8:9], 0
	v_cmp_ne_u32_e64 s[4:5], 1, v0
	v_mov_b32_e32 v26, s17
	v_mov_b32_e32 v27, s29
	;; [unrolled: 1-line block ×3, first 2 shown]
	s_branch .LBB108_42
.LBB108_41:                             ;   in Loop: Header=BB108_42 Depth=1
	s_or_b64 exec, exec, s[6:7]
	v_add_co_u32_e32 v12, vcc, 0x100, v12
	v_addc_co_u32_e32 v13, vcc, 0, v13, vcc
	v_cmp_le_i64_e32 vcc, s[8:9], v[12:13]
	s_or_b64 s[12:13], vcc, s[12:13]
	s_andn2_b64 exec, exec, s[12:13]
	s_cbranch_execz .LBB108_51
.LBB108_42:                             ; =>This Loop Header: Depth=1
                                        ;     Child Loop BB108_44 Depth 2
                                        ;     Child Loop BB108_48 Depth 2
	;; [unrolled: 1-line block ×3, first 2 shown]
	s_and_b64 vcc, exec, s[4:5]
	v_pk_mov_b32 v[0:1], s[24:25], s[24:25] op_sel:[0,1]
	v_pk_mov_b32 v[2:3], s[10:11], s[10:11] op_sel:[0,1]
	s_cbranch_vccnz .LBB108_46
; %bb.43:                               ;   in Loop: Header=BB108_42 Depth=1
	s_mov_b64 s[14:15], 0
	v_pk_mov_b32 v[0:1], s[24:25], s[24:25] op_sel:[0,1]
	v_pk_mov_b32 v[2:3], s[10:11], s[10:11] op_sel:[0,1]
.LBB108_44:                             ;   Parent Loop BB108_42 Depth=1
                                        ; =>  This Inner Loop Header: Depth=2
	v_add_co_u32_e32 v4, vcc, v2, v0
	v_addc_co_u32_e32 v5, vcc, v3, v1, vcc
	v_lshrrev_b32_e32 v6, 31, v5
	v_add_co_u32_e32 v4, vcc, v4, v6
	v_addc_co_u32_e32 v5, vcc, 0, v5, vcc
	v_ashrrev_i64 v[4:5], 1, v[4:5]
	v_lshlrev_b64 v[6:7], 3, v[4:5]
	v_mov_b32_e32 v18, s17
	v_add_co_u32_e32 v6, vcc, s16, v6
	v_addc_co_u32_e32 v7, vcc, v18, v7, vcc
	global_load_dwordx2 v[6:7], v[6:7], off
	v_mov_b32_e32 v18, s29
	s_waitcnt vmcnt(0)
	v_subrev_co_u32_e32 v6, vcc, s28, v6
	v_subb_co_u32_e32 v7, vcc, v7, v18, vcc
	v_cmp_gt_i64_e32 vcc, v[6:7], v[12:13]
	v_cndmask_b32_e32 v2, v2, v4, vcc
	v_cndmask_b32_e32 v3, v3, v5, vcc
	;; [unrolled: 1-line block ×3, first 2 shown]
	v_add_co_u32_e64 v4, s[6:7], -1, v2
	v_cndmask_b32_e32 v1, v5, v1, vcc
	v_addc_co_u32_e64 v5, s[6:7], -1, v3, s[6:7]
	v_cmp_ge_i64_e32 vcc, v[0:1], v[2:3]
	v_cmp_eq_u64_e64 s[6:7], v[0:1], v[4:5]
	s_or_b64 s[6:7], vcc, s[6:7]
	s_and_b64 s[6:7], exec, s[6:7]
	s_or_b64 s[14:15], s[6:7], s[14:15]
	s_andn2_b64 exec, exec, s[14:15]
	s_cbranch_execnz .LBB108_44
; %bb.45:                               ;   in Loop: Header=BB108_42 Depth=1
	s_or_b64 exec, exec, s[14:15]
.LBB108_46:                             ;   in Loop: Header=BB108_42 Depth=1
	v_lshlrev_b64 v[4:5], 3, v[2:3]
	v_add_co_u32_e32 v4, vcc, s16, v4
	v_addc_co_u32_e32 v5, vcc, v26, v5, vcc
	global_load_dwordx2 v[6:7], v[4:5], off
	v_lshlrev_b64 v[4:5], 3, v[12:13]
	v_add_co_u32_e32 v18, vcc, s18, v4
	v_addc_co_u32_e32 v19, vcc, v28, v5, vcc
	global_load_dwordx2 v[18:19], v[18:19], off
	s_waitcnt vmcnt(1)
	v_subrev_co_u32_e32 v6, vcc, s28, v6
	v_subb_co_u32_e32 v7, vcc, v7, v27, vcc
	v_cmp_gt_i64_e32 vcc, v[6:7], v[12:13]
	v_cndmask_b32_e32 v1, v3, v1, vcc
	v_cndmask_b32_e32 v0, v2, v0, vcc
	s_waitcnt vmcnt(0)
	v_subrev_co_u32_e32 v2, vcc, s28, v18
	v_subb_co_u32_e32 v3, vcc, v19, v27, vcc
	v_cmp_ne_u64_e32 vcc, v[2:3], v[0:1]
	s_and_saveexec_b64 s[6:7], vcc
	s_cbranch_execz .LBB108_41
; %bb.47:                               ;   in Loop: Header=BB108_42 Depth=1
	v_lshlrev_b64 v[6:7], 4, v[2:3]
	v_mov_b32_e32 v3, s21
	v_add_co_u32_e32 v2, vcc, s20, v4
	v_addc_co_u32_e32 v3, vcc, v3, v5, vcc
	v_lshlrev_b64 v[0:1], 4, v[0:1]
	global_load_dwordx2 v[4:5], v[2:3], off
	v_mov_b32_e32 v2, s23
	v_add_co_u32_e32 v0, vcc, s22, v0
	v_addc_co_u32_e32 v1, vcc, v2, v1, vcc
	v_mov_b32_e32 v19, s31
	global_load_dwordx4 v[0:3], v[0:1], off
	v_add_co_u32_e32 v18, vcc, s30, v6
	v_addc_co_u32_e32 v19, vcc, v19, v7, vcc
	global_load_dwordx2 v[6:7], v[18:19], off
	s_mov_b64 s[14:15], 0
	s_waitcnt vmcnt(2)
	v_fma_f64 v[22:23], v[10:11], v[4:5], v[16:17]
	v_fma_f64 v[20:21], v[8:9], v[4:5], v[14:15]
	s_waitcnt vmcnt(1)
	v_mul_f64 v[24:25], v[2:3], -v[22:23]
	v_fmac_f64_e32 v[24:25], v[20:21], v[0:1]
.LBB108_48:                             ;   Parent Loop BB108_42 Depth=1
                                        ; =>  This Inner Loop Header: Depth=2
	s_waitcnt vmcnt(0)
	v_add_f64 v[4:5], v[6:7], v[24:25]
	global_atomic_cmpswap_x2 v[4:5], v[18:19], v[4:7], off glc
	s_waitcnt vmcnt(0)
	v_cmp_eq_u64_e32 vcc, v[4:5], v[6:7]
	s_or_b64 s[14:15], vcc, s[14:15]
	v_pk_mov_b32 v[6:7], v[4:5], v[4:5] op_sel:[0,1]
	s_andn2_b64 exec, exec, s[14:15]
	s_cbranch_execnz .LBB108_48
; %bb.49:                               ;   in Loop: Header=BB108_42 Depth=1
	s_or_b64 exec, exec, s[14:15]
	global_load_dwordx2 v[4:5], v[18:19], off offset:8
	v_mul_f64 v[6:7], v[20:21], v[2:3]
	v_fmac_f64_e32 v[6:7], v[22:23], v[0:1]
	s_mov_b64 s[14:15], 0
.LBB108_50:                             ;   Parent Loop BB108_42 Depth=1
                                        ; =>  This Inner Loop Header: Depth=2
	s_waitcnt vmcnt(0)
	v_add_f64 v[2:3], v[4:5], v[6:7]
	global_atomic_cmpswap_x2 v[0:1], v[18:19], v[2:5], off offset:8 glc
	s_waitcnt vmcnt(0)
	v_cmp_eq_u64_e32 vcc, v[0:1], v[4:5]
	s_or_b64 s[14:15], vcc, s[14:15]
	v_pk_mov_b32 v[4:5], v[0:1], v[0:1] op_sel:[0,1]
	s_andn2_b64 exec, exec, s[14:15]
	s_cbranch_execnz .LBB108_50
	s_branch .LBB108_41
.LBB108_51:
	s_endpgm
	.section	.rodata,"a",@progbits
	.p2align	6, 0x0
	.amdhsa_kernel _ZL33csrmvn_symm_large_adaptive_kernelIlld21rocsparse_complex_numIdES1_S1_EvbT_PKS2_N9rocsparse24const_host_device_scalarIT4_EES4_PKT0_PKT1_PKT2_S8_PT3_21rocsparse_index_base_b
		.amdhsa_group_segment_fixed_size 16384
		.amdhsa_private_segment_fixed_size 24
		.amdhsa_kernarg_size 104
		.amdhsa_user_sgpr_count 8
		.amdhsa_user_sgpr_private_segment_buffer 1
		.amdhsa_user_sgpr_dispatch_ptr 0
		.amdhsa_user_sgpr_queue_ptr 0
		.amdhsa_user_sgpr_kernarg_segment_ptr 1
		.amdhsa_user_sgpr_dispatch_id 0
		.amdhsa_user_sgpr_flat_scratch_init 1
		.amdhsa_user_sgpr_kernarg_preload_length 0
		.amdhsa_user_sgpr_kernarg_preload_offset 0
		.amdhsa_user_sgpr_private_segment_size 0
		.amdhsa_uses_dynamic_stack 0
		.amdhsa_system_sgpr_private_segment_wavefront_offset 1
		.amdhsa_system_sgpr_workgroup_id_x 1
		.amdhsa_system_sgpr_workgroup_id_y 0
		.amdhsa_system_sgpr_workgroup_id_z 0
		.amdhsa_system_sgpr_workgroup_info 0
		.amdhsa_system_vgpr_workitem_id 0
		.amdhsa_next_free_vgpr 29
		.amdhsa_next_free_sgpr 50
		.amdhsa_accum_offset 32
		.amdhsa_reserve_vcc 1
		.amdhsa_reserve_flat_scratch 1
		.amdhsa_float_round_mode_32 0
		.amdhsa_float_round_mode_16_64 0
		.amdhsa_float_denorm_mode_32 3
		.amdhsa_float_denorm_mode_16_64 3
		.amdhsa_dx10_clamp 1
		.amdhsa_ieee_mode 1
		.amdhsa_fp16_overflow 0
		.amdhsa_tg_split 0
		.amdhsa_exception_fp_ieee_invalid_op 0
		.amdhsa_exception_fp_denorm_src 0
		.amdhsa_exception_fp_ieee_div_zero 0
		.amdhsa_exception_fp_ieee_overflow 0
		.amdhsa_exception_fp_ieee_underflow 0
		.amdhsa_exception_fp_ieee_inexact 0
		.amdhsa_exception_int_div_zero 0
	.end_amdhsa_kernel
	.section	.text._ZL33csrmvn_symm_large_adaptive_kernelIlld21rocsparse_complex_numIdES1_S1_EvbT_PKS2_N9rocsparse24const_host_device_scalarIT4_EES4_PKT0_PKT1_PKT2_S8_PT3_21rocsparse_index_base_b,"axG",@progbits,_ZL33csrmvn_symm_large_adaptive_kernelIlld21rocsparse_complex_numIdES1_S1_EvbT_PKS2_N9rocsparse24const_host_device_scalarIT4_EES4_PKT0_PKT1_PKT2_S8_PT3_21rocsparse_index_base_b,comdat
.Lfunc_end108:
	.size	_ZL33csrmvn_symm_large_adaptive_kernelIlld21rocsparse_complex_numIdES1_S1_EvbT_PKS2_N9rocsparse24const_host_device_scalarIT4_EES4_PKT0_PKT1_PKT2_S8_PT3_21rocsparse_index_base_b, .Lfunc_end108-_ZL33csrmvn_symm_large_adaptive_kernelIlld21rocsparse_complex_numIdES1_S1_EvbT_PKS2_N9rocsparse24const_host_device_scalarIT4_EES4_PKT0_PKT1_PKT2_S8_PT3_21rocsparse_index_base_b
                                        ; -- End function
	.section	.AMDGPU.csdata,"",@progbits
; Kernel info:
; codeLenInByte = 2592
; NumSgprs: 56
; NumVgprs: 29
; NumAgprs: 0
; TotalNumVgprs: 29
; ScratchSize: 24
; MemoryBound: 0
; FloatMode: 240
; IeeeMode: 1
; LDSByteSize: 16384 bytes/workgroup (compile time only)
; SGPRBlocks: 6
; VGPRBlocks: 3
; NumSGPRsForWavesPerEU: 56
; NumVGPRsForWavesPerEU: 29
; AccumOffset: 32
; Occupancy: 4
; WaveLimiterHint : 1
; COMPUTE_PGM_RSRC2:SCRATCH_EN: 1
; COMPUTE_PGM_RSRC2:USER_SGPR: 8
; COMPUTE_PGM_RSRC2:TRAP_HANDLER: 0
; COMPUTE_PGM_RSRC2:TGID_X_EN: 1
; COMPUTE_PGM_RSRC2:TGID_Y_EN: 0
; COMPUTE_PGM_RSRC2:TGID_Z_EN: 0
; COMPUTE_PGM_RSRC2:TIDIG_COMP_CNT: 0
; COMPUTE_PGM_RSRC3_GFX90A:ACCUM_OFFSET: 7
; COMPUTE_PGM_RSRC3_GFX90A:TG_SPLIT: 0
	.section	.text._ZN9rocsparseL22csrmvn_adaptive_kernelIii21rocsparse_complex_numIfES1_IdES3_S3_EEvbT_PKS4_PjPKT0_NS_24const_host_device_scalarIT4_EES6_SA_PKT1_PKT2_SD_PT3_21rocsparse_index_base_b,"axG",@progbits,_ZN9rocsparseL22csrmvn_adaptive_kernelIii21rocsparse_complex_numIfES1_IdES3_S3_EEvbT_PKS4_PjPKT0_NS_24const_host_device_scalarIT4_EES6_SA_PKT1_PKT2_SD_PT3_21rocsparse_index_base_b,comdat
	.globl	_ZN9rocsparseL22csrmvn_adaptive_kernelIii21rocsparse_complex_numIfES1_IdES3_S3_EEvbT_PKS4_PjPKT0_NS_24const_host_device_scalarIT4_EES6_SA_PKT1_PKT2_SD_PT3_21rocsparse_index_base_b ; -- Begin function _ZN9rocsparseL22csrmvn_adaptive_kernelIii21rocsparse_complex_numIfES1_IdES3_S3_EEvbT_PKS4_PjPKT0_NS_24const_host_device_scalarIT4_EES6_SA_PKT1_PKT2_SD_PT3_21rocsparse_index_base_b
	.p2align	8
	.type	_ZN9rocsparseL22csrmvn_adaptive_kernelIii21rocsparse_complex_numIfES1_IdES3_S3_EEvbT_PKS4_PjPKT0_NS_24const_host_device_scalarIT4_EES6_SA_PKT1_PKT2_SD_PT3_21rocsparse_index_base_b,@function
_ZN9rocsparseL22csrmvn_adaptive_kernelIii21rocsparse_complex_numIfES1_IdES3_S3_EEvbT_PKS4_PjPKT0_NS_24const_host_device_scalarIT4_EES6_SA_PKT1_PKT2_SD_PT3_21rocsparse_index_base_b: ; @_ZN9rocsparseL22csrmvn_adaptive_kernelIii21rocsparse_complex_numIfES1_IdES3_S3_EEvbT_PKS4_PjPKT0_NS_24const_host_device_scalarIT4_EES6_SA_PKT1_PKT2_SD_PT3_21rocsparse_index_base_b
; %bb.0:
	s_add_u32 flat_scratch_lo, s6, s9
	s_load_dwordx2 s[44:45], s[4:5], 0x68
	s_load_dwordx4 s[16:19], s[4:5], 0x20
	s_addc_u32 flat_scratch_hi, s7, 0
	s_add_u32 s0, s0, s9
	s_load_dwordx4 s[12:15], s[4:5], 0x50
	s_addc_u32 s1, s1, 0
	s_waitcnt lgkmcnt(0)
	s_bitcmp1_b32 s45, 0
	v_mov_b32_e32 v1, 0
	v_mov_b32_e32 v3, s16
	s_cselect_b64 s[6:7], -1, 0
	v_cndmask_b32_e64 v2, v3, v1, s[6:7]
	v_mov_b32_e32 v1, s17
	s_mov_b64 s[10:11], src_private_base
	s_and_b64 vcc, s[6:7], exec
	buffer_store_dword v1, off, s[0:3], 0 offset:4
	buffer_store_dword v3, off, s[0:3], 0
	v_mov_b32_e32 v1, s13
	s_cselect_b32 s9, s11, s17
	buffer_store_dword v1, off, s[0:3], 0 offset:12
	v_mov_b32_e32 v1, s12
	buffer_store_dword v1, off, s[0:3], 0 offset:8
	v_mov_b32_e32 v3, s9
	flat_load_dwordx2 v[14:15], v[2:3]
	s_xor_b64 s[20:21], s[6:7], -1
	v_pk_mov_b32 v[16:17], s[18:19], s[18:19] op_sel:[0,1]
	s_cbranch_vccnz .LBB109_2
; %bb.1:
	v_pk_mov_b32 v[2:3], s[16:17], s[16:17] op_sel:[0,1]
	flat_load_dwordx2 v[16:17], v[2:3] offset:8
.LBB109_2:
	s_and_b64 s[16:17], s[6:7], exec
	s_cselect_b32 s9, s11, s13
	v_mov_b32_e32 v1, 8
	v_mov_b32_e32 v2, s12
	v_cndmask_b32_e64 v2, v2, v1, s[6:7]
	v_mov_b32_e32 v3, s9
	flat_load_dwordx2 v[10:11], v[2:3]
	s_andn2_b64 vcc, exec, s[20:21]
	v_pk_mov_b32 v[12:13], s[14:15], s[14:15] op_sel:[0,1]
	s_cbranch_vccnz .LBB109_4
; %bb.3:
	v_pk_mov_b32 v[2:3], s[12:13], s[12:13] op_sel:[0,1]
	flat_load_dwordx2 v[12:13], v[2:3] offset:8
.LBB109_4:
	s_waitcnt vmcnt(0) lgkmcnt(0)
	v_cmp_eq_f64_e32 vcc, 0, v[14:15]
	v_cmp_eq_f64_e64 s[6:7], 0, v[16:17]
	s_and_b64 s[12:13], vcc, s[6:7]
	s_mov_b64 s[6:7], -1
	s_and_saveexec_b64 s[10:11], s[12:13]
; %bb.5:
	v_cmp_neq_f64_e32 vcc, 1.0, v[10:11]
	v_cmp_neq_f64_e64 s[6:7], 0, v[12:13]
	s_or_b64 s[6:7], vcc, s[6:7]
	s_orn2_b64 s[6:7], s[6:7], exec
; %bb.6:
	s_or_b64 exec, exec, s[10:11]
	s_and_saveexec_b64 s[10:11], s[6:7]
	s_cbranch_execz .LBB109_121
; %bb.7:
	s_load_dwordx4 s[28:31], s[4:5], 0x0
	s_load_dwordx2 s[6:7], s[4:5], 0x18
	s_waitcnt lgkmcnt(0)
	s_bitcmp1_b32 s28, 0
	s_cselect_b64 s[46:47], -1, 0
	s_ashr_i32 s9, s8, 31
	s_lshl_b64 s[50:51], s[8:9], 2
	s_add_u32 s10, s30, s50
	s_addc_u32 s11, s31, s51
	s_load_dwordx2 s[30:31], s[10:11], 0x0
	s_load_dwordx2 s[26:27], s[4:5], 0x60
	s_load_dwordx8 s[36:43], s[4:5], 0x30
	s_waitcnt lgkmcnt(0)
	s_sub_i32 s9, s31, s30
	s_add_u32 s6, s6, s50
	s_mov_b32 s48, s30
	s_addc_u32 s7, s7, s51
	s_ashr_i32 s49, s30, 31
	s_load_dword s28, s[6:7], 0x0
	s_lshl_b64 s[6:7], s[48:49], 2
	s_add_u32 s34, s36, s6
	s_addc_u32 s35, s37, s7
	s_load_dword s33, s[34:35], 0x0
	s_cmp_lt_i32 s9, 2
	s_mov_b64 s[6:7], -1
	s_cbranch_scc0 .LBB109_77
; %bb.8:
	s_cmp_lg_u32 s9, 1
	s_cselect_b64 s[6:7], -1, 0
	s_waitcnt lgkmcnt(0)
	s_cmp_lg_u32 s28, 0
	s_cselect_b64 s[10:11], -1, 0
	s_or_b64 s[10:11], s[6:7], s[10:11]
	s_mov_b64 s[6:7], -1
	s_and_b64 vcc, exec, s[10:11]
	s_cbranch_vccnz .LBB109_37
; %bb.9:
	s_cmp_le_i32 s31, s30
	s_cbranch_scc1 .LBB109_36
; %bb.10:
	v_cmp_neq_f64_e32 vcc, 0, v[10:11]
	v_cmp_neq_f64_e64 s[24:25], 0, v[12:13]
	s_or_b64 s[52:53], vcc, s[24:25]
	s_add_u32 s9, s36, 4
	s_addc_u32 s45, s37, 0
	s_movk_i32 s6, 0x80
	s_add_u32 s60, s40, 4
	v_subrev_u32_e32 v1, s44, v0
	v_lshlrev_b32_e32 v20, 4, v0
	v_cmp_gt_u32_e64 s[6:7], s6, v0
	v_cmp_gt_u32_e64 s[10:11], 64, v0
	;; [unrolled: 1-line block ×7, first 2 shown]
	v_cmp_eq_u32_e64 s[22:23], 0, v0
	s_addc_u32 s61, s41, 0
	v_mov_b32_e32 v21, s43
	v_mov_b32_e32 v22, 0
	s_mov_b32 s62, s33
	s_mov_b32 s54, s30
	s_branch .LBB109_13
.LBB109_11:                             ;   in Loop: Header=BB109_13 Depth=1
	s_or_b64 exec, exec, s[56:57]
	s_lshl_b64 s[56:57], s[54:55], 4
	s_add_u32 s56, s26, s56
	s_addc_u32 s57, s27, s57
	s_waitcnt lgkmcnt(0)
	global_store_dwordx4 v22, v[2:5], s[56:57]
.LBB109_12:                             ;   in Loop: Header=BB109_13 Depth=1
	s_or_b64 exec, exec, s[24:25]
	s_add_i32 s54, s54, 1
	s_cmp_ge_i32 s54, s31
	s_cbranch_scc1 .LBB109_36
.LBB109_13:                             ; =>This Loop Header: Depth=1
                                        ;     Child Loop BB109_15 Depth 2
	s_ashr_i32 s55, s54, 31
	s_lshl_b64 s[24:25], s[54:55], 2
	s_add_u32 s24, s9, s24
	s_addc_u32 s25, s45, s25
	s_mov_b32 s56, s62
	s_load_dword s62, s[24:25], 0x0
	v_pk_mov_b32 v[4:5], 0, 0
	v_add_u32_e32 v6, s56, v1
	v_pk_mov_b32 v[2:3], v[4:5], v[4:5] op_sel:[0,1]
	s_waitcnt lgkmcnt(0)
	s_sub_i32 s63, s62, s44
	v_cmp_gt_i32_e32 vcc, s63, v6
	s_and_saveexec_b64 s[56:57], vcc
	s_cbranch_execz .LBB109_17
; %bb.14:                               ;   in Loop: Header=BB109_13 Depth=1
	v_ashrrev_i32_e32 v7, 31, v6
	v_lshlrev_b64 v[2:3], 3, v[6:7]
	v_mov_b32_e32 v4, s61
	v_add_co_u32_e32 v8, vcc, s60, v2
	v_addc_co_u32_e32 v9, vcc, v4, v3, vcc
	v_lshlrev_b64 v[2:3], 2, v[6:7]
	v_mov_b32_e32 v4, s39
	v_add_co_u32_e32 v18, vcc, s38, v2
	v_addc_co_u32_e32 v19, vcc, v4, v3, vcc
	v_pk_mov_b32 v[4:5], 0, 0
	s_mov_b64 s[58:59], 0
	v_pk_mov_b32 v[2:3], v[4:5], v[4:5] op_sel:[0,1]
.LBB109_15:                             ;   Parent Loop BB109_13 Depth=1
                                        ; =>  This Inner Loop Header: Depth=2
	global_load_dword v7, v[18:19], off
	global_load_dwordx2 v[28:29], v[8:9], off offset:-4
	v_add_u32_e32 v6, 0x100, v6
	v_cmp_le_i32_e64 s[24:25], s63, v6
	s_or_b64 s[58:59], s[24:25], s[58:59]
	s_waitcnt vmcnt(1)
	v_subrev_u32_e32 v24, s44, v7
	v_ashrrev_i32_e32 v25, 31, v24
	v_lshlrev_b64 v[24:25], 4, v[24:25]
	v_add_co_u32_e32 v24, vcc, s42, v24
	v_addc_co_u32_e32 v25, vcc, v21, v25, vcc
	global_load_dwordx4 v[24:27], v[24:25], off
	s_waitcnt vmcnt(1)
	v_cndmask_b32_e64 v7, v29, -v29, s[46:47]
	v_cvt_f64_f32_e32 v[30:31], v7
	v_add_co_u32_e32 v8, vcc, 0x800, v8
	v_cvt_f64_f32_e32 v[28:29], v28
	v_mul_f64 v[32:33], -v[16:17], v[30:31]
	v_mul_f64 v[30:31], v[14:15], v[30:31]
	v_addc_co_u32_e32 v9, vcc, 0, v9, vcc
	v_fmac_f64_e32 v[32:33], v[14:15], v[28:29]
	v_fmac_f64_e32 v[30:31], v[16:17], v[28:29]
	v_add_co_u32_e32 v18, vcc, 0x400, v18
	v_addc_co_u32_e32 v19, vcc, 0, v19, vcc
	s_waitcnt vmcnt(0)
	v_fmac_f64_e32 v[2:3], v[32:33], v[24:25]
	v_fmac_f64_e32 v[4:5], v[30:31], v[24:25]
	v_fma_f64 v[2:3], -v[30:31], v[26:27], v[2:3]
	v_fmac_f64_e32 v[4:5], v[32:33], v[26:27]
	s_andn2_b64 exec, exec, s[58:59]
	s_cbranch_execnz .LBB109_15
; %bb.16:                               ;   in Loop: Header=BB109_13 Depth=1
	s_or_b64 exec, exec, s[58:59]
.LBB109_17:                             ;   in Loop: Header=BB109_13 Depth=1
	s_or_b64 exec, exec, s[56:57]
	ds_write_b128 v20, v[2:5]
	s_waitcnt lgkmcnt(0)
	s_barrier
	s_and_saveexec_b64 s[24:25], s[6:7]
	s_cbranch_execz .LBB109_19
; %bb.18:                               ;   in Loop: Header=BB109_13 Depth=1
	ds_read_b128 v[2:5], v20 offset:2048
	ds_read_b128 v[6:9], v20
	s_waitcnt lgkmcnt(0)
	v_add_f64 v[2:3], v[2:3], v[6:7]
	v_add_f64 v[4:5], v[4:5], v[8:9]
	ds_write_b128 v20, v[2:5]
.LBB109_19:                             ;   in Loop: Header=BB109_13 Depth=1
	s_or_b64 exec, exec, s[24:25]
	s_waitcnt lgkmcnt(0)
	s_barrier
	s_and_saveexec_b64 s[24:25], s[10:11]
	s_cbranch_execz .LBB109_21
; %bb.20:                               ;   in Loop: Header=BB109_13 Depth=1
	ds_read_b128 v[2:5], v20 offset:1024
	ds_read_b128 v[6:9], v20
	s_waitcnt lgkmcnt(0)
	v_add_f64 v[2:3], v[2:3], v[6:7]
	v_add_f64 v[4:5], v[4:5], v[8:9]
	ds_write_b128 v20, v[2:5]
.LBB109_21:                             ;   in Loop: Header=BB109_13 Depth=1
	s_or_b64 exec, exec, s[24:25]
	;; [unrolled: 13-line block ×6, first 2 shown]
	s_waitcnt lgkmcnt(0)
	s_barrier
	s_and_saveexec_b64 s[24:25], s[20:21]
	s_cbranch_execz .LBB109_31
; %bb.30:                               ;   in Loop: Header=BB109_13 Depth=1
	ds_read_b128 v[2:5], v20
	ds_read_b128 v[6:9], v20 offset:32
	s_waitcnt lgkmcnt(0)
	v_add_f64 v[2:3], v[6:7], v[2:3]
	v_add_f64 v[4:5], v[8:9], v[4:5]
	ds_write_b128 v20, v[2:5]
.LBB109_31:                             ;   in Loop: Header=BB109_13 Depth=1
	s_or_b64 exec, exec, s[24:25]
	s_waitcnt lgkmcnt(0)
	s_barrier
	s_and_saveexec_b64 s[24:25], s[22:23]
	s_cbranch_execz .LBB109_33
; %bb.32:                               ;   in Loop: Header=BB109_13 Depth=1
	ds_read_b128 v[2:5], v22
	ds_read_b128 v[6:9], v22 offset:16
	s_waitcnt lgkmcnt(0)
	v_add_f64 v[2:3], v[6:7], v[2:3]
	v_add_f64 v[4:5], v[8:9], v[4:5]
	ds_write_b128 v22, v[2:5]
.LBB109_33:                             ;   in Loop: Header=BB109_13 Depth=1
	s_or_b64 exec, exec, s[24:25]
	s_waitcnt lgkmcnt(0)
	s_barrier
	s_and_saveexec_b64 s[24:25], s[22:23]
	s_cbranch_execz .LBB109_12
; %bb.34:                               ;   in Loop: Header=BB109_13 Depth=1
	ds_read_b128 v[2:5], v22
	s_and_saveexec_b64 s[56:57], s[52:53]
	s_cbranch_execz .LBB109_11
; %bb.35:                               ;   in Loop: Header=BB109_13 Depth=1
	s_lshl_b64 s[58:59], s[54:55], 4
	s_add_u32 s58, s26, s58
	s_addc_u32 s59, s27, s59
	global_load_dwordx4 v[6:9], v22, s[58:59]
	s_waitcnt vmcnt(0) lgkmcnt(0)
	v_fmac_f64_e32 v[2:3], v[10:11], v[6:7]
	v_fmac_f64_e32 v[4:5], v[12:13], v[6:7]
	v_fma_f64 v[2:3], -v[12:13], v[8:9], v[2:3]
	v_fmac_f64_e32 v[4:5], v[10:11], v[8:9]
	s_branch .LBB109_11
.LBB109_36:
	s_mov_b64 s[6:7], 0
.LBB109_37:
	s_andn2_b64 vcc, exec, s[6:7]
	s_cbranch_vccnz .LBB109_76
; %bb.38:
	s_load_dwordx2 s[10:11], s[4:5], 0x10
	s_sub_i32 s8, s8, s28
	v_or_b32_e32 v1, s28, v0
	v_pk_mov_b32 v[2:3], 0, 0
	v_cmp_eq_u32_e32 vcc, 0, v1
	s_waitcnt lgkmcnt(0)
	s_add_u32 s6, s10, s50
	s_addc_u32 s7, s11, s51
	s_load_dword s16, s[6:7], 0x0
	v_pk_mov_b32 v[4:5], v[2:3], v[2:3] op_sel:[0,1]
	s_and_saveexec_b64 s[4:5], vcc
	s_cbranch_execz .LBB109_42
; %bb.39:
	s_lshl_b64 s[14:15], s[48:49], 4
	s_add_u32 s14, s26, s14
	s_addc_u32 s15, s27, s15
	v_mov_b32_e32 v1, 0
	global_load_dwordx4 v[6:9], v1, s[14:15]
	s_mov_b64 s[12:13], exec
	v_mbcnt_lo_u32_b32 v2, s12, 0
	v_add_f64 v[18:19], v[10:11], -1.0
	v_mbcnt_hi_u32_b32 v20, s13, v2
	v_cmp_eq_u32_e32 vcc, 0, v20
	s_waitcnt vmcnt(0) expcnt(0) lgkmcnt(0)
	v_mul_f64 v[2:3], v[8:9], -v[12:13]
	v_mul_f64 v[4:5], v[18:19], v[8:9]
	s_and_saveexec_b64 s[14:15], vcc
	s_cbranch_execz .LBB109_41
; %bb.40:
	s_ashr_i32 s9, s8, 31
	s_lshl_b64 s[18:19], s[8:9], 2
	s_add_u32 s18, s10, s18
	s_addc_u32 s19, s11, s19
	s_bcnt1_i32_b64 s9, s[12:13]
	s_and_b32 s9, s9, 1
	v_mov_b32_e32 v8, s9
	global_atomic_xor v1, v8, s[18:19]
.LBB109_41:
	s_or_b64 exec, exec, s[14:15]
	v_fmac_f64_e32 v[2:3], v[18:19], v[6:7]
	v_fmac_f64_e32 v[4:5], v[12:13], v[6:7]
.LBB109_42:
	s_or_b64 exec, exec, s[4:5]
	s_load_dword s5, s[34:35], 0x4
	s_mul_i32 s4, s28, 0xc00
	s_sub_i32 s9, s33, s44
	s_add_i32 s4, s9, s4
	v_add_u32_e32 v6, s4, v0
	s_waitcnt lgkmcnt(0)
	s_sub_i32 s5, s5, s44
	v_cmp_gt_i32_e32 vcc, s5, v6
	s_and_saveexec_b64 s[12:13], vcc
	s_cbranch_execz .LBB109_46
; %bb.43:
	v_ashrrev_i32_e32 v7, 31, v6
	v_lshlrev_b64 v[8:9], 3, v[6:7]
	v_mov_b32_e32 v1, s41
	v_add_co_u32_e32 v8, vcc, s40, v8
	v_addc_co_u32_e32 v1, vcc, v9, v1, vcc
	v_add_co_u32_e32 v8, vcc, 4, v8
	v_addc_co_u32_e32 v9, vcc, 0, v1, vcc
	v_lshlrev_b64 v[18:19], 2, v[6:7]
	s_addk_i32 s4, 0xc00
	v_mov_b32_e32 v1, s39
	v_add_co_u32_e32 v18, vcc, s38, v18
	s_min_i32 s9, s4, s5
	v_addc_co_u32_e32 v19, vcc, v1, v19, vcc
	s_mov_b64 s[14:15], 0
	v_mov_b32_e32 v1, s43
.LBB109_44:                             ; =>This Inner Loop Header: Depth=1
	global_load_dword v7, v[18:19], off
	global_load_dwordx2 v[24:25], v[8:9], off offset:-4
	v_add_u32_e32 v6, 0x100, v6
	v_cmp_le_i32_e64 s[4:5], s9, v6
	s_or_b64 s[14:15], s[4:5], s[14:15]
	s_waitcnt vmcnt(1)
	v_subrev_u32_e32 v20, s44, v7
	v_ashrrev_i32_e32 v21, 31, v20
	v_lshlrev_b64 v[20:21], 4, v[20:21]
	v_add_co_u32_e32 v20, vcc, s42, v20
	v_addc_co_u32_e32 v21, vcc, v1, v21, vcc
	global_load_dwordx4 v[20:23], v[20:21], off
	s_waitcnt vmcnt(1)
	v_cndmask_b32_e64 v7, v25, -v25, s[46:47]
	v_cvt_f64_f32_e32 v[26:27], v7
	v_add_co_u32_e32 v8, vcc, 0x800, v8
	v_cvt_f64_f32_e32 v[24:25], v24
	v_mul_f64 v[28:29], -v[16:17], v[26:27]
	v_mul_f64 v[26:27], v[14:15], v[26:27]
	v_addc_co_u32_e32 v9, vcc, 0, v9, vcc
	v_fmac_f64_e32 v[28:29], v[14:15], v[24:25]
	v_fmac_f64_e32 v[26:27], v[16:17], v[24:25]
	v_add_co_u32_e32 v18, vcc, 0x400, v18
	v_addc_co_u32_e32 v19, vcc, 0, v19, vcc
	s_waitcnt vmcnt(0)
	v_fmac_f64_e32 v[2:3], v[28:29], v[20:21]
	v_fmac_f64_e32 v[4:5], v[26:27], v[20:21]
	v_fma_f64 v[2:3], -v[26:27], v[22:23], v[2:3]
	v_fmac_f64_e32 v[4:5], v[28:29], v[22:23]
	s_andn2_b64 exec, exec, s[14:15]
	s_cbranch_execnz .LBB109_44
; %bb.45:
	s_or_b64 exec, exec, s[14:15]
.LBB109_46:
	s_or_b64 exec, exec, s[12:13]
	s_movk_i32 s4, 0x80
	v_lshlrev_b32_e32 v1, 4, v0
	v_cmp_gt_u32_e32 vcc, s4, v0
	ds_write_b128 v1, v[2:5]
	s_waitcnt lgkmcnt(0)
	s_barrier
	s_and_saveexec_b64 s[4:5], vcc
	s_cbranch_execz .LBB109_48
; %bb.47:
	ds_read_b128 v[2:5], v1 offset:2048
	ds_read_b128 v[6:9], v1
	s_waitcnt lgkmcnt(0)
	v_add_f64 v[2:3], v[2:3], v[6:7]
	v_add_f64 v[4:5], v[4:5], v[8:9]
	ds_write_b128 v1, v[2:5]
.LBB109_48:
	s_or_b64 exec, exec, s[4:5]
	v_cmp_gt_u32_e32 vcc, 64, v0
	s_waitcnt lgkmcnt(0)
	s_barrier
	s_and_saveexec_b64 s[4:5], vcc
	s_cbranch_execz .LBB109_50
; %bb.49:
	ds_read_b128 v[2:5], v1 offset:1024
	ds_read_b128 v[6:9], v1
	s_waitcnt lgkmcnt(0)
	v_add_f64 v[2:3], v[2:3], v[6:7]
	v_add_f64 v[4:5], v[4:5], v[8:9]
	ds_write_b128 v1, v[2:5]
.LBB109_50:
	s_or_b64 exec, exec, s[4:5]
	v_cmp_gt_u32_e32 vcc, 32, v0
	;; [unrolled: 14-line block ×6, first 2 shown]
	s_waitcnt lgkmcnt(0)
	s_barrier
	s_and_saveexec_b64 s[4:5], vcc
	s_cbranch_execz .LBB109_60
; %bb.59:
	ds_read_b128 v[2:5], v1
	ds_read_b128 v[6:9], v1 offset:32
	s_waitcnt lgkmcnt(0)
	v_add_f64 v[2:3], v[6:7], v[2:3]
	v_add_f64 v[4:5], v[8:9], v[4:5]
	ds_write_b128 v1, v[2:5]
.LBB109_60:
	s_or_b64 exec, exec, s[4:5]
	v_cmp_eq_u32_e32 vcc, 0, v0
	s_waitcnt lgkmcnt(0)
	s_barrier
	s_and_saveexec_b64 s[4:5], vcc
	s_cbranch_execz .LBB109_62
; %bb.61:
	v_mov_b32_e32 v1, 0
	ds_read_b128 v[2:5], v1
	ds_read_b128 v[6:9], v1 offset:16
	s_waitcnt lgkmcnt(0)
	v_add_f64 v[2:3], v[6:7], v[2:3]
	v_add_f64 v[4:5], v[8:9], v[4:5]
	ds_write_b128 v1, v[2:5]
.LBB109_62:
	s_or_b64 exec, exec, s[4:5]
	s_waitcnt lgkmcnt(0)
	s_barrier
	s_and_saveexec_b64 s[4:5], vcc
	s_cbranch_execz .LBB109_75
; %bb.63:
	s_cmp_eq_u32 s28, 0
	s_cbranch_scc1 .LBB109_69
; %bb.64:
	s_ashr_i32 s9, s8, 31
	s_lshl_b64 s[8:9], s[8:9], 2
	s_add_u32 s8, s10, s8
	s_addc_u32 s9, s11, s9
	v_mov_b32_e32 v1, 0
	s_branch .LBB109_66
.LBB109_65:                             ;   in Loop: Header=BB109_66 Depth=1
	s_or_b64 exec, exec, s[10:11]
	s_waitcnt vmcnt(0)
	v_readfirstlane_b32 s10, v2
	s_cmp_eq_u32 s10, s16
	s_cbranch_scc0 .LBB109_68
.LBB109_66:                             ; =>This Inner Loop Header: Depth=1
	v_mbcnt_lo_u32_b32 v2, exec_lo, 0
	v_mbcnt_hi_u32_b32 v2, exec_hi, v2
	v_cmp_eq_u32_e32 vcc, 0, v2
                                        ; implicit-def: $vgpr2
	s_and_saveexec_b64 s[10:11], vcc
	s_cbranch_execz .LBB109_65
; %bb.67:                               ;   in Loop: Header=BB109_66 Depth=1
	global_load_dword v2, v1, s[8:9] glc
	s_branch .LBB109_65
.LBB109_68:
	v_mov_b32_e32 v1, 0
	global_load_dword v2, v1, s[6:7]
	s_waitcnt vmcnt(0)
	v_xor_b32_e32 v2, 1, v2
	global_store_dword v1, v2, s[6:7]
.LBB109_69:
	v_mov_b32_e32 v1, 0
	ds_read_b128 v[2:5], v1
	s_mov_b64 s[10:11], exec
	s_lshl_b64 s[6:7], s[48:49], 4
	v_mbcnt_lo_u32_b32 v6, s10, 0
	s_add_u32 s6, s26, s6
	v_mbcnt_hi_u32_b32 v6, s11, v6
	s_addc_u32 s7, s27, s7
	v_cmp_eq_u32_e32 vcc, 0, v6
	s_and_saveexec_b64 s[8:9], vcc
	s_cbranch_execz .LBB109_72
; %bb.70:
	global_load_dwordx2 v[8:9], v1, s[6:7]
	s_bcnt1_i32_b64 s10, s[10:11]
	v_cvt_f64_u32_e32 v[6:7], s10
	s_waitcnt lgkmcnt(0)
	v_mul_f64 v[2:3], v[2:3], v[6:7]
	s_mov_b64 s[10:11], 0
.LBB109_71:                             ; =>This Inner Loop Header: Depth=1
	s_waitcnt vmcnt(0)
	v_add_f64 v[6:7], v[8:9], v[2:3]
	global_atomic_cmpswap_x2 v[6:7], v1, v[6:9], s[6:7] glc
	s_waitcnt vmcnt(0)
	v_cmp_eq_u64_e32 vcc, v[6:7], v[8:9]
	s_or_b64 s[10:11], vcc, s[10:11]
	v_pk_mov_b32 v[8:9], v[6:7], v[6:7] op_sel:[0,1]
	s_andn2_b64 exec, exec, s[10:11]
	s_cbranch_execnz .LBB109_71
.LBB109_72:
	s_or_b64 exec, exec, s[8:9]
	s_mov_b64 s[8:9], exec
	v_mbcnt_lo_u32_b32 v1, s8, 0
	v_mbcnt_hi_u32_b32 v1, s9, v1
	v_cmp_eq_u32_e32 vcc, 0, v1
	s_and_b64 s[10:11], exec, vcc
	s_mov_b64 exec, s[10:11]
	s_cbranch_execz .LBB109_75
; %bb.73:
	v_mov_b32_e32 v1, 0
	global_load_dwordx2 v[6:7], v1, s[6:7] offset:8
	s_bcnt1_i32_b64 s8, s[8:9]
	s_waitcnt lgkmcnt(0)
	v_cvt_f64_u32_e32 v[2:3], s8
	v_mul_f64 v[2:3], v[4:5], v[2:3]
	s_mov_b64 s[8:9], 0
.LBB109_74:                             ; =>This Inner Loop Header: Depth=1
	s_waitcnt vmcnt(0)
	v_add_f64 v[4:5], v[6:7], v[2:3]
	global_atomic_cmpswap_x2 v[4:5], v1, v[4:7], s[6:7] offset:8 glc
	s_waitcnt vmcnt(0)
	v_cmp_eq_u64_e32 vcc, v[4:5], v[6:7]
	s_or_b64 s[8:9], vcc, s[8:9]
	v_pk_mov_b32 v[6:7], v[4:5], v[4:5] op_sel:[0,1]
	s_andn2_b64 exec, exec, s[8:9]
	s_cbranch_execnz .LBB109_74
.LBB109_75:
	s_or_b64 exec, exec, s[4:5]
.LBB109_76:
	s_mov_b64 s[6:7], 0
.LBB109_77:
	s_andn2_b64 vcc, exec, s[6:7]
	s_cbranch_vccnz .LBB109_121
; %bb.78:
	v_subrev_u32_e32 v1, s44, v0
	s_waitcnt lgkmcnt(0)
	v_add_u32_e32 v2, s33, v1
	v_add_u32_e32 v1, 0x300, v2
	v_cmp_le_i32_e32 vcc, s29, v1
	s_and_saveexec_b64 s[4:5], vcc
	s_xor_b64 s[4:5], exec, s[4:5]
	s_cbranch_execz .LBB109_83
; %bb.79:
	s_ashr_i32 s7, s31, 31
	s_mov_b32 s6, s31
	s_lshl_b64 s[6:7], s[6:7], 2
	s_add_u32 s6, s36, s6
	s_addc_u32 s7, s37, s7
	s_load_dword s6, s[6:7], 0x0
	s_waitcnt lgkmcnt(0)
	s_sub_i32 s10, s6, s44
	v_cmp_gt_i32_e32 vcc, s10, v2
	s_and_saveexec_b64 s[6:7], vcc
	s_cbranch_execz .LBB109_82
; %bb.80:
	v_lshlrev_b32_e32 v1, 4, v0
	s_mov_b64 s[8:9], 0
	v_mov_b32_e32 v4, s41
	v_mov_b32_e32 v5, s39
	;; [unrolled: 1-line block ×3, first 2 shown]
.LBB109_81:                             ; =>This Inner Loop Header: Depth=1
	v_ashrrev_i32_e32 v3, 31, v2
	v_lshlrev_b64 v[8:9], 2, v[2:3]
	v_add_co_u32_e32 v8, vcc, s38, v8
	v_addc_co_u32_e32 v9, vcc, v5, v9, vcc
	global_load_dword v7, v[8:9], off
	v_lshlrev_b64 v[8:9], 3, v[2:3]
	v_add_co_u32_e32 v8, vcc, s40, v8
	v_addc_co_u32_e32 v9, vcc, v4, v9, vcc
	global_load_dwordx2 v[8:9], v[8:9], off
	v_add_u32_e32 v2, 0x100, v2
	s_waitcnt vmcnt(1)
	v_subrev_u32_e32 v18, s44, v7
	v_ashrrev_i32_e32 v19, 31, v18
	v_lshlrev_b64 v[18:19], 4, v[18:19]
	v_add_co_u32_e32 v18, vcc, s42, v18
	v_addc_co_u32_e32 v19, vcc, v6, v19, vcc
	global_load_dwordx4 v[18:21], v[18:19], off
	s_waitcnt vmcnt(1)
	v_cndmask_b32_e64 v3, v9, -v9, s[46:47]
	v_cvt_f64_f32_e32 v[22:23], v3
	v_cvt_f64_f32_e32 v[8:9], v8
	v_mul_f64 v[26:27], -v[16:17], v[22:23]
	v_mul_f64 v[28:29], v[14:15], v[22:23]
	v_fmac_f64_e32 v[26:27], v[14:15], v[8:9]
	v_fmac_f64_e32 v[28:29], v[16:17], v[8:9]
	v_cmp_le_i32_e32 vcc, s10, v2
	s_or_b64 s[8:9], vcc, s[8:9]
	s_waitcnt vmcnt(0)
	v_mul_f64 v[22:23], v[20:21], -v[28:29]
	v_mul_f64 v[24:25], v[20:21], v[26:27]
	v_fmac_f64_e32 v[22:23], v[26:27], v[18:19]
	v_fmac_f64_e32 v[24:25], v[28:29], v[18:19]
	ds_write_b128 v1, v[22:25]
	v_add_u32_e32 v1, 0x1000, v1
	s_andn2_b64 exec, exec, s[8:9]
	s_cbranch_execnz .LBB109_81
.LBB109_82:
	s_or_b64 exec, exec, s[6:7]
                                        ; implicit-def: $vgpr2
                                        ; implicit-def: $vgpr16_vgpr17
                                        ; implicit-def: $vgpr14_vgpr15
.LBB109_83:
	s_or_saveexec_b64 s[4:5], s[4:5]
	v_lshlrev_b32_e32 v18, 4, v0
	s_xor_b64 exec, exec, s[4:5]
	s_cbranch_execz .LBB109_85
; %bb.84:
	v_ashrrev_i32_e32 v3, 31, v2
	v_lshlrev_b64 v[4:5], 2, v[2:3]
	v_mov_b32_e32 v1, s39
	v_add_co_u32_e32 v4, vcc, s38, v4
	v_addc_co_u32_e32 v5, vcc, v1, v5, vcc
	global_load_dword v1, v[4:5], off
	global_load_dword v6, v[4:5], off offset:1024
	global_load_dword v7, v[4:5], off offset:2048
	;; [unrolled: 1-line block ×3, first 2 shown]
	v_lshlrev_b64 v[2:3], 3, v[2:3]
	v_mov_b32_e32 v4, s41
	v_add_co_u32_e32 v2, vcc, s40, v2
	s_movk_i32 s6, 0x1000
	v_addc_co_u32_e32 v3, vcc, v4, v3, vcc
	global_load_dwordx2 v[28:29], v[2:3], off
	global_load_dwordx2 v[30:31], v[2:3], off offset:2048
	v_add_co_u32_e32 v2, vcc, s6, v2
	v_addc_co_u32_e32 v3, vcc, 0, v3, vcc
	global_load_dwordx2 v[32:33], v[2:3], off
	global_load_dwordx2 v[34:35], v[2:3], off offset:2048
	v_mov_b32_e32 v19, s43
	s_waitcnt vmcnt(7)
	v_subrev_u32_e32 v2, s44, v1
	v_ashrrev_i32_e32 v3, 31, v2
	s_waitcnt vmcnt(6)
	v_subrev_u32_e32 v4, s44, v6
	v_lshlrev_b64 v[2:3], 4, v[2:3]
	v_ashrrev_i32_e32 v5, 31, v4
	v_add_co_u32_e32 v26, vcc, s42, v2
	s_waitcnt vmcnt(5)
	v_subrev_u32_e32 v6, s44, v7
	v_lshlrev_b64 v[4:5], 4, v[4:5]
	v_addc_co_u32_e32 v27, vcc, v19, v3, vcc
	v_ashrrev_i32_e32 v7, 31, v6
	v_add_co_u32_e32 v36, vcc, s42, v4
	s_waitcnt vmcnt(4)
	v_subrev_u32_e32 v8, s44, v8
	v_lshlrev_b64 v[6:7], 4, v[6:7]
	v_addc_co_u32_e32 v37, vcc, v19, v5, vcc
	v_ashrrev_i32_e32 v9, 31, v8
	v_add_co_u32_e32 v38, vcc, s42, v6
	v_lshlrev_b64 v[24:25], 4, v[8:9]
	v_addc_co_u32_e32 v39, vcc, v19, v7, vcc
	v_add_co_u32_e32 v24, vcc, s42, v24
	v_addc_co_u32_e32 v25, vcc, v19, v25, vcc
	global_load_dwordx4 v[2:5], v[26:27], off
	global_load_dwordx4 v[6:9], v[36:37], off
	;; [unrolled: 1-line block ×3, first 2 shown]
	s_waitcnt vmcnt(6)
	v_cndmask_b32_e64 v1, v29, -v29, s[46:47]
	global_load_dwordx4 v[24:27], v[24:25], off
	s_waitcnt vmcnt(6)
	v_cndmask_b32_e64 v19, v31, -v31, s[46:47]
	v_cvt_f64_f32_e32 v[36:37], v1
	v_cvt_f64_f32_e32 v[38:39], v19
	s_waitcnt vmcnt(5)
	v_cndmask_b32_e64 v1, v33, -v33, s[46:47]
	s_waitcnt vmcnt(4)
	v_cndmask_b32_e64 v19, v35, -v35, s[46:47]
	v_cvt_f64_f32_e32 v[28:29], v28
	v_mul_f64 v[40:41], -v[16:17], v[36:37]
	v_mul_f64 v[42:43], v[14:15], v[36:37]
	v_mul_f64 v[44:45], -v[16:17], v[38:39]
	v_mul_f64 v[46:47], v[14:15], v[38:39]
	v_cvt_f64_f32_e32 v[36:37], v1
	v_cvt_f64_f32_e32 v[38:39], v19
	v_cvt_f64_f32_e32 v[30:31], v30
	v_cvt_f64_f32_e32 v[32:33], v32
	v_cvt_f64_f32_e32 v[34:35], v34
	v_fmac_f64_e32 v[40:41], v[14:15], v[28:29]
	v_fmac_f64_e32 v[42:43], v[16:17], v[28:29]
	v_mul_f64 v[48:49], -v[16:17], v[36:37]
	v_mul_f64 v[50:51], v[14:15], v[36:37]
	v_mul_f64 v[52:53], -v[16:17], v[38:39]
	v_mul_f64 v[54:55], v[14:15], v[38:39]
	v_fmac_f64_e32 v[44:45], v[14:15], v[30:31]
	v_fmac_f64_e32 v[46:47], v[16:17], v[30:31]
	;; [unrolled: 1-line block ×6, first 2 shown]
	s_waitcnt vmcnt(3)
	v_mul_f64 v[14:15], v[4:5], -v[42:43]
	v_mul_f64 v[16:17], v[4:5], v[40:41]
	s_waitcnt vmcnt(2)
	v_mul_f64 v[28:29], v[8:9], -v[46:47]
	v_mul_f64 v[30:31], v[8:9], v[44:45]
	;; [unrolled: 3-line block ×4, first 2 shown]
	v_fmac_f64_e32 v[14:15], v[40:41], v[2:3]
	v_fmac_f64_e32 v[16:17], v[42:43], v[2:3]
	;; [unrolled: 1-line block ×8, first 2 shown]
	ds_write_b128 v18, v[14:17]
	ds_write_b128 v18, v[28:31] offset:4096
	ds_write_b128 v18, v[32:35] offset:8192
	;; [unrolled: 1-line block ×3, first 2 shown]
.LBB109_85:
	s_or_b64 exec, exec, s[4:5]
	s_cmp_lt_i32 s28, 2
	s_mov_b64 s[4:5], -1
	s_waitcnt lgkmcnt(0)
	s_barrier
	s_cbranch_scc0 .LBB109_96
; %bb.86:
	v_add_u32_e32 v6, s30, v0
	v_cmp_gt_i32_e32 vcc, s31, v6
	s_and_saveexec_b64 s[6:7], vcc
	s_cbranch_execz .LBB109_95
; %bb.87:
	v_cmp_neq_f64_e32 vcc, 0, v[10:11]
	v_cmp_neq_f64_e64 s[4:5], 0, v[12:13]
	s_lshl_b32 s10, s33, 4
	s_mov_b64 s[8:9], 0
	s_or_b64 s[4:5], vcc, s[4:5]
	s_sub_i32 s14, 0, s10
	v_mov_b32_e32 v1, s37
	v_mov_b32_e32 v14, s27
	s_branch .LBB109_89
.LBB109_88:                             ;   in Loop: Header=BB109_89 Depth=1
	s_or_b64 exec, exec, s[10:11]
	v_add_co_u32_e32 v8, vcc, s26, v8
	v_addc_co_u32_e32 v9, vcc, v14, v9, vcc
	v_add_u32_e32 v6, 0x100, v6
	v_cmp_le_i32_e32 vcc, s31, v6
	s_or_b64 s[8:9], vcc, s[8:9]
	global_store_dwordx4 v[8:9], v[2:5], off
	s_andn2_b64 exec, exec, s[8:9]
	s_cbranch_execz .LBB109_95
.LBB109_89:                             ; =>This Loop Header: Depth=1
                                        ;     Child Loop BB109_91 Depth 2
	v_ashrrev_i32_e32 v7, 31, v6
	v_lshlrev_b64 v[2:3], 2, v[6:7]
	v_add_co_u32_e32 v2, vcc, s36, v2
	v_addc_co_u32_e32 v3, vcc, v1, v3, vcc
	global_load_dwordx2 v[8:9], v[2:3], off
	v_pk_mov_b32 v[4:5], 0, 0
	v_pk_mov_b32 v[2:3], v[4:5], v[4:5] op_sel:[0,1]
	s_waitcnt vmcnt(0)
	v_cmp_lt_i32_e32 vcc, v8, v9
	s_and_saveexec_b64 s[10:11], vcc
	s_cbranch_execz .LBB109_93
; %bb.90:                               ;   in Loop: Header=BB109_89 Depth=1
	v_pk_mov_b32 v[4:5], 0, 0
	v_subrev_u32_e32 v9, s33, v9
	v_subrev_u32_e32 v15, s33, v8
	v_lshl_add_u32 v8, v8, 4, s14
	s_mov_b64 s[12:13], 0
	v_pk_mov_b32 v[2:3], v[4:5], v[4:5] op_sel:[0,1]
.LBB109_91:                             ;   Parent Loop BB109_89 Depth=1
                                        ; =>  This Inner Loop Header: Depth=2
	ds_read_b128 v[20:23], v8
	v_add_u32_e32 v15, 1, v15
	v_cmp_ge_i32_e32 vcc, v15, v9
	v_add_u32_e32 v8, 16, v8
	s_or_b64 s[12:13], vcc, s[12:13]
	s_waitcnt lgkmcnt(0)
	v_add_f64 v[2:3], v[2:3], v[20:21]
	v_add_f64 v[4:5], v[4:5], v[22:23]
	s_andn2_b64 exec, exec, s[12:13]
	s_cbranch_execnz .LBB109_91
; %bb.92:                               ;   in Loop: Header=BB109_89 Depth=1
	s_or_b64 exec, exec, s[12:13]
.LBB109_93:                             ;   in Loop: Header=BB109_89 Depth=1
	s_or_b64 exec, exec, s[10:11]
	v_lshlrev_b64 v[8:9], 4, v[6:7]
	s_and_saveexec_b64 s[10:11], s[4:5]
	s_cbranch_execz .LBB109_88
; %bb.94:                               ;   in Loop: Header=BB109_89 Depth=1
	v_mov_b32_e32 v7, s27
	v_add_co_u32_e32 v16, vcc, s26, v8
	v_addc_co_u32_e32 v17, vcc, v7, v9, vcc
	global_load_dwordx4 v[20:23], v[16:17], off
	s_waitcnt vmcnt(0)
	v_fmac_f64_e32 v[2:3], v[10:11], v[20:21]
	v_fmac_f64_e32 v[4:5], v[12:13], v[20:21]
	v_fma_f64 v[2:3], -v[12:13], v[22:23], v[2:3]
	v_fmac_f64_e32 v[4:5], v[10:11], v[22:23]
	s_branch .LBB109_88
.LBB109_95:
	s_or_b64 exec, exec, s[6:7]
	s_mov_b64 s[4:5], 0
.LBB109_96:
	s_andn2_b64 vcc, exec, s[4:5]
	s_cbranch_vccnz .LBB109_121
; %bb.97:
	s_flbit_i32_b32 s4, s28
	s_xor_b32 s4, s4, 31
	v_lshrrev_b32_e32 v6, s4, v0
	s_add_i32 s4, s28, -1
	v_add_u32_e32 v4, s30, v6
	v_and_b32_e32 v5, s4, v0
	v_pk_mov_b32 v[0:1], 0, 0
	v_cmp_le_i32_e32 vcc, s31, v4
	v_cmp_gt_i32_e64 s[4:5], s31, v4
	v_pk_mov_b32 v[2:3], v[0:1], v[0:1] op_sel:[0,1]
	s_and_saveexec_b64 s[6:7], s[4:5]
	s_cbranch_execz .LBB109_103
; %bb.98:
	v_lshlrev_b32_e32 v0, 2, v6
	global_load_dwordx2 v[0:1], v0, s[34:35]
	v_subrev_u32_e32 v7, s33, v5
	v_pk_mov_b32 v[2:3], 0, 0
	s_waitcnt vmcnt(0)
	v_subrev_u32_e32 v6, s33, v1
	v_add_u32_e32 v7, v0, v7
	v_cmp_lt_i32_e64 s[4:5], v7, v6
	v_pk_mov_b32 v[0:1], v[2:3], v[2:3] op_sel:[0,1]
	s_and_saveexec_b64 s[8:9], s[4:5]
	s_cbranch_execz .LBB109_102
; %bb.99:
	v_pk_mov_b32 v[2:3], 0, 0
	v_lshlrev_b32_e32 v8, 4, v7
	s_lshl_b32 s12, s28, 4
	s_mov_b64 s[10:11], 0
	v_pk_mov_b32 v[0:1], v[2:3], v[2:3] op_sel:[0,1]
.LBB109_100:                            ; =>This Inner Loop Header: Depth=1
	ds_read_b128 v[14:17], v8
	v_add_u32_e32 v7, s28, v7
	v_cmp_ge_i32_e64 s[4:5], v7, v6
	v_add_u32_e32 v8, s12, v8
	s_or_b64 s[10:11], s[4:5], s[10:11]
	s_waitcnt lgkmcnt(0)
	v_add_f64 v[0:1], v[0:1], v[14:15]
	v_add_f64 v[2:3], v[2:3], v[16:17]
	s_andn2_b64 exec, exec, s[10:11]
	s_cbranch_execnz .LBB109_100
; %bb.101:
	s_or_b64 exec, exec, s[10:11]
.LBB109_102:
	s_or_b64 exec, exec, s[8:9]
.LBB109_103:
	s_or_b64 exec, exec, s[6:7]
	s_cmpk_lt_i32 s28, 0x81
	s_barrier
	ds_write_b128 v18, v[0:3]
	s_waitcnt lgkmcnt(0)
	s_barrier
	s_cbranch_scc1 .LBB109_105
; %bb.104:
	ds_read_b128 v[6:9], v18 offset:2048
	s_waitcnt lgkmcnt(0)
	s_barrier
	v_add_f64 v[0:1], v[0:1], v[6:7]
	v_add_f64 v[2:3], v[2:3], v[8:9]
	ds_write_b128 v18, v[0:3]
.LBB109_105:
	s_cmpk_lt_i32 s28, 0x41
	s_waitcnt lgkmcnt(0)
	s_barrier
	s_cbranch_scc1 .LBB109_107
; %bb.106:
	ds_read_b128 v[6:9], v18 offset:1024
	s_waitcnt lgkmcnt(0)
	s_barrier
	v_add_f64 v[0:1], v[0:1], v[6:7]
	v_add_f64 v[2:3], v[2:3], v[8:9]
	ds_write_b128 v18, v[0:3]
.LBB109_107:
	s_cmp_lt_i32 s28, 33
	s_waitcnt lgkmcnt(0)
	s_barrier
	s_cbranch_scc1 .LBB109_109
; %bb.108:
	ds_read_b128 v[6:9], v18 offset:512
	s_waitcnt lgkmcnt(0)
	s_barrier
	v_add_f64 v[0:1], v[0:1], v[6:7]
	v_add_f64 v[2:3], v[2:3], v[8:9]
	ds_write_b128 v18, v[0:3]
.LBB109_109:
	s_cmp_lt_i32 s28, 17
	s_waitcnt lgkmcnt(0)
	s_barrier
	s_cbranch_scc1 .LBB109_111
; %bb.110:
	ds_read_b128 v[6:9], v18 offset:256
	s_waitcnt lgkmcnt(0)
	s_barrier
	v_add_f64 v[0:1], v[0:1], v[6:7]
	v_add_f64 v[2:3], v[2:3], v[8:9]
	ds_write_b128 v18, v[0:3]
.LBB109_111:
	s_cmp_lt_i32 s28, 9
	s_waitcnt lgkmcnt(0)
	s_barrier
	s_cbranch_scc1 .LBB109_113
; %bb.112:
	ds_read_b128 v[6:9], v18 offset:128
	s_waitcnt lgkmcnt(0)
	s_barrier
	v_add_f64 v[0:1], v[0:1], v[6:7]
	v_add_f64 v[2:3], v[2:3], v[8:9]
	ds_write_b128 v18, v[0:3]
.LBB109_113:
	s_cmp_lt_i32 s28, 5
	s_waitcnt lgkmcnt(0)
	s_barrier
	s_cbranch_scc1 .LBB109_115
; %bb.114:
	ds_read_b128 v[6:9], v18 offset:64
	s_waitcnt lgkmcnt(0)
	s_barrier
	v_add_f64 v[0:1], v[0:1], v[6:7]
	v_add_f64 v[2:3], v[2:3], v[8:9]
	ds_write_b128 v18, v[0:3]
.LBB109_115:
	s_cmp_eq_u32 s28, 2
	s_waitcnt lgkmcnt(0)
	s_barrier
	s_cbranch_scc1 .LBB109_117
; %bb.116:
	ds_read_b128 v[6:9], v18 offset:32
	s_waitcnt lgkmcnt(0)
	s_barrier
	v_add_f64 v[0:1], v[0:1], v[6:7]
	v_add_f64 v[2:3], v[2:3], v[8:9]
	ds_write_b128 v18, v[0:3]
.LBB109_117:
	s_waitcnt lgkmcnt(0)
	s_barrier
	ds_read_b128 v[6:9], v18 offset:16
	v_cmp_eq_u32_e64 s[4:5], 0, v5
	s_xor_b64 s[6:7], vcc, -1
	s_and_b64 s[4:5], s[4:5], s[6:7]
	s_waitcnt lgkmcnt(0)
	v_add_f64 v[0:1], v[0:1], v[6:7]
	v_add_f64 v[2:3], v[2:3], v[8:9]
	s_barrier
	ds_write_b128 v18, v[0:3]
	s_and_b64 exec, exec, s[4:5]
	s_cbranch_execz .LBB109_121
; %bb.118:
	v_ashrrev_i32_e32 v5, 31, v4
	v_cmp_neq_f64_e32 vcc, 0, v[10:11]
	v_cmp_neq_f64_e64 s[4:5], 0, v[12:13]
	s_or_b64 s[6:7], vcc, s[4:5]
	v_lshlrev_b64 v[4:5], 4, v[4:5]
	s_and_saveexec_b64 s[4:5], s[6:7]
	s_cbranch_execz .LBB109_120
; %bb.119:
	v_mov_b32_e32 v7, s27
	v_add_co_u32_e32 v6, vcc, s26, v4
	v_addc_co_u32_e32 v7, vcc, v7, v5, vcc
	global_load_dwordx4 v[6:9], v[6:7], off
	s_waitcnt vmcnt(0)
	v_fmac_f64_e32 v[0:1], v[10:11], v[6:7]
	v_fmac_f64_e32 v[2:3], v[12:13], v[6:7]
	v_fma_f64 v[0:1], -v[12:13], v[8:9], v[0:1]
	v_fmac_f64_e32 v[2:3], v[10:11], v[8:9]
.LBB109_120:
	s_or_b64 exec, exec, s[4:5]
	v_mov_b32_e32 v6, s27
	v_add_co_u32_e32 v4, vcc, s26, v4
	v_addc_co_u32_e32 v5, vcc, v6, v5, vcc
	global_store_dwordx4 v[4:5], v[0:3], off
.LBB109_121:
	s_endpgm
	.section	.rodata,"a",@progbits
	.p2align	6, 0x0
	.amdhsa_kernel _ZN9rocsparseL22csrmvn_adaptive_kernelIii21rocsparse_complex_numIfES1_IdES3_S3_EEvbT_PKS4_PjPKT0_NS_24const_host_device_scalarIT4_EES6_SA_PKT1_PKT2_SD_PT3_21rocsparse_index_base_b
		.amdhsa_group_segment_fixed_size 16384
		.amdhsa_private_segment_fixed_size 24
		.amdhsa_kernarg_size 112
		.amdhsa_user_sgpr_count 8
		.amdhsa_user_sgpr_private_segment_buffer 1
		.amdhsa_user_sgpr_dispatch_ptr 0
		.amdhsa_user_sgpr_queue_ptr 0
		.amdhsa_user_sgpr_kernarg_segment_ptr 1
		.amdhsa_user_sgpr_dispatch_id 0
		.amdhsa_user_sgpr_flat_scratch_init 1
		.amdhsa_user_sgpr_kernarg_preload_length 0
		.amdhsa_user_sgpr_kernarg_preload_offset 0
		.amdhsa_user_sgpr_private_segment_size 0
		.amdhsa_uses_dynamic_stack 0
		.amdhsa_system_sgpr_private_segment_wavefront_offset 1
		.amdhsa_system_sgpr_workgroup_id_x 1
		.amdhsa_system_sgpr_workgroup_id_y 0
		.amdhsa_system_sgpr_workgroup_id_z 0
		.amdhsa_system_sgpr_workgroup_info 0
		.amdhsa_system_vgpr_workitem_id 0
		.amdhsa_next_free_vgpr 56
		.amdhsa_next_free_sgpr 64
		.amdhsa_accum_offset 56
		.amdhsa_reserve_vcc 1
		.amdhsa_reserve_flat_scratch 1
		.amdhsa_float_round_mode_32 0
		.amdhsa_float_round_mode_16_64 0
		.amdhsa_float_denorm_mode_32 3
		.amdhsa_float_denorm_mode_16_64 3
		.amdhsa_dx10_clamp 1
		.amdhsa_ieee_mode 1
		.amdhsa_fp16_overflow 0
		.amdhsa_tg_split 0
		.amdhsa_exception_fp_ieee_invalid_op 0
		.amdhsa_exception_fp_denorm_src 0
		.amdhsa_exception_fp_ieee_div_zero 0
		.amdhsa_exception_fp_ieee_overflow 0
		.amdhsa_exception_fp_ieee_underflow 0
		.amdhsa_exception_fp_ieee_inexact 0
		.amdhsa_exception_int_div_zero 0
	.end_amdhsa_kernel
	.section	.text._ZN9rocsparseL22csrmvn_adaptive_kernelIii21rocsparse_complex_numIfES1_IdES3_S3_EEvbT_PKS4_PjPKT0_NS_24const_host_device_scalarIT4_EES6_SA_PKT1_PKT2_SD_PT3_21rocsparse_index_base_b,"axG",@progbits,_ZN9rocsparseL22csrmvn_adaptive_kernelIii21rocsparse_complex_numIfES1_IdES3_S3_EEvbT_PKS4_PjPKT0_NS_24const_host_device_scalarIT4_EES6_SA_PKT1_PKT2_SD_PT3_21rocsparse_index_base_b,comdat
.Lfunc_end109:
	.size	_ZN9rocsparseL22csrmvn_adaptive_kernelIii21rocsparse_complex_numIfES1_IdES3_S3_EEvbT_PKS4_PjPKT0_NS_24const_host_device_scalarIT4_EES6_SA_PKT1_PKT2_SD_PT3_21rocsparse_index_base_b, .Lfunc_end109-_ZN9rocsparseL22csrmvn_adaptive_kernelIii21rocsparse_complex_numIfES1_IdES3_S3_EEvbT_PKS4_PjPKT0_NS_24const_host_device_scalarIT4_EES6_SA_PKT1_PKT2_SD_PT3_21rocsparse_index_base_b
                                        ; -- End function
	.section	.AMDGPU.csdata,"",@progbits
; Kernel info:
; codeLenInByte = 5112
; NumSgprs: 70
; NumVgprs: 56
; NumAgprs: 0
; TotalNumVgprs: 56
; ScratchSize: 24
; MemoryBound: 0
; FloatMode: 240
; IeeeMode: 1
; LDSByteSize: 16384 bytes/workgroup (compile time only)
; SGPRBlocks: 8
; VGPRBlocks: 6
; NumSGPRsForWavesPerEU: 70
; NumVGPRsForWavesPerEU: 56
; AccumOffset: 56
; Occupancy: 4
; WaveLimiterHint : 1
; COMPUTE_PGM_RSRC2:SCRATCH_EN: 1
; COMPUTE_PGM_RSRC2:USER_SGPR: 8
; COMPUTE_PGM_RSRC2:TRAP_HANDLER: 0
; COMPUTE_PGM_RSRC2:TGID_X_EN: 1
; COMPUTE_PGM_RSRC2:TGID_Y_EN: 0
; COMPUTE_PGM_RSRC2:TGID_Z_EN: 0
; COMPUTE_PGM_RSRC2:TIDIG_COMP_CNT: 0
; COMPUTE_PGM_RSRC3_GFX90A:ACCUM_OFFSET: 13
; COMPUTE_PGM_RSRC3_GFX90A:TG_SPLIT: 0
	.section	.text._ZN9rocsparseL27csrmvn_symm_adaptive_kernelIii21rocsparse_complex_numIfES1_IdES3_S3_EEvbT_S4_PKS4_NS_24const_host_device_scalarIT4_EES6_PKT0_PKT1_PKT2_S9_PT3_21rocsparse_index_base_b,"axG",@progbits,_ZN9rocsparseL27csrmvn_symm_adaptive_kernelIii21rocsparse_complex_numIfES1_IdES3_S3_EEvbT_S4_PKS4_NS_24const_host_device_scalarIT4_EES6_PKT0_PKT1_PKT2_S9_PT3_21rocsparse_index_base_b,comdat
	.globl	_ZN9rocsparseL27csrmvn_symm_adaptive_kernelIii21rocsparse_complex_numIfES1_IdES3_S3_EEvbT_S4_PKS4_NS_24const_host_device_scalarIT4_EES6_PKT0_PKT1_PKT2_S9_PT3_21rocsparse_index_base_b ; -- Begin function _ZN9rocsparseL27csrmvn_symm_adaptive_kernelIii21rocsparse_complex_numIfES1_IdES3_S3_EEvbT_S4_PKS4_NS_24const_host_device_scalarIT4_EES6_PKT0_PKT1_PKT2_S9_PT3_21rocsparse_index_base_b
	.p2align	8
	.type	_ZN9rocsparseL27csrmvn_symm_adaptive_kernelIii21rocsparse_complex_numIfES1_IdES3_S3_EEvbT_S4_PKS4_NS_24const_host_device_scalarIT4_EES6_PKT0_PKT1_PKT2_S9_PT3_21rocsparse_index_base_b,@function
_ZN9rocsparseL27csrmvn_symm_adaptive_kernelIii21rocsparse_complex_numIfES1_IdES3_S3_EEvbT_S4_PKS4_NS_24const_host_device_scalarIT4_EES6_PKT0_PKT1_PKT2_S9_PT3_21rocsparse_index_base_b: ; @_ZN9rocsparseL27csrmvn_symm_adaptive_kernelIii21rocsparse_complex_numIfES1_IdES3_S3_EEvbT_S4_PKS4_NS_24const_host_device_scalarIT4_EES6_PKT0_PKT1_PKT2_S9_PT3_21rocsparse_index_base_b
; %bb.0:
	s_add_u32 flat_scratch_lo, s6, s9
	s_addc_u32 flat_scratch_hi, s7, 0
	s_load_dwordx2 s[36:37], s[4:5], 0x60
	s_load_dwordx4 s[16:19], s[4:5], 0x18
	s_load_dwordx4 s[12:15], s[4:5], 0x48
	s_add_u32 s0, s0, s9
	s_addc_u32 s1, s1, 0
	s_waitcnt lgkmcnt(0)
	s_bitcmp1_b32 s37, 0
	v_mov_b32_e32 v1, 0
	v_mov_b32_e32 v3, s16
	s_cselect_b64 s[6:7], -1, 0
	v_cndmask_b32_e64 v2, v3, v1, s[6:7]
	v_mov_b32_e32 v1, s17
	s_mov_b64 s[10:11], src_private_base
	s_and_b64 vcc, s[6:7], exec
	buffer_store_dword v1, off, s[0:3], 0 offset:4
	buffer_store_dword v3, off, s[0:3], 0
	v_mov_b32_e32 v1, s13
	s_cselect_b32 s9, s11, s17
	buffer_store_dword v1, off, s[0:3], 0 offset:12
	v_mov_b32_e32 v1, s12
	buffer_store_dword v1, off, s[0:3], 0 offset:8
	v_mov_b32_e32 v3, s9
	flat_load_dwordx2 v[12:13], v[2:3]
	s_xor_b64 s[20:21], s[6:7], -1
	v_pk_mov_b32 v[14:15], s[18:19], s[18:19] op_sel:[0,1]
	s_cbranch_vccnz .LBB110_2
; %bb.1:
	v_pk_mov_b32 v[2:3], s[16:17], s[16:17] op_sel:[0,1]
	flat_load_dwordx2 v[14:15], v[2:3] offset:8
.LBB110_2:
	s_and_b64 s[16:17], s[6:7], exec
	s_cselect_b32 s9, s11, s13
	v_mov_b32_e32 v1, 8
	v_mov_b32_e32 v2, s12
	v_cndmask_b32_e64 v2, v2, v1, s[6:7]
	v_mov_b32_e32 v3, s9
	flat_load_dwordx2 v[2:3], v[2:3]
	s_andn2_b64 vcc, exec, s[20:21]
	v_pk_mov_b32 v[4:5], s[14:15], s[14:15] op_sel:[0,1]
	s_cbranch_vccnz .LBB110_4
; %bb.3:
	v_pk_mov_b32 v[4:5], s[12:13], s[12:13] op_sel:[0,1]
	flat_load_dwordx2 v[4:5], v[4:5] offset:8
.LBB110_4:
	s_waitcnt vmcnt(0) lgkmcnt(0)
	v_cmp_eq_f64_e32 vcc, 0, v[12:13]
	v_cmp_eq_f64_e64 s[6:7], 0, v[14:15]
	s_and_b64 s[12:13], vcc, s[6:7]
	s_mov_b64 s[6:7], -1
	s_and_saveexec_b64 s[10:11], s[12:13]
; %bb.5:
	v_cmp_neq_f64_e32 vcc, 1.0, v[2:3]
	v_cmp_neq_f64_e64 s[6:7], 0, v[4:5]
	s_or_b64 s[6:7], vcc, s[6:7]
	s_orn2_b64 s[6:7], s[6:7], exec
; %bb.6:
	s_or_b64 exec, exec, s[10:11]
	s_and_saveexec_b64 s[10:11], s[6:7]
	s_cbranch_execz .LBB110_206
; %bb.7:
	s_load_dwordx4 s[28:31], s[4:5], 0x0
	s_load_dwordx2 s[6:7], s[4:5], 0x10
	s_mov_b32 s12, 0
	s_mov_b32 s13, s12
	;; [unrolled: 1-line block ×3, first 2 shown]
	s_waitcnt lgkmcnt(0)
	s_bitcmp1_b32 s28, 0
	s_cselect_b64 s[38:39], -1, 0
	s_ashr_i32 s9, s8, 31
	s_lshl_b64 s[8:9], s[8:9], 2
	s_mov_b32 s15, s12
	v_pk_mov_b32 v[2:3], s[12:13], s[12:13] op_sel:[0,1]
	s_add_u32 s6, s6, s8
	v_lshlrev_b32_e32 v1, 4, v0
	v_pk_mov_b32 v[4:5], s[14:15], s[14:15] op_sel:[0,1]
	s_addc_u32 s7, s7, s9
	ds_write_b128 v1, v[2:5]
	ds_write_b128 v1, v[2:5] offset:4096
	ds_write_b128 v1, v[2:5] offset:8192
	;; [unrolled: 1-line block ×3, first 2 shown]
	s_waitcnt lgkmcnt(0)
	s_barrier
	s_load_dwordx2 s[34:35], s[6:7], 0x0
	s_load_dwordx2 s[18:19], s[4:5], 0x58
	s_load_dwordx8 s[20:27], s[4:5], 0x28
	s_mov_b64 s[6:7], -1
	v_subrev_u32_e32 v24, s36, v0
	s_waitcnt lgkmcnt(0)
	s_sub_i32 s28, s35, s34
	s_cmp_gt_i32 s28, 2
	s_cbranch_scc1 .LBB110_53
; %bb.8:
	s_cmp_gt_i32 s35, s34
	s_cbranch_scc1 .LBB110_10
; %bb.9:
	s_ashr_i32 s7, s34, 31
	s_mov_b32 s6, s34
	s_lshl_b64 s[6:7], s[6:7], 2
	s_add_u32 s6, s20, s6
	s_addc_u32 s7, s21, s7
	s_load_dword s31, s[6:7], 0x0
	s_cbranch_execz .LBB110_11
	s_branch .LBB110_40
.LBB110_10:
                                        ; implicit-def: $sgpr31
	s_andn2_b64 vcc, exec, s[6:7]
	s_cbranch_vccnz .LBB110_40
.LBB110_11:
	s_ashr_i32 s17, s34, 31
	s_mov_b32 s16, s34
	s_lshl_b64 s[16:17], s[16:17], 2
	s_add_u32 s16, s20, s16
	s_addc_u32 s17, s21, s17
	s_waitcnt lgkmcnt(0)
	s_load_dword s31, s[16:17], 0x0
	s_add_u32 s33, s20, 4
	s_addc_u32 s37, s21, 0
	s_movk_i32 s6, 0x100
	s_add_u32 s48, s24, 4
	v_cmp_gt_u32_e64 s[6:7], s6, v0
	v_cmp_gt_u32_e64 s[8:9], 64, v0
	;; [unrolled: 1-line block ×4, first 2 shown]
	v_cmp_eq_u32_e64 s[14:15], 0, v0
	s_addc_u32 s49, s25, 0
	v_mov_b32_e32 v16, s27
	v_mov_b32_e32 v17, 0
	s_waitcnt lgkmcnt(0)
	s_mov_b32 s50, s31
	s_mov_b32 s40, s34
	s_branch .LBB110_13
.LBB110_12:                             ;   in Loop: Header=BB110_13 Depth=1
	s_or_b64 exec, exec, s[16:17]
	s_add_i32 s40, s40, 1
	s_cmp_ge_i32 s40, s35
	s_cbranch_scc1 .LBB110_40
.LBB110_13:                             ; =>This Loop Header: Depth=1
                                        ;     Child Loop BB110_15 Depth 2
                                        ;     Child Loop BB110_29 Depth 2
	;; [unrolled: 1-line block ×5, first 2 shown]
	s_ashr_i32 s41, s40, 31
	s_lshl_b64 s[16:17], s[40:41], 2
	s_add_u32 s16, s33, s16
	s_addc_u32 s17, s37, s17
	s_mov_b32 s42, s50
	s_load_dword s50, s[16:17], 0x0
	v_pk_mov_b32 v[4:5], 0, 0
	v_add_u32_e32 v6, s42, v24
	v_pk_mov_b32 v[2:3], v[4:5], v[4:5] op_sel:[0,1]
	s_waitcnt lgkmcnt(0)
	s_sub_i32 s46, s50, s36
	v_cmp_gt_i32_e32 vcc, s46, v6
	s_and_saveexec_b64 s[42:43], vcc
	s_cbranch_execz .LBB110_17
; %bb.14:                               ;   in Loop: Header=BB110_13 Depth=1
	v_ashrrev_i32_e32 v7, 31, v6
	v_lshlrev_b64 v[2:3], 2, v[6:7]
	v_mov_b32_e32 v4, s23
	v_add_co_u32_e32 v8, vcc, s22, v2
	v_addc_co_u32_e32 v9, vcc, v4, v3, vcc
	v_lshlrev_b64 v[2:3], 3, v[6:7]
	v_mov_b32_e32 v4, s49
	v_add_co_u32_e32 v10, vcc, s48, v2
	v_addc_co_u32_e32 v11, vcc, v4, v3, vcc
	v_pk_mov_b32 v[4:5], 0, 0
	s_mov_b64 s[44:45], 0
	v_pk_mov_b32 v[2:3], v[4:5], v[4:5] op_sel:[0,1]
.LBB110_15:                             ;   Parent Loop BB110_13 Depth=1
                                        ; =>  This Inner Loop Header: Depth=2
	global_load_dword v7, v[8:9], off
	global_load_dwordx2 v[22:23], v[10:11], off offset:-4
	v_add_u32_e32 v6, 0x100, v6
	v_cmp_le_i32_e64 s[16:17], s46, v6
	s_or_b64 s[44:45], s[16:17], s[44:45]
	s_waitcnt vmcnt(1)
	v_subrev_u32_e32 v18, s36, v7
	v_ashrrev_i32_e32 v19, 31, v18
	v_lshlrev_b64 v[18:19], 4, v[18:19]
	v_add_co_u32_e32 v18, vcc, s26, v18
	v_addc_co_u32_e32 v19, vcc, v16, v19, vcc
	global_load_dwordx4 v[18:21], v[18:19], off
	v_add_co_u32_e32 v8, vcc, 0x400, v8
	s_waitcnt vmcnt(1)
	v_cndmask_b32_e64 v7, v23, -v23, s[38:39]
	v_addc_co_u32_e32 v9, vcc, 0, v9, vcc
	v_cvt_f64_f32_e32 v[22:23], v22
	v_cvt_f64_f32_e32 v[26:27], v7
	v_add_co_u32_e32 v10, vcc, 0x800, v10
	v_addc_co_u32_e32 v11, vcc, 0, v11, vcc
	s_waitcnt vmcnt(0)
	v_fmac_f64_e32 v[2:3], v[22:23], v[18:19]
	v_fmac_f64_e32 v[4:5], v[26:27], v[18:19]
	v_fma_f64 v[2:3], -v[26:27], v[20:21], v[2:3]
	v_fmac_f64_e32 v[4:5], v[22:23], v[20:21]
	s_andn2_b64 exec, exec, s[44:45]
	s_cbranch_execnz .LBB110_15
; %bb.16:                               ;   in Loop: Header=BB110_13 Depth=1
	s_or_b64 exec, exec, s[44:45]
.LBB110_17:                             ;   in Loop: Header=BB110_13 Depth=1
	s_or_b64 exec, exec, s[42:43]
	ds_write_b128 v1, v[2:5]
	s_waitcnt lgkmcnt(0)
	s_barrier
	s_and_saveexec_b64 s[16:17], s[6:7]
	s_cbranch_execz .LBB110_19
; %bb.18:                               ;   in Loop: Header=BB110_13 Depth=1
	ds_read_b128 v[2:5], v1 offset:4096
	ds_read_b128 v[6:9], v1 offset:8192
	ds_read_b128 v[18:21], v1 offset:12288
	ds_read_b128 v[26:29], v1
	s_waitcnt lgkmcnt(2)
	v_add_f64 v[2:3], v[6:7], v[2:3]
	v_add_f64 v[4:5], v[8:9], v[4:5]
	s_waitcnt lgkmcnt(1)
	v_add_f64 v[2:3], v[2:3], v[18:19]
	v_add_f64 v[4:5], v[4:5], v[20:21]
	s_waitcnt lgkmcnt(0)
	v_add_f64 v[2:3], v[2:3], v[26:27]
	v_add_f64 v[4:5], v[4:5], v[28:29]
	ds_write_b128 v1, v[2:5]
.LBB110_19:                             ;   in Loop: Header=BB110_13 Depth=1
	s_or_b64 exec, exec, s[16:17]
	s_waitcnt lgkmcnt(0)
	s_barrier
	s_and_saveexec_b64 s[16:17], s[8:9]
	s_cbranch_execz .LBB110_21
; %bb.20:                               ;   in Loop: Header=BB110_13 Depth=1
	ds_read_b128 v[2:5], v1 offset:1024
	ds_read_b128 v[6:9], v1 offset:2048
	ds_read_b128 v[18:21], v1 offset:3072
	ds_read_b128 v[26:29], v1
	s_waitcnt lgkmcnt(2)
	v_add_f64 v[2:3], v[6:7], v[2:3]
	v_add_f64 v[4:5], v[8:9], v[4:5]
	s_waitcnt lgkmcnt(1)
	v_add_f64 v[2:3], v[2:3], v[18:19]
	v_add_f64 v[4:5], v[4:5], v[20:21]
	s_waitcnt lgkmcnt(0)
	v_add_f64 v[2:3], v[2:3], v[26:27]
	v_add_f64 v[4:5], v[4:5], v[28:29]
	ds_write_b128 v1, v[2:5]
.LBB110_21:                             ;   in Loop: Header=BB110_13 Depth=1
	s_or_b64 exec, exec, s[16:17]
	;; [unrolled: 21-line block ×5, first 2 shown]
	s_waitcnt lgkmcnt(0)
	s_barrier
	s_and_saveexec_b64 s[16:17], s[14:15]
	s_cbranch_execz .LBB110_12
; %bb.28:                               ;   in Loop: Header=BB110_13 Depth=1
	ds_read_b128 v[2:5], v17
	v_mov_b32_e32 v10, 0
	s_mov_b64 s[42:43], exec
	v_bfrev_b32_e32 v11, 1
	s_waitcnt lgkmcnt(0)
	v_mul_f64 v[6:7], v[4:5], -v[14:15]
	v_fmac_f64_e32 v[6:7], v[12:13], v[2:3]
.LBB110_29:                             ;   Parent Loop BB110_13 Depth=1
                                        ; =>  This Inner Loop Header: Depth=2
	s_ff1_i32_b64 s46, s[42:43]
	v_readlane_b32 s45, v7, s46
	v_readlane_b32 s44, v6, s46
	s_lshl_b64 s[46:47], 1, s46
	s_andn2_b64 s[42:43], s[42:43], s[46:47]
	s_cmp_lg_u64 s[42:43], 0
	v_add_f64 v[10:11], v[10:11], s[44:45]
	s_cbranch_scc1 .LBB110_29
; %bb.30:                               ;   in Loop: Header=BB110_13 Depth=1
	s_lshl_b64 s[42:43], s[40:41], 4
	v_mbcnt_lo_u32_b32 v6, exec_lo, 0
	s_add_u32 s42, s18, s42
	v_mbcnt_hi_u32_b32 v6, exec_hi, v6
	s_addc_u32 s43, s19, s43
	v_cmp_eq_u32_e32 vcc, 0, v6
	s_and_saveexec_b64 s[44:45], vcc
	s_xor_b64 s[44:45], exec, s[44:45]
	s_cbranch_execz .LBB110_34
; %bb.31:                               ;   in Loop: Header=BB110_13 Depth=1
	global_load_dwordx2 v[8:9], v17, s[42:43]
	s_mov_b64 s[46:47], 0
.LBB110_32:                             ;   Parent Loop BB110_13 Depth=1
                                        ; =>  This Inner Loop Header: Depth=2
	s_waitcnt vmcnt(0)
	v_add_f64 v[6:7], v[8:9], v[10:11]
	global_atomic_cmpswap_x2 v[6:7], v17, v[6:9], s[42:43] glc
	s_waitcnt vmcnt(0)
	v_cmp_eq_u64_e32 vcc, v[6:7], v[8:9]
	s_or_b64 s[46:47], vcc, s[46:47]
	v_pk_mov_b32 v[8:9], v[6:7], v[6:7] op_sel:[0,1]
	s_andn2_b64 exec, exec, s[46:47]
	s_cbranch_execnz .LBB110_32
; %bb.33:                               ;   in Loop: Header=BB110_13 Depth=1
	s_or_b64 exec, exec, s[46:47]
.LBB110_34:                             ;   in Loop: Header=BB110_13 Depth=1
	s_or_b64 exec, exec, s[44:45]
	v_mul_f64 v[4:5], v[12:13], v[4:5]
	v_mov_b32_e32 v6, 0
	s_mov_b64 s[44:45], exec
	v_fmac_f64_e32 v[4:5], v[14:15], v[2:3]
	v_bfrev_b32_e32 v7, 1
.LBB110_35:                             ;   Parent Loop BB110_13 Depth=1
                                        ; =>  This Inner Loop Header: Depth=2
	s_ff1_i32_b64 s41, s[44:45]
	s_lshl_b64 s[52:53], 1, s41
	v_readlane_b32 s47, v5, s41
	v_readlane_b32 s46, v4, s41
	s_andn2_b64 s[44:45], s[44:45], s[52:53]
	s_cmp_lg_u64 s[44:45], 0
	v_add_f64 v[6:7], v[6:7], s[46:47]
	s_cbranch_scc1 .LBB110_35
; %bb.36:                               ;   in Loop: Header=BB110_13 Depth=1
	v_mbcnt_lo_u32_b32 v2, exec_lo, 0
	v_mbcnt_hi_u32_b32 v2, exec_hi, v2
	v_cmp_eq_u32_e32 vcc, 0, v2
	s_and_saveexec_b64 s[44:45], vcc
	s_xor_b64 s[44:45], exec, s[44:45]
	s_cbranch_execz .LBB110_12
; %bb.37:                               ;   in Loop: Header=BB110_13 Depth=1
	global_load_dwordx2 v[4:5], v17, s[42:43] offset:8
	s_mov_b64 s[44:45], 0
.LBB110_38:                             ;   Parent Loop BB110_13 Depth=1
                                        ; =>  This Inner Loop Header: Depth=2
	s_waitcnt vmcnt(0)
	v_add_f64 v[2:3], v[4:5], v[6:7]
	global_atomic_cmpswap_x2 v[2:3], v17, v[2:5], s[42:43] offset:8 glc
	s_waitcnt vmcnt(0)
	v_cmp_eq_u64_e32 vcc, v[2:3], v[4:5]
	s_or_b64 s[44:45], vcc, s[44:45]
	v_pk_mov_b32 v[4:5], v[2:3], v[2:3] op_sel:[0,1]
	s_andn2_b64 exec, exec, s[44:45]
	s_cbranch_execnz .LBB110_38
; %bb.39:                               ;   in Loop: Header=BB110_13 Depth=1
	s_or_b64 exec, exec, s[44:45]
	s_branch .LBB110_12
.LBB110_40:
	s_ashr_i32 s7, s35, 31
	s_mov_b32 s6, s35
	s_lshl_b64 s[6:7], s[6:7], 2
	s_add_u32 s6, s20, s6
	s_addc_u32 s7, s21, s7
	s_load_dword s6, s[6:7], 0x0
	s_waitcnt lgkmcnt(0)
	v_add_u32_e32 v10, s31, v24
	s_sub_i32 s16, s6, s36
	v_cmp_gt_i32_e32 vcc, s16, v10
	s_and_saveexec_b64 s[10:11], vcc
	s_cbranch_execz .LBB110_52
; %bb.41:
	s_add_i32 s17, s35, -1
	s_cmp_gt_i32 s17, s34
	s_cselect_b64 s[6:7], -1, 0
	s_add_i32 s8, s35, -2
	s_cmp_lg_u32 s8, s34
	s_cselect_b64 s[8:9], -1, 0
	s_and_b64 s[6:7], s[6:7], s[8:9]
	v_cndmask_b32_e64 v2, 0, 1, s[6:7]
	s_mov_b64 s[12:13], 0
	v_cmp_ne_u32_e64 s[6:7], 1, v2
	v_mov_b32_e32 v25, s21
	v_mov_b32_e32 v26, s23
	s_branch .LBB110_43
.LBB110_42:                             ;   in Loop: Header=BB110_43 Depth=1
	s_or_b64 exec, exec, s[8:9]
	v_add_u32_e32 v10, 0x100, v10
	v_cmp_le_i32_e32 vcc, s16, v10
	s_or_b64 s[12:13], vcc, s[12:13]
	s_andn2_b64 exec, exec, s[12:13]
	s_cbranch_execz .LBB110_52
.LBB110_43:                             ; =>This Loop Header: Depth=1
                                        ;     Child Loop BB110_45 Depth 2
                                        ;     Child Loop BB110_49 Depth 2
	;; [unrolled: 1-line block ×3, first 2 shown]
	s_and_b64 vcc, exec, s[6:7]
	v_mov_b32_e32 v4, s34
	v_mov_b32_e32 v2, s17
	s_cbranch_vccnz .LBB110_47
; %bb.44:                               ;   in Loop: Header=BB110_43 Depth=1
	s_mov_b64 s[14:15], 0
	v_mov_b32_e32 v4, s34
	v_mov_b32_e32 v2, s17
.LBB110_45:                             ;   Parent Loop BB110_43 Depth=1
                                        ; =>  This Inner Loop Header: Depth=2
	v_add_u32_e32 v3, v2, v4
	v_lshrrev_b32_e32 v6, 31, v3
	v_add_u32_e32 v3, v3, v6
	v_ashrrev_i32_e32 v6, 1, v3
	v_ashrrev_i32_e32 v7, 31, v6
	v_lshlrev_b64 v[8:9], 2, v[6:7]
	v_mov_b32_e32 v5, s21
	v_add_co_u32_e32 v8, vcc, s20, v8
	v_addc_co_u32_e32 v9, vcc, v5, v9, vcc
	global_load_dword v3, v[8:9], off
	s_waitcnt vmcnt(0)
	v_subrev_u32_e32 v3, s36, v3
	v_cmp_gt_i32_e32 vcc, v3, v10
	v_cndmask_b32_e32 v2, v2, v6, vcc
	v_cndmask_b32_e32 v4, v6, v4, vcc
	v_add_u32_e32 v3, -1, v2
	v_cmp_ge_i32_e32 vcc, v4, v2
	v_cmp_eq_u32_e64 s[8:9], v4, v3
	s_or_b64 s[8:9], vcc, s[8:9]
	s_and_b64 s[8:9], exec, s[8:9]
	s_or_b64 s[14:15], s[8:9], s[14:15]
	s_andn2_b64 exec, exec, s[14:15]
	s_cbranch_execnz .LBB110_45
; %bb.46:                               ;   in Loop: Header=BB110_43 Depth=1
	s_or_b64 exec, exec, s[14:15]
.LBB110_47:                             ;   in Loop: Header=BB110_43 Depth=1
	v_ashrrev_i32_e32 v3, 31, v2
	v_lshlrev_b64 v[6:7], 2, v[2:3]
	v_add_co_u32_e32 v6, vcc, s20, v6
	v_addc_co_u32_e32 v7, vcc, v25, v7, vcc
	v_ashrrev_i32_e32 v11, 31, v10
	global_load_dword v3, v[6:7], off
	v_lshlrev_b64 v[6:7], 2, v[10:11]
	v_add_co_u32_e32 v6, vcc, s22, v6
	v_addc_co_u32_e32 v7, vcc, v26, v7, vcc
	global_load_dword v5, v[6:7], off
	s_waitcnt vmcnt(1)
	v_subrev_u32_e32 v3, s36, v3
	v_cmp_gt_i32_e32 vcc, v3, v10
	v_cndmask_b32_e32 v2, v2, v4, vcc
	s_waitcnt vmcnt(0)
	v_subrev_u32_e32 v4, s36, v5
	v_cmp_ne_u32_e32 vcc, v4, v2
	s_and_saveexec_b64 s[8:9], vcc
	s_cbranch_execz .LBB110_42
; %bb.48:                               ;   in Loop: Header=BB110_43 Depth=1
	v_ashrrev_i32_e32 v5, 31, v4
	v_lshlrev_b64 v[6:7], 4, v[4:5]
	v_lshlrev_b64 v[4:5], 3, v[10:11]
	v_mov_b32_e32 v3, s25
	v_add_co_u32_e32 v4, vcc, s24, v4
	v_addc_co_u32_e32 v5, vcc, v3, v5, vcc
	global_load_dwordx2 v[18:19], v[4:5], off
	v_ashrrev_i32_e32 v3, 31, v2
	v_lshlrev_b64 v[2:3], 4, v[2:3]
	v_mov_b32_e32 v4, s27
	v_add_co_u32_e32 v2, vcc, s26, v2
	v_addc_co_u32_e32 v3, vcc, v4, v3, vcc
	v_mov_b32_e32 v8, s19
	global_load_dwordx4 v[2:5], v[2:3], off
	v_add_co_u32_e32 v16, vcc, s18, v6
	v_addc_co_u32_e32 v17, vcc, v8, v7, vcc
	global_load_dwordx2 v[8:9], v[16:17], off
	s_mov_b64 s[14:15], 0
	s_waitcnt vmcnt(2)
	v_cndmask_b32_e64 v11, v19, -v19, s[38:39]
	v_cvt_f64_f32_e32 v[20:21], v11
	v_cvt_f64_f32_e32 v[6:7], v18
	v_mul_f64 v[18:19], -v[14:15], v[20:21]
	v_mul_f64 v[20:21], v[12:13], v[20:21]
	v_fmac_f64_e32 v[20:21], v[14:15], v[6:7]
	v_fmac_f64_e32 v[18:19], v[12:13], v[6:7]
	s_waitcnt vmcnt(1)
	v_mul_f64 v[22:23], v[4:5], -v[20:21]
	v_fmac_f64_e32 v[22:23], v[18:19], v[2:3]
.LBB110_49:                             ;   Parent Loop BB110_43 Depth=1
                                        ; =>  This Inner Loop Header: Depth=2
	s_waitcnt vmcnt(0)
	v_add_f64 v[6:7], v[8:9], v[22:23]
	global_atomic_cmpswap_x2 v[6:7], v[16:17], v[6:9], off glc
	s_waitcnt vmcnt(0)
	v_cmp_eq_u64_e32 vcc, v[6:7], v[8:9]
	s_or_b64 s[14:15], vcc, s[14:15]
	v_pk_mov_b32 v[8:9], v[6:7], v[6:7] op_sel:[0,1]
	s_andn2_b64 exec, exec, s[14:15]
	s_cbranch_execnz .LBB110_49
; %bb.50:                               ;   in Loop: Header=BB110_43 Depth=1
	s_or_b64 exec, exec, s[14:15]
	global_load_dwordx2 v[6:7], v[16:17], off offset:8
	v_mul_f64 v[8:9], v[4:5], v[18:19]
	v_fmac_f64_e32 v[8:9], v[20:21], v[2:3]
	s_mov_b64 s[14:15], 0
.LBB110_51:                             ;   Parent Loop BB110_43 Depth=1
                                        ; =>  This Inner Loop Header: Depth=2
	s_waitcnt vmcnt(0)
	v_add_f64 v[4:5], v[6:7], v[8:9]
	global_atomic_cmpswap_x2 v[2:3], v[16:17], v[4:7], off offset:8 glc
	s_waitcnt vmcnt(0)
	v_cmp_eq_u64_e32 vcc, v[2:3], v[6:7]
	s_or_b64 s[14:15], vcc, s[14:15]
	v_pk_mov_b32 v[6:7], v[2:3], v[2:3] op_sel:[0,1]
	s_andn2_b64 exec, exec, s[14:15]
	s_cbranch_execnz .LBB110_51
	s_branch .LBB110_42
.LBB110_52:
	s_or_b64 exec, exec, s[10:11]
	s_mov_b64 s[6:7], 0
.LBB110_53:
	s_and_b64 vcc, exec, s[6:7]
	s_cbranch_vccz .LBB110_206
; %bb.54:
	v_cvt_f32_u32_e32 v2, s28
	s_ashr_i32 s7, s34, 31
	s_mov_b32 s6, s34
	s_sub_i32 s10, 0, s28
	v_rcp_iflag_f32_e32 v2, v2
	s_lshl_b64 s[6:7], s[6:7], 2
	s_add_u32 s8, s20, s6
	s_addc_u32 s9, s21, s7
	s_load_dword s31, s[8:9], 0x0
	v_mul_f32_e32 v2, 0x4f7ffffe, v2
	v_cvt_u32_f32_e32 v2, v2
	s_load_dword s14, s[4:5], 0x74
	s_waitcnt lgkmcnt(0)
	v_add_u32_e32 v10, s31, v24
	v_readfirstlane_b32 s15, v2
	s_mul_i32 s10, s10, s15
	v_add_u32_e32 v22, 0x300, v10
	s_mul_hi_u32 s16, s15, s10
	v_cmp_le_i32_e32 vcc, s29, v22
	s_and_saveexec_b64 s[4:5], vcc
	s_xor_b64 s[6:7], exec, s[4:5]
	s_cbranch_execz .LBB110_59
; %bb.55:
	s_ashr_i32 s5, s35, 31
	s_mov_b32 s4, s35
	s_lshl_b64 s[4:5], s[4:5], 2
	s_add_u32 s4, s20, s4
	s_addc_u32 s5, s21, s5
	s_load_dword s4, s[4:5], 0x0
	s_waitcnt lgkmcnt(0)
	s_sub_i32 s17, s4, s31
	v_cmp_gt_i32_e64 s[4:5], s17, v0
	s_and_saveexec_b64 s[10:11], s[4:5]
	s_cbranch_execz .LBB110_58
; %bb.56:
	s_sub_i32 s29, s31, s36
	s_mov_b64 s[12:13], 0
	v_mov_b32_e32 v2, s25
	v_mov_b32_e32 v3, v0
	;; [unrolled: 1-line block ×3, first 2 shown]
.LBB110_57:                             ; =>This Inner Loop Header: Depth=1
	v_add_u32_e32 v6, s29, v3
	v_ashrrev_i32_e32 v7, 31, v6
	v_lshlrev_b64 v[6:7], 3, v[6:7]
	v_add_co_u32_e64 v6, s[4:5], s24, v6
	v_addc_co_u32_e64 v7, s[4:5], v2, v7, s[4:5]
	global_load_dwordx2 v[6:7], v[6:7], off
	v_add_u32_e32 v3, 0x100, v3
	v_cmp_le_i32_e64 s[4:5], s17, v3
	s_or_b64 s[12:13], s[4:5], s[12:13]
	s_waitcnt vmcnt(0)
	v_cndmask_b32_e64 v5, v7, -v7, s[38:39]
	v_cvt_f64_f32_e32 v[8:9], v5
	v_cvt_f64_f32_e32 v[16:17], v6
	v_mul_f64 v[6:7], -v[14:15], v[8:9]
	v_mul_f64 v[8:9], v[12:13], v[8:9]
	v_fmac_f64_e32 v[6:7], v[12:13], v[16:17]
	v_fmac_f64_e32 v[8:9], v[14:15], v[16:17]
	ds_write_b128 v4, v[6:9]
	v_add_u32_e32 v4, 0x1000, v4
	s_andn2_b64 exec, exec, s[12:13]
	s_cbranch_execnz .LBB110_57
.LBB110_58:
	s_or_b64 exec, exec, s[10:11]
                                        ; implicit-def: $vgpr14_vgpr15
                                        ; implicit-def: $vgpr12_vgpr13
.LBB110_59:
	s_or_saveexec_b64 s[6:7], s[6:7]
	s_and_b32 s29, s14, 0xffff
	s_add_i32 s10, s15, s16
	v_ashrrev_i32_e32 v11, 31, v10
	s_xor_b64 exec, exec, s[6:7]
	s_cbranch_execz .LBB110_61
; %bb.60:
	v_lshlrev_b64 v[2:3], 3, v[10:11]
	v_mov_b32_e32 v4, s25
	v_add_co_u32_e64 v2, s[4:5], s24, v2
	v_addc_co_u32_e64 v3, s[4:5], v4, v3, s[4:5]
	s_movk_i32 s4, 0x1000
	global_load_dwordx2 v[4:5], v[2:3], off
	global_load_dwordx2 v[6:7], v[2:3], off offset:2048
	v_add_co_u32_e64 v2, s[4:5], s4, v2
	v_addc_co_u32_e64 v3, s[4:5], 0, v3, s[4:5]
	global_load_dwordx2 v[8:9], v[2:3], off
	global_load_dwordx2 v[16:17], v[2:3], off offset:2048
	s_waitcnt vmcnt(3)
	v_cndmask_b32_e64 v2, v5, -v5, s[38:39]
	s_waitcnt vmcnt(2)
	v_cndmask_b32_e64 v3, v7, -v7, s[38:39]
	v_cvt_f64_f32_e32 v[18:19], v4
	v_cvt_f64_f32_e32 v[4:5], v2
	;; [unrolled: 1-line block ×3, first 2 shown]
	s_waitcnt vmcnt(1)
	v_cndmask_b32_e64 v23, v9, -v9, s[38:39]
	v_cvt_f64_f32_e32 v[20:21], v6
	v_cvt_f64_f32_e32 v[28:29], v8
	s_waitcnt vmcnt(0)
	v_cndmask_b32_e64 v17, v17, -v17, s[38:39]
	v_mul_f64 v[2:3], -v[14:15], v[4:5]
	v_mul_f64 v[4:5], v[12:13], v[4:5]
	v_mul_f64 v[6:7], -v[14:15], v[24:25]
	v_mul_f64 v[8:9], v[12:13], v[24:25]
	v_cvt_f64_f32_e32 v[24:25], v23
	v_cvt_f64_f32_e32 v[30:31], v16
	;; [unrolled: 1-line block ×3, first 2 shown]
	v_fmac_f64_e32 v[2:3], v[12:13], v[18:19]
	v_fmac_f64_e32 v[4:5], v[14:15], v[18:19]
	v_mul_f64 v[16:17], -v[14:15], v[24:25]
	v_mul_f64 v[18:19], v[12:13], v[24:25]
	v_mul_f64 v[24:25], -v[14:15], v[26:27]
	v_mul_f64 v[26:27], v[12:13], v[26:27]
	v_fmac_f64_e32 v[16:17], v[12:13], v[28:29]
	v_fmac_f64_e32 v[18:19], v[14:15], v[28:29]
	;; [unrolled: 1-line block ×4, first 2 shown]
	ds_write_b128 v1, v[2:5]
	ds_write_b128 v1, v[6:9] offset:4096
	v_fmac_f64_e32 v[24:25], v[12:13], v[30:31]
	v_fmac_f64_e32 v[26:27], v[14:15], v[30:31]
	ds_write_b128 v1, v[16:19] offset:8192
	ds_write_b128 v1, v[24:27] offset:12288
.LBB110_61:
	s_or_b64 exec, exec, s[6:7]
	s_mul_hi_u32 s33, s29, s10
	v_cmp_gt_i32_e64 s[4:5], s30, v0
	s_and_saveexec_b64 s[6:7], s[4:5]
	s_cbranch_execz .LBB110_64
; %bb.62:
	s_mov_b32 s4, 0
	v_mov_b32_e32 v2, 0x4000
	s_mov_b32 s5, s4
	s_mov_b32 s12, s4
	;; [unrolled: 1-line block ×3, first 2 shown]
	v_lshl_add_u32 v6, v0, 4, v2
	s_mov_b64 s[10:11], 0
	v_pk_mov_b32 v[2:3], s[4:5], s[4:5] op_sel:[0,1]
	v_pk_mov_b32 v[4:5], s[12:13], s[12:13] op_sel:[0,1]
	v_mov_b32_e32 v7, v0
.LBB110_63:                             ; =>This Inner Loop Header: Depth=1
	v_add_u32_e32 v7, 0x100, v7
	v_cmp_le_i32_e64 s[4:5], s30, v7
	ds_write2_b64 v6, v[2:3], v[4:5] offset1:1
	s_or_b64 s[10:11], s[4:5], s[10:11]
	v_add_u32_e32 v6, 0x1000, v6
	s_andn2_b64 exec, exec, s[10:11]
	s_cbranch_execnz .LBB110_63
.LBB110_64:
	s_or_b64 exec, exec, s[6:7]
	s_sub_i32 s4, s35, s30
	s_cmp_ge_i32 s35, s30
	s_cselect_b32 s37, s4, 0
	s_waitcnt lgkmcnt(0)
	s_barrier
	s_and_saveexec_b64 s[4:5], vcc
	s_xor_b64 s[10:11], exec, s[4:5]
	s_cbranch_execz .LBB110_85
; %bb.65:
	s_ashr_i32 s5, s35, 31
	s_mov_b32 s4, s35
	s_lshl_b64 s[4:5], s[4:5], 2
	s_add_u32 s4, s20, s4
	s_addc_u32 s5, s21, s5
	s_load_dword s4, s[4:5], 0x0
	s_waitcnt lgkmcnt(0)
	s_sub_i32 s38, s4, s31
	v_cmp_gt_i32_e32 vcc, s38, v0
	s_and_saveexec_b64 s[12:13], vcc
	s_cbranch_execz .LBB110_84
; %bb.66:
	s_add_i32 s39, s35, -1
	s_cmp_gt_i32 s39, s34
	s_cselect_b64 s[6:7], -1, 0
	s_add_i32 s5, s35, -2
	s_cmp_lg_u32 s5, s34
	s_cselect_b64 s[16:17], -1, 0
	s_sub_i32 s40, s4, s36
	s_and_b64 s[4:5], s[6:7], s[16:17]
	v_cndmask_b32_e64 v2, 0, 1, s[4:5]
	s_mov_b32 s41, 0
	s_mov_b64 s[14:15], 0
	v_cmp_ne_u32_e64 s[4:5], 1, v2
	v_mov_b32_e32 v11, s21
	v_mov_b32_e32 v22, s23
	;; [unrolled: 1-line block ×3, first 2 shown]
	s_branch .LBB110_69
.LBB110_67:                             ;   in Loop: Header=BB110_69 Depth=1
	s_or_b64 exec, exec, s[6:7]
.LBB110_68:                             ;   in Loop: Header=BB110_69 Depth=1
	s_or_b64 exec, exec, s[16:17]
	v_ashrrev_i32_e32 v13, 31, v12
	v_lshlrev_b64 v[6:7], 4, v[12:13]
	v_mov_b32_e32 v8, s27
	v_add_co_u32_e32 v6, vcc, s26, v6
	v_addc_co_u32_e32 v7, vcc, v8, v7, vcc
	global_load_dwordx4 v[6:9], v[6:7], off
	s_addk_i32 s41, 0x100
	v_add_u32_e32 v12, s41, v0
	v_cmp_le_i32_e32 vcc, s38, v12
	s_or_b64 s[14:15], vcc, s[14:15]
	s_waitcnt vmcnt(0)
	v_mul_f64 v[12:13], v[8:9], v[14:15]
	v_mul_f64 v[14:15], v[8:9], v[2:3]
	v_fmac_f64_e32 v[12:13], v[2:3], v[6:7]
	v_fmac_f64_e32 v[14:15], v[4:5], v[6:7]
	ds_write_b128 v24, v[12:15]
	s_andn2_b64 exec, exec, s[14:15]
	s_cbranch_execz .LBB110_84
.LBB110_69:                             ; =>This Loop Header: Depth=1
                                        ;     Child Loop BB110_71 Depth 2
                                        ;     Child Loop BB110_78 Depth 2
	;; [unrolled: 1-line block ×3, first 2 shown]
	v_add_u32_e32 v2, s41, v10
	s_and_b64 vcc, exec, s[4:5]
	v_mov_b32_e32 v6, s34
	v_mov_b32_e32 v4, s39
	s_cbranch_vccnz .LBB110_73
; %bb.70:                               ;   in Loop: Header=BB110_69 Depth=1
	s_mov_b64 s[16:17], 0
	v_mov_b32_e32 v6, s34
	v_mov_b32_e32 v4, s39
.LBB110_71:                             ;   Parent Loop BB110_69 Depth=1
                                        ; =>  This Inner Loop Header: Depth=2
	v_add_u32_e32 v3, v4, v6
	v_lshrrev_b32_e32 v7, 31, v3
	v_add_u32_e32 v3, v3, v7
	v_ashrrev_i32_e32 v8, 1, v3
	v_ashrrev_i32_e32 v9, 31, v8
	v_lshlrev_b64 v[12:13], 2, v[8:9]
	v_mov_b32_e32 v5, s21
	v_add_co_u32_e32 v12, vcc, s20, v12
	v_addc_co_u32_e32 v13, vcc, v5, v13, vcc
	global_load_dword v3, v[12:13], off
	s_waitcnt vmcnt(0)
	v_subrev_u32_e32 v3, s36, v3
	v_cmp_gt_i32_e32 vcc, v3, v2
	v_cndmask_b32_e32 v4, v4, v8, vcc
	v_cndmask_b32_e32 v6, v8, v6, vcc
	v_add_u32_e32 v3, -1, v4
	v_cmp_ge_i32_e32 vcc, v6, v4
	v_cmp_eq_u32_e64 s[6:7], v6, v3
	s_or_b64 s[6:7], vcc, s[6:7]
	s_and_b64 s[6:7], exec, s[6:7]
	s_or_b64 s[16:17], s[6:7], s[16:17]
	s_andn2_b64 exec, exec, s[16:17]
	s_cbranch_execnz .LBB110_71
; %bb.72:                               ;   in Loop: Header=BB110_69 Depth=1
	s_or_b64 exec, exec, s[16:17]
.LBB110_73:                             ;   in Loop: Header=BB110_69 Depth=1
	v_ashrrev_i32_e32 v5, 31, v4
	v_lshlrev_b64 v[8:9], 2, v[4:5]
	v_add_co_u32_e32 v8, vcc, s20, v8
	v_addc_co_u32_e32 v9, vcc, v11, v9, vcc
	v_ashrrev_i32_e32 v3, 31, v2
	global_load_dword v5, v[8:9], off
	v_lshlrev_b64 v[8:9], 2, v[2:3]
	v_add_co_u32_e32 v8, vcc, s22, v8
	v_addc_co_u32_e32 v9, vcc, v22, v9, vcc
	global_load_dword v3, v[8:9], off
	v_cmp_le_i32_e32 vcc, s40, v2
	v_lshl_add_u32 v24, s41, 4, v1
                                        ; implicit-def: $vgpr14_vgpr15
	s_waitcnt vmcnt(1)
	v_subrev_u32_e32 v5, s36, v5
	v_cmp_gt_i32_e64 s[6:7], v5, v2
	v_cndmask_b32_e64 v6, v4, v6, s[6:7]
	s_waitcnt vmcnt(0)
	v_subrev_u32_e32 v12, s36, v3
	v_cmp_eq_u32_e64 s[6:7], v12, v6
	s_or_b64 s[6:7], s[6:7], vcc
                                        ; implicit-def: $vgpr2_vgpr3
	s_and_saveexec_b64 s[16:17], s[6:7]
	s_xor_b64 s[6:7], exec, s[16:17]
	s_cbranch_execz .LBB110_75
; %bb.74:                               ;   in Loop: Header=BB110_69 Depth=1
	ds_read_b128 v[2:5], v24
                                        ; implicit-def: $vgpr6
	s_waitcnt lgkmcnt(0)
	v_xor_b32_e32 v15, 0x80000000, v5
	v_mov_b32_e32 v14, v4
.LBB110_75:                             ;   in Loop: Header=BB110_69 Depth=1
	s_andn2_saveexec_b64 s[16:17], s[6:7]
	s_cbranch_execz .LBB110_68
; %bb.76:                               ;   in Loop: Header=BB110_69 Depth=1
	v_ashrrev_i32_e32 v7, 31, v6
	v_lshlrev_b64 v[2:3], 4, v[6:7]
	v_mov_b32_e32 v4, s27
	v_add_co_u32_e32 v2, vcc, s26, v2
	v_addc_co_u32_e32 v3, vcc, v4, v3, vcc
	global_load_dwordx4 v[6:9], v[2:3], off
	ds_read_b128 v[2:5], v24
	v_cmp_gt_i32_e32 vcc, s37, v12
	v_cmp_le_i32_e64 s[6:7], s35, v12
	s_or_b64 s[6:7], vcc, s[6:7]
	s_waitcnt lgkmcnt(0)
	v_xor_b32_e32 v15, 0x80000000, v5
	v_mov_b32_e32 v14, v4
	s_waitcnt vmcnt(0)
	v_mul_f64 v[18:19], v[8:9], -v[4:5]
	v_mul_f64 v[16:17], v[8:9], v[2:3]
	v_fmac_f64_e32 v[18:19], v[2:3], v[6:7]
	v_fmac_f64_e32 v[16:17], v[4:5], v[6:7]
	s_and_saveexec_b64 s[24:25], s[6:7]
	s_xor_b64 s[6:7], exec, s[24:25]
	s_cbranch_execz .LBB110_82
; %bb.77:                               ;   in Loop: Header=BB110_69 Depth=1
	v_ashrrev_i32_e32 v13, 31, v12
	v_lshlrev_b64 v[6:7], 4, v[12:13]
	v_mov_b32_e32 v8, s19
	v_add_co_u32_e32 v20, vcc, s18, v6
	v_addc_co_u32_e32 v21, vcc, v8, v7, vcc
	global_load_dwordx2 v[8:9], v[20:21], off
	s_mov_b64 s[24:25], 0
.LBB110_78:                             ;   Parent Loop BB110_69 Depth=1
                                        ; =>  This Inner Loop Header: Depth=2
	s_waitcnt vmcnt(0)
	v_add_f64 v[6:7], v[8:9], v[18:19]
	global_atomic_cmpswap_x2 v[6:7], v[20:21], v[6:9], off glc
	s_waitcnt vmcnt(0)
	v_cmp_eq_u64_e32 vcc, v[6:7], v[8:9]
	s_or_b64 s[24:25], vcc, s[24:25]
	v_pk_mov_b32 v[8:9], v[6:7], v[6:7] op_sel:[0,1]
	s_andn2_b64 exec, exec, s[24:25]
	s_cbranch_execnz .LBB110_78
; %bb.79:                               ;   in Loop: Header=BB110_69 Depth=1
	s_or_b64 exec, exec, s[24:25]
	global_load_dwordx2 v[8:9], v[20:21], off offset:8
	s_mov_b64 s[24:25], 0
.LBB110_80:                             ;   Parent Loop BB110_69 Depth=1
                                        ; =>  This Inner Loop Header: Depth=2
	s_waitcnt vmcnt(0)
	v_add_f64 v[6:7], v[8:9], v[16:17]
	global_atomic_cmpswap_x2 v[6:7], v[20:21], v[6:9], off offset:8 glc
	s_waitcnt vmcnt(0)
	v_cmp_eq_u64_e32 vcc, v[6:7], v[8:9]
	s_or_b64 s[24:25], vcc, s[24:25]
	v_pk_mov_b32 v[8:9], v[6:7], v[6:7] op_sel:[0,1]
	s_andn2_b64 exec, exec, s[24:25]
	s_cbranch_execnz .LBB110_80
; %bb.81:                               ;   in Loop: Header=BB110_69 Depth=1
	s_or_b64 exec, exec, s[24:25]
                                        ; implicit-def: $vgpr18_vgpr19
                                        ; implicit-def: $vgpr16_vgpr17
.LBB110_82:                             ;   in Loop: Header=BB110_69 Depth=1
	s_andn2_saveexec_b64 s[6:7], s[6:7]
	s_cbranch_execz .LBB110_67
; %bb.83:                               ;   in Loop: Header=BB110_69 Depth=1
	v_subrev_u32_e32 v6, s37, v12
	v_lshl_add_u32 v6, v6, 4, v23
	ds_add_f64 v6, v[18:19]
	ds_add_f64 v6, v[16:17] offset:8
	s_branch .LBB110_67
.LBB110_84:
	s_or_b64 exec, exec, s[12:13]
                                        ; implicit-def: $vgpr22
                                        ; implicit-def: $vgpr10
.LBB110_85:
	s_andn2_saveexec_b64 s[10:11], s[10:11]
	s_cbranch_execz .LBB110_159
; %bb.86:
	s_add_i32 s24, s35, -1
	s_cmp_le_i32 s24, s34
	s_cselect_b64 s[4:5], -1, 0
	s_add_i32 s6, s35, -2
	s_cmp_eq_u32 s6, s34
	s_cselect_b64 s[6:7], -1, 0
	s_or_b64 s[6:7], s[4:5], s[6:7]
	s_and_b64 vcc, exec, s[6:7]
	v_mov_b32_e32 v4, s34
	v_mov_b32_e32 v2, s24
	s_cbranch_vccnz .LBB110_90
; %bb.87:
	s_mov_b64 s[12:13], 0
	v_mov_b32_e32 v4, s34
	v_mov_b32_e32 v2, s24
	;; [unrolled: 1-line block ×3, first 2 shown]
.LBB110_88:                             ; =>This Inner Loop Header: Depth=1
	v_add_u32_e32 v5, v2, v4
	v_lshrrev_b32_e32 v6, 31, v5
	v_add_u32_e32 v5, v5, v6
	v_ashrrev_i32_e32 v6, 1, v5
	v_ashrrev_i32_e32 v7, 31, v6
	v_lshlrev_b64 v[8:9], 2, v[6:7]
	v_add_co_u32_e32 v8, vcc, s20, v8
	v_addc_co_u32_e32 v9, vcc, v3, v9, vcc
	global_load_dword v5, v[8:9], off
	s_waitcnt vmcnt(0)
	v_subrev_u32_e32 v5, s36, v5
	v_cmp_gt_i32_e32 vcc, v5, v10
	v_cndmask_b32_e32 v2, v2, v6, vcc
	v_cndmask_b32_e32 v4, v6, v4, vcc
	v_add_u32_e32 v5, -1, v2
	v_cmp_ge_i32_e32 vcc, v4, v2
	v_cmp_eq_u32_e64 s[4:5], v4, v5
	s_or_b64 s[4:5], vcc, s[4:5]
	s_and_b64 s[4:5], exec, s[4:5]
	s_or_b64 s[12:13], s[4:5], s[12:13]
	s_andn2_b64 exec, exec, s[12:13]
	s_cbranch_execnz .LBB110_88
; %bb.89:
	s_or_b64 exec, exec, s[12:13]
.LBB110_90:
	v_ashrrev_i32_e32 v3, 31, v2
	v_lshlrev_b64 v[6:7], 2, v[2:3]
	v_mov_b32_e32 v3, s21
	v_add_co_u32_e32 v6, vcc, s20, v6
	v_addc_co_u32_e32 v7, vcc, v3, v7, vcc
	global_load_dword v3, v[6:7], off
	v_lshlrev_b64 v[6:7], 2, v[10:11]
	v_mov_b32_e32 v5, s23
	v_add_co_u32_e32 v12, vcc, s22, v6
	v_addc_co_u32_e32 v13, vcc, v5, v7, vcc
	global_load_dword v5, v[12:13], off
	s_ashr_i32 s5, s35, 31
	s_mov_b32 s4, s35
	s_xor_b64 s[6:7], s[6:7], -1
	s_lshl_b64 s[4:5], s[4:5], 2
	s_add_u32 s12, s20, s4
	s_addc_u32 s13, s21, s5
	s_waitcnt vmcnt(1)
	v_subrev_u32_e32 v3, s36, v3
	v_cmp_gt_i32_e32 vcc, v3, v10
	v_cndmask_b32_e32 v6, v2, v4, vcc
                                        ; implicit-def: $vgpr2_vgpr3
	s_waitcnt vmcnt(0)
	v_subrev_u32_e32 v14, s36, v5
	v_cmp_ne_u32_e32 vcc, v14, v6
	s_and_saveexec_b64 s[4:5], vcc
	s_xor_b64 s[14:15], exec, s[4:5]
	s_cbranch_execz .LBB110_102
; %bb.91:
	s_load_dword s4, s[12:13], 0x0
	ds_read_b128 v[2:5], v1
	s_waitcnt lgkmcnt(0)
	s_sub_i32 s4, s4, s36
	v_cmp_gt_i32_e32 vcc, s4, v10
	s_and_saveexec_b64 s[16:17], vcc
	s_cbranch_execz .LBB110_101
; %bb.92:
	v_ashrrev_i32_e32 v7, 31, v6
	v_lshlrev_b64 v[6:7], 4, v[6:7]
	v_mov_b32_e32 v8, s27
	v_add_co_u32_e32 v6, vcc, s26, v6
	v_addc_co_u32_e32 v7, vcc, v8, v7, vcc
	global_load_dwordx4 v[6:9], v[6:7], off
	v_cmp_gt_i32_e32 vcc, s37, v14
	v_cmp_le_i32_e64 s[4:5], s35, v14
	s_or_b64 s[4:5], vcc, s[4:5]
	s_waitcnt vmcnt(0)
	v_mul_f64 v[18:19], v[8:9], -v[4:5]
	v_mul_f64 v[16:17], v[8:9], v[2:3]
	v_fmac_f64_e32 v[18:19], v[2:3], v[6:7]
	v_fmac_f64_e32 v[16:17], v[4:5], v[6:7]
	s_and_saveexec_b64 s[22:23], s[4:5]
	s_xor_b64 s[4:5], exec, s[22:23]
	s_cbranch_execz .LBB110_98
; %bb.93:
	v_ashrrev_i32_e32 v15, 31, v14
	v_lshlrev_b64 v[6:7], 4, v[14:15]
	v_mov_b32_e32 v8, s19
	v_add_co_u32_e32 v20, vcc, s18, v6
	v_addc_co_u32_e32 v21, vcc, v8, v7, vcc
	global_load_dwordx2 v[8:9], v[20:21], off
	s_mov_b64 s[22:23], 0
.LBB110_94:                             ; =>This Inner Loop Header: Depth=1
	s_waitcnt vmcnt(0)
	v_add_f64 v[6:7], v[8:9], v[18:19]
	global_atomic_cmpswap_x2 v[6:7], v[20:21], v[6:9], off glc
	s_waitcnt vmcnt(0)
	v_cmp_eq_u64_e32 vcc, v[6:7], v[8:9]
	s_or_b64 s[22:23], vcc, s[22:23]
	v_pk_mov_b32 v[8:9], v[6:7], v[6:7] op_sel:[0,1]
	s_andn2_b64 exec, exec, s[22:23]
	s_cbranch_execnz .LBB110_94
; %bb.95:
	s_or_b64 exec, exec, s[22:23]
	global_load_dwordx2 v[8:9], v[20:21], off offset:8
	s_mov_b64 s[22:23], 0
.LBB110_96:                             ; =>This Inner Loop Header: Depth=1
	s_waitcnt vmcnt(0)
	v_add_f64 v[6:7], v[8:9], v[16:17]
	global_atomic_cmpswap_x2 v[6:7], v[20:21], v[6:9], off offset:8 glc
	s_waitcnt vmcnt(0)
	v_cmp_eq_u64_e32 vcc, v[6:7], v[8:9]
	s_or_b64 s[22:23], vcc, s[22:23]
	v_pk_mov_b32 v[8:9], v[6:7], v[6:7] op_sel:[0,1]
	s_andn2_b64 exec, exec, s[22:23]
	s_cbranch_execnz .LBB110_96
; %bb.97:
	s_or_b64 exec, exec, s[22:23]
                                        ; implicit-def: $vgpr18_vgpr19
                                        ; implicit-def: $vgpr16_vgpr17
.LBB110_98:
	s_andn2_saveexec_b64 s[4:5], s[4:5]
	s_cbranch_execz .LBB110_100
; %bb.99:
	v_subrev_u32_e32 v6, s37, v14
	v_mov_b32_e32 v7, 0x4000
	v_lshl_add_u32 v6, v6, 4, v7
	ds_add_f64 v6, v[18:19]
	ds_add_f64 v6, v[16:17] offset:8
.LBB110_100:
	s_or_b64 exec, exec, s[4:5]
.LBB110_101:
	s_or_b64 exec, exec, s[16:17]
.LBB110_102:
	s_andn2_saveexec_b64 s[4:5], s[14:15]
	s_cbranch_execz .LBB110_104
; %bb.103:
	ds_read_b128 v[2:5], v1
.LBB110_104:
	s_or_b64 exec, exec, s[4:5]
	v_ashrrev_i32_e32 v15, 31, v14
	v_lshlrev_b64 v[6:7], 4, v[14:15]
	v_mov_b32_e32 v8, s27
	v_add_co_u32_e32 v6, vcc, s26, v6
	v_addc_co_u32_e32 v7, vcc, v8, v7, vcc
	global_load_dwordx4 v[14:17], v[6:7], off
	v_cndmask_b32_e64 v8, 0, 1, s[6:7]
	v_add_u32_e32 v7, 0x100, v10
	v_mov_b32_e32 v6, s34
	v_cmp_ne_u32_e64 s[4:5], 1, v8
	s_andn2_b64 vcc, exec, s[6:7]
	s_waitcnt vmcnt(0) lgkmcnt(0)
	v_mul_f64 v[18:19], v[16:17], -v[4:5]
	v_mul_f64 v[20:21], v[16:17], v[2:3]
	v_fmac_f64_e32 v[18:19], v[2:3], v[14:15]
	v_fmac_f64_e32 v[20:21], v[4:5], v[14:15]
	v_mov_b32_e32 v2, s24
	ds_write_b128 v1, v[18:21]
	s_cbranch_vccnz .LBB110_108
; %bb.105:
	s_mov_b64 s[14:15], 0
	v_mov_b32_e32 v6, s34
	v_mov_b32_e32 v2, s24
	;; [unrolled: 1-line block ×3, first 2 shown]
.LBB110_106:                            ; =>This Inner Loop Header: Depth=1
	v_add_u32_e32 v4, v2, v6
	v_lshrrev_b32_e32 v5, 31, v4
	v_add_u32_e32 v4, v4, v5
	v_ashrrev_i32_e32 v4, 1, v4
	v_ashrrev_i32_e32 v5, 31, v4
	v_lshlrev_b64 v[8:9], 2, v[4:5]
	v_add_co_u32_e32 v8, vcc, s20, v8
	v_addc_co_u32_e32 v9, vcc, v3, v9, vcc
	global_load_dword v5, v[8:9], off
	s_waitcnt vmcnt(0)
	v_subrev_u32_e32 v5, s36, v5
	v_cmp_gt_i32_e32 vcc, v5, v7
	v_cndmask_b32_e32 v2, v2, v4, vcc
	v_cndmask_b32_e32 v6, v4, v6, vcc
	v_add_u32_e32 v4, -1, v2
	v_cmp_ge_i32_e32 vcc, v6, v2
	v_cmp_eq_u32_e64 s[6:7], v6, v4
	s_or_b64 s[6:7], vcc, s[6:7]
	s_and_b64 s[6:7], exec, s[6:7]
	s_or_b64 s[14:15], s[6:7], s[14:15]
	s_andn2_b64 exec, exec, s[14:15]
	s_cbranch_execnz .LBB110_106
; %bb.107:
	s_or_b64 exec, exec, s[14:15]
.LBB110_108:
	v_ashrrev_i32_e32 v3, 31, v2
	v_lshlrev_b64 v[4:5], 2, v[2:3]
	v_mov_b32_e32 v3, s21
	v_add_co_u32_e32 v4, vcc, s20, v4
	v_addc_co_u32_e32 v5, vcc, v3, v5, vcc
	global_load_dword v3, v[4:5], off
	global_load_dword v8, v[12:13], off offset:1024
	s_waitcnt vmcnt(1)
	v_subrev_u32_e32 v3, s36, v3
	v_cmp_gt_i32_e32 vcc, v3, v7
	v_cndmask_b32_e32 v6, v2, v6, vcc
	s_waitcnt vmcnt(0)
	v_subrev_u32_e32 v14, s36, v8
	v_cmp_ne_u32_e32 vcc, v14, v6
                                        ; implicit-def: $vgpr2_vgpr3
	s_and_saveexec_b64 s[6:7], vcc
	s_xor_b64 s[14:15], exec, s[6:7]
	s_cbranch_execz .LBB110_120
; %bb.109:
	s_load_dword s6, s[12:13], 0x0
	ds_read_b128 v[2:5], v1 offset:4096
	s_waitcnt lgkmcnt(0)
	s_sub_i32 s6, s6, s36
	v_cmp_gt_i32_e32 vcc, s6, v7
	s_and_saveexec_b64 s[16:17], vcc
	s_cbranch_execz .LBB110_119
; %bb.110:
	v_ashrrev_i32_e32 v7, 31, v6
	v_lshlrev_b64 v[6:7], 4, v[6:7]
	v_mov_b32_e32 v8, s27
	v_add_co_u32_e32 v6, vcc, s26, v6
	v_addc_co_u32_e32 v7, vcc, v8, v7, vcc
	global_load_dwordx4 v[6:9], v[6:7], off
	v_cmp_gt_i32_e32 vcc, s37, v14
	v_cmp_le_i32_e64 s[6:7], s35, v14
	s_or_b64 s[6:7], vcc, s[6:7]
	s_waitcnt vmcnt(0)
	v_mul_f64 v[18:19], v[8:9], -v[4:5]
	v_mul_f64 v[16:17], v[8:9], v[2:3]
	v_fmac_f64_e32 v[18:19], v[2:3], v[6:7]
	v_fmac_f64_e32 v[16:17], v[4:5], v[6:7]
	s_and_saveexec_b64 s[22:23], s[6:7]
	s_xor_b64 s[6:7], exec, s[22:23]
	s_cbranch_execz .LBB110_116
; %bb.111:
	v_ashrrev_i32_e32 v15, 31, v14
	v_lshlrev_b64 v[6:7], 4, v[14:15]
	v_mov_b32_e32 v8, s19
	v_add_co_u32_e32 v20, vcc, s18, v6
	v_addc_co_u32_e32 v21, vcc, v8, v7, vcc
	global_load_dwordx2 v[8:9], v[20:21], off
	s_mov_b64 s[22:23], 0
.LBB110_112:                            ; =>This Inner Loop Header: Depth=1
	s_waitcnt vmcnt(0)
	v_add_f64 v[6:7], v[8:9], v[18:19]
	global_atomic_cmpswap_x2 v[6:7], v[20:21], v[6:9], off glc
	s_waitcnt vmcnt(0)
	v_cmp_eq_u64_e32 vcc, v[6:7], v[8:9]
	s_or_b64 s[22:23], vcc, s[22:23]
	v_pk_mov_b32 v[8:9], v[6:7], v[6:7] op_sel:[0,1]
	s_andn2_b64 exec, exec, s[22:23]
	s_cbranch_execnz .LBB110_112
; %bb.113:
	s_or_b64 exec, exec, s[22:23]
	global_load_dwordx2 v[8:9], v[20:21], off offset:8
	s_mov_b64 s[22:23], 0
.LBB110_114:                            ; =>This Inner Loop Header: Depth=1
	s_waitcnt vmcnt(0)
	v_add_f64 v[6:7], v[8:9], v[16:17]
	global_atomic_cmpswap_x2 v[6:7], v[20:21], v[6:9], off offset:8 glc
	s_waitcnt vmcnt(0)
	v_cmp_eq_u64_e32 vcc, v[6:7], v[8:9]
	s_or_b64 s[22:23], vcc, s[22:23]
	v_pk_mov_b32 v[8:9], v[6:7], v[6:7] op_sel:[0,1]
	s_andn2_b64 exec, exec, s[22:23]
	s_cbranch_execnz .LBB110_114
; %bb.115:
	s_or_b64 exec, exec, s[22:23]
                                        ; implicit-def: $vgpr18_vgpr19
                                        ; implicit-def: $vgpr16_vgpr17
.LBB110_116:
	s_andn2_saveexec_b64 s[6:7], s[6:7]
	s_cbranch_execz .LBB110_118
; %bb.117:
	v_subrev_u32_e32 v6, s37, v14
	v_mov_b32_e32 v7, 0x4000
	v_lshl_add_u32 v6, v6, 4, v7
	ds_add_f64 v6, v[18:19]
	ds_add_f64 v6, v[16:17] offset:8
.LBB110_118:
	s_or_b64 exec, exec, s[6:7]
.LBB110_119:
	s_or_b64 exec, exec, s[16:17]
.LBB110_120:
	s_andn2_saveexec_b64 s[6:7], s[14:15]
	s_cbranch_execz .LBB110_122
; %bb.121:
	ds_read_b128 v[2:5], v1 offset:4096
.LBB110_122:
	s_or_b64 exec, exec, s[6:7]
	v_ashrrev_i32_e32 v15, 31, v14
	v_lshlrev_b64 v[6:7], 4, v[14:15]
	v_mov_b32_e32 v8, s27
	v_add_co_u32_e32 v6, vcc, s26, v6
	v_addc_co_u32_e32 v7, vcc, v8, v7, vcc
	global_load_dwordx4 v[14:17], v[6:7], off
	v_add_u32_e32 v7, 0x200, v10
	s_and_b64 vcc, exec, s[4:5]
	v_mov_b32_e32 v6, s34
	s_waitcnt vmcnt(0) lgkmcnt(0)
	v_mul_f64 v[8:9], v[16:17], -v[4:5]
	v_mul_f64 v[10:11], v[16:17], v[2:3]
	v_fmac_f64_e32 v[8:9], v[2:3], v[14:15]
	v_fmac_f64_e32 v[10:11], v[4:5], v[14:15]
	v_mov_b32_e32 v2, s24
	ds_write_b128 v1, v[8:11] offset:4096
	s_cbranch_vccnz .LBB110_126
; %bb.123:
	s_mov_b64 s[14:15], 0
	v_mov_b32_e32 v6, s34
	v_mov_b32_e32 v2, s24
	;; [unrolled: 1-line block ×3, first 2 shown]
.LBB110_124:                            ; =>This Inner Loop Header: Depth=1
	v_add_u32_e32 v4, v2, v6
	v_lshrrev_b32_e32 v5, 31, v4
	v_add_u32_e32 v4, v4, v5
	v_ashrrev_i32_e32 v4, 1, v4
	v_ashrrev_i32_e32 v5, 31, v4
	v_lshlrev_b64 v[8:9], 2, v[4:5]
	v_add_co_u32_e32 v8, vcc, s20, v8
	v_addc_co_u32_e32 v9, vcc, v3, v9, vcc
	global_load_dword v5, v[8:9], off
	s_waitcnt vmcnt(0)
	v_subrev_u32_e32 v5, s36, v5
	v_cmp_gt_i32_e32 vcc, v5, v7
	v_cndmask_b32_e32 v2, v2, v4, vcc
	v_cndmask_b32_e32 v6, v4, v6, vcc
	v_add_u32_e32 v4, -1, v2
	v_cmp_ge_i32_e32 vcc, v6, v2
	v_cmp_eq_u32_e64 s[6:7], v6, v4
	s_or_b64 s[6:7], vcc, s[6:7]
	s_and_b64 s[6:7], exec, s[6:7]
	s_or_b64 s[14:15], s[6:7], s[14:15]
	s_andn2_b64 exec, exec, s[14:15]
	s_cbranch_execnz .LBB110_124
; %bb.125:
	s_or_b64 exec, exec, s[14:15]
.LBB110_126:
	v_ashrrev_i32_e32 v3, 31, v2
	v_lshlrev_b64 v[4:5], 2, v[2:3]
	v_mov_b32_e32 v3, s21
	v_add_co_u32_e32 v4, vcc, s20, v4
	v_addc_co_u32_e32 v5, vcc, v3, v5, vcc
	global_load_dword v3, v[4:5], off
	global_load_dword v8, v[12:13], off offset:2048
	s_waitcnt vmcnt(1)
	v_subrev_u32_e32 v3, s36, v3
	v_cmp_gt_i32_e32 vcc, v3, v7
	v_cndmask_b32_e32 v6, v2, v6, vcc
	s_waitcnt vmcnt(0)
	v_subrev_u32_e32 v10, s36, v8
	v_cmp_ne_u32_e32 vcc, v10, v6
                                        ; implicit-def: $vgpr2_vgpr3
	s_and_saveexec_b64 s[6:7], vcc
	s_xor_b64 s[14:15], exec, s[6:7]
	s_cbranch_execz .LBB110_138
; %bb.127:
	s_load_dword s6, s[12:13], 0x0
	ds_read_b128 v[2:5], v1 offset:8192
	s_waitcnt lgkmcnt(0)
	s_sub_i32 s6, s6, s36
	v_cmp_gt_i32_e32 vcc, s6, v7
	s_and_saveexec_b64 s[16:17], vcc
	s_cbranch_execz .LBB110_137
; %bb.128:
	v_ashrrev_i32_e32 v7, 31, v6
	v_lshlrev_b64 v[6:7], 4, v[6:7]
	v_mov_b32_e32 v8, s27
	v_add_co_u32_e32 v6, vcc, s26, v6
	v_addc_co_u32_e32 v7, vcc, v8, v7, vcc
	global_load_dwordx4 v[6:9], v[6:7], off
	v_cmp_gt_i32_e32 vcc, s37, v10
	v_cmp_le_i32_e64 s[6:7], s35, v10
	s_or_b64 s[6:7], vcc, s[6:7]
	s_waitcnt vmcnt(0)
	v_mul_f64 v[16:17], v[8:9], -v[4:5]
	v_mul_f64 v[14:15], v[8:9], v[2:3]
	v_fmac_f64_e32 v[16:17], v[2:3], v[6:7]
	v_fmac_f64_e32 v[14:15], v[4:5], v[6:7]
	s_and_saveexec_b64 s[22:23], s[6:7]
	s_xor_b64 s[6:7], exec, s[22:23]
	s_cbranch_execz .LBB110_134
; %bb.129:
	v_ashrrev_i32_e32 v11, 31, v10
	v_lshlrev_b64 v[6:7], 4, v[10:11]
	v_mov_b32_e32 v8, s19
	v_add_co_u32_e32 v18, vcc, s18, v6
	v_addc_co_u32_e32 v19, vcc, v8, v7, vcc
	global_load_dwordx2 v[8:9], v[18:19], off
	s_mov_b64 s[22:23], 0
.LBB110_130:                            ; =>This Inner Loop Header: Depth=1
	s_waitcnt vmcnt(0)
	v_add_f64 v[6:7], v[8:9], v[16:17]
	global_atomic_cmpswap_x2 v[6:7], v[18:19], v[6:9], off glc
	s_waitcnt vmcnt(0)
	v_cmp_eq_u64_e32 vcc, v[6:7], v[8:9]
	s_or_b64 s[22:23], vcc, s[22:23]
	v_pk_mov_b32 v[8:9], v[6:7], v[6:7] op_sel:[0,1]
	s_andn2_b64 exec, exec, s[22:23]
	s_cbranch_execnz .LBB110_130
; %bb.131:
	s_or_b64 exec, exec, s[22:23]
	global_load_dwordx2 v[8:9], v[18:19], off offset:8
	s_mov_b64 s[22:23], 0
.LBB110_132:                            ; =>This Inner Loop Header: Depth=1
	s_waitcnt vmcnt(0)
	v_add_f64 v[6:7], v[8:9], v[14:15]
	global_atomic_cmpswap_x2 v[6:7], v[18:19], v[6:9], off offset:8 glc
	s_waitcnt vmcnt(0)
	v_cmp_eq_u64_e32 vcc, v[6:7], v[8:9]
	s_or_b64 s[22:23], vcc, s[22:23]
	v_pk_mov_b32 v[8:9], v[6:7], v[6:7] op_sel:[0,1]
	s_andn2_b64 exec, exec, s[22:23]
	s_cbranch_execnz .LBB110_132
; %bb.133:
	s_or_b64 exec, exec, s[22:23]
                                        ; implicit-def: $vgpr16_vgpr17
                                        ; implicit-def: $vgpr14_vgpr15
.LBB110_134:
	s_andn2_saveexec_b64 s[6:7], s[6:7]
	s_cbranch_execz .LBB110_136
; %bb.135:
	v_subrev_u32_e32 v6, s37, v10
	v_mov_b32_e32 v7, 0x4000
	v_lshl_add_u32 v6, v6, 4, v7
	ds_add_f64 v6, v[16:17]
	ds_add_f64 v6, v[14:15] offset:8
.LBB110_136:
	s_or_b64 exec, exec, s[6:7]
.LBB110_137:
	s_or_b64 exec, exec, s[16:17]
.LBB110_138:
	s_andn2_saveexec_b64 s[6:7], s[14:15]
	s_cbranch_execz .LBB110_140
; %bb.139:
	ds_read_b128 v[2:5], v1 offset:8192
.LBB110_140:
	s_or_b64 exec, exec, s[6:7]
	v_ashrrev_i32_e32 v11, 31, v10
	v_lshlrev_b64 v[6:7], 4, v[10:11]
	v_mov_b32_e32 v8, s27
	v_add_co_u32_e32 v6, vcc, s26, v6
	v_addc_co_u32_e32 v7, vcc, v8, v7, vcc
	global_load_dwordx4 v[8:11], v[6:7], off
	s_and_b64 vcc, exec, s[4:5]
	v_mov_b32_e32 v6, s34
	s_waitcnt vmcnt(0) lgkmcnt(0)
	v_mul_f64 v[14:15], v[10:11], -v[4:5]
	v_mul_f64 v[16:17], v[10:11], v[2:3]
	v_fmac_f64_e32 v[14:15], v[2:3], v[8:9]
	v_fmac_f64_e32 v[16:17], v[4:5], v[8:9]
	v_mov_b32_e32 v2, s24
	ds_write_b128 v1, v[14:17] offset:8192
	s_cbranch_vccnz .LBB110_144
; %bb.141:
	s_mov_b64 s[6:7], 0
	v_mov_b32_e32 v6, s34
	v_mov_b32_e32 v2, s24
	;; [unrolled: 1-line block ×3, first 2 shown]
.LBB110_142:                            ; =>This Inner Loop Header: Depth=1
	v_add_u32_e32 v4, v2, v6
	v_lshrrev_b32_e32 v5, 31, v4
	v_add_u32_e32 v4, v4, v5
	v_ashrrev_i32_e32 v4, 1, v4
	v_ashrrev_i32_e32 v5, 31, v4
	v_lshlrev_b64 v[8:9], 2, v[4:5]
	v_add_co_u32_e32 v8, vcc, s20, v8
	v_addc_co_u32_e32 v9, vcc, v3, v9, vcc
	global_load_dword v5, v[8:9], off
	s_waitcnt vmcnt(0)
	v_subrev_u32_e32 v5, s36, v5
	v_cmp_gt_i32_e32 vcc, v5, v22
	v_cndmask_b32_e32 v2, v2, v4, vcc
	v_cndmask_b32_e32 v6, v4, v6, vcc
	v_add_u32_e32 v4, -1, v2
	v_cmp_ge_i32_e32 vcc, v6, v2
	v_cmp_eq_u32_e64 s[4:5], v6, v4
	s_or_b64 s[4:5], vcc, s[4:5]
	s_and_b64 s[4:5], exec, s[4:5]
	s_or_b64 s[6:7], s[4:5], s[6:7]
	s_andn2_b64 exec, exec, s[6:7]
	s_cbranch_execnz .LBB110_142
; %bb.143:
	s_or_b64 exec, exec, s[6:7]
.LBB110_144:
	v_ashrrev_i32_e32 v3, 31, v2
	v_lshlrev_b64 v[4:5], 2, v[2:3]
	v_mov_b32_e32 v3, s21
	v_add_co_u32_e32 v4, vcc, s20, v4
	v_addc_co_u32_e32 v5, vcc, v3, v5, vcc
	global_load_dword v3, v[4:5], off
	global_load_dword v7, v[12:13], off offset:3072
	s_waitcnt vmcnt(1)
	v_subrev_u32_e32 v3, s36, v3
	v_cmp_gt_i32_e32 vcc, v3, v22
	v_cndmask_b32_e32 v6, v2, v6, vcc
	s_waitcnt vmcnt(0)
	v_subrev_u32_e32 v10, s36, v7
	v_cmp_ne_u32_e32 vcc, v10, v6
                                        ; implicit-def: $vgpr2_vgpr3
	s_and_saveexec_b64 s[4:5], vcc
	s_xor_b64 s[6:7], exec, s[4:5]
	s_cbranch_execz .LBB110_156
; %bb.145:
	s_load_dword s4, s[12:13], 0x0
	ds_read_b128 v[2:5], v1 offset:12288
	s_waitcnt lgkmcnt(0)
	s_sub_i32 s4, s4, s36
	v_cmp_gt_i32_e32 vcc, s4, v22
	s_and_saveexec_b64 s[12:13], vcc
	s_cbranch_execz .LBB110_155
; %bb.146:
	v_ashrrev_i32_e32 v7, 31, v6
	v_lshlrev_b64 v[6:7], 4, v[6:7]
	v_mov_b32_e32 v8, s27
	v_add_co_u32_e32 v6, vcc, s26, v6
	v_addc_co_u32_e32 v7, vcc, v8, v7, vcc
	global_load_dwordx4 v[6:9], v[6:7], off
	v_cmp_gt_i32_e32 vcc, s37, v10
	v_cmp_le_i32_e64 s[4:5], s35, v10
	s_or_b64 s[4:5], vcc, s[4:5]
	s_waitcnt vmcnt(0)
	v_mul_f64 v[14:15], v[8:9], -v[4:5]
	v_mul_f64 v[12:13], v[8:9], v[2:3]
	v_fmac_f64_e32 v[14:15], v[2:3], v[6:7]
	v_fmac_f64_e32 v[12:13], v[4:5], v[6:7]
	s_and_saveexec_b64 s[14:15], s[4:5]
	s_xor_b64 s[4:5], exec, s[14:15]
	s_cbranch_execz .LBB110_152
; %bb.147:
	v_ashrrev_i32_e32 v11, 31, v10
	v_lshlrev_b64 v[6:7], 4, v[10:11]
	v_mov_b32_e32 v8, s19
	v_add_co_u32_e32 v16, vcc, s18, v6
	v_addc_co_u32_e32 v17, vcc, v8, v7, vcc
	global_load_dwordx2 v[8:9], v[16:17], off
	s_mov_b64 s[14:15], 0
.LBB110_148:                            ; =>This Inner Loop Header: Depth=1
	s_waitcnt vmcnt(0)
	v_add_f64 v[6:7], v[8:9], v[14:15]
	global_atomic_cmpswap_x2 v[6:7], v[16:17], v[6:9], off glc
	s_waitcnt vmcnt(0)
	v_cmp_eq_u64_e32 vcc, v[6:7], v[8:9]
	s_or_b64 s[14:15], vcc, s[14:15]
	v_pk_mov_b32 v[8:9], v[6:7], v[6:7] op_sel:[0,1]
	s_andn2_b64 exec, exec, s[14:15]
	s_cbranch_execnz .LBB110_148
; %bb.149:
	s_or_b64 exec, exec, s[14:15]
	global_load_dwordx2 v[8:9], v[16:17], off offset:8
	s_mov_b64 s[14:15], 0
.LBB110_150:                            ; =>This Inner Loop Header: Depth=1
	s_waitcnt vmcnt(0)
	v_add_f64 v[6:7], v[8:9], v[12:13]
	global_atomic_cmpswap_x2 v[6:7], v[16:17], v[6:9], off offset:8 glc
	s_waitcnt vmcnt(0)
	v_cmp_eq_u64_e32 vcc, v[6:7], v[8:9]
	s_or_b64 s[14:15], vcc, s[14:15]
	v_pk_mov_b32 v[8:9], v[6:7], v[6:7] op_sel:[0,1]
	s_andn2_b64 exec, exec, s[14:15]
	s_cbranch_execnz .LBB110_150
; %bb.151:
	s_or_b64 exec, exec, s[14:15]
                                        ; implicit-def: $vgpr14_vgpr15
                                        ; implicit-def: $vgpr12_vgpr13
.LBB110_152:
	s_andn2_saveexec_b64 s[4:5], s[4:5]
	s_cbranch_execz .LBB110_154
; %bb.153:
	v_subrev_u32_e32 v6, s37, v10
	v_mov_b32_e32 v7, 0x4000
	v_lshl_add_u32 v6, v6, 4, v7
	ds_add_f64 v6, v[14:15]
	ds_add_f64 v6, v[12:13] offset:8
.LBB110_154:
	s_or_b64 exec, exec, s[4:5]
.LBB110_155:
	s_or_b64 exec, exec, s[12:13]
.LBB110_156:
	s_andn2_saveexec_b64 s[4:5], s[6:7]
	s_cbranch_execz .LBB110_158
; %bb.157:
	ds_read_b128 v[2:5], v1 offset:12288
.LBB110_158:
	s_or_b64 exec, exec, s[4:5]
	v_ashrrev_i32_e32 v11, 31, v10
	v_lshlrev_b64 v[6:7], 4, v[10:11]
	v_mov_b32_e32 v8, s27
	v_add_co_u32_e32 v6, vcc, s26, v6
	v_addc_co_u32_e32 v7, vcc, v8, v7, vcc
	global_load_dwordx4 v[6:9], v[6:7], off
	s_waitcnt vmcnt(0) lgkmcnt(0)
	v_mul_f64 v[10:11], v[8:9], -v[4:5]
	v_mul_f64 v[12:13], v[8:9], v[2:3]
	v_fmac_f64_e32 v[10:11], v[2:3], v[6:7]
	v_fmac_f64_e32 v[12:13], v[4:5], v[6:7]
	ds_write_b128 v1, v[10:13] offset:12288
.LBB110_159:
	s_or_b64 exec, exec, s[10:11]
	s_min_i32 s12, s35, s30
	s_sub_i32 s14, s12, s28
	v_cmp_gt_i32_e32 vcc, s14, v0
	s_waitcnt lgkmcnt(0)
	s_barrier
	s_and_saveexec_b64 s[4:5], vcc
	s_cbranch_execz .LBB110_166
; %bb.160:
	s_mov_b64 s[6:7], 0
	v_mov_b32_e32 v12, s19
	v_mov_b32_e32 v13, 0x4000
	;; [unrolled: 1-line block ×3, first 2 shown]
.LBB110_161:                            ; =>This Loop Header: Depth=1
                                        ;     Child Loop BB110_162 Depth 2
                                        ;     Child Loop BB110_164 Depth 2
	v_add_u32_e32 v2, s37, v14
	v_ashrrev_i32_e32 v3, 31, v2
	v_lshlrev_b64 v[2:3], 4, v[2:3]
	v_add_co_u32_e32 v10, vcc, s18, v2
	v_addc_co_u32_e32 v11, vcc, v12, v3, vcc
	global_load_dwordx2 v[8:9], v[10:11], off
	v_lshl_add_u32 v2, v14, 4, v13
	ds_read2_b64 v[2:5], v2 offset1:1
	s_mov_b64 s[10:11], 0
.LBB110_162:                            ;   Parent Loop BB110_161 Depth=1
                                        ; =>  This Inner Loop Header: Depth=2
	s_waitcnt vmcnt(0) lgkmcnt(0)
	v_add_f64 v[6:7], v[8:9], v[2:3]
	global_atomic_cmpswap_x2 v[6:7], v[10:11], v[6:9], off glc
	s_waitcnt vmcnt(0)
	v_cmp_eq_u64_e32 vcc, v[6:7], v[8:9]
	s_or_b64 s[10:11], vcc, s[10:11]
	v_pk_mov_b32 v[8:9], v[6:7], v[6:7] op_sel:[0,1]
	s_andn2_b64 exec, exec, s[10:11]
	s_cbranch_execnz .LBB110_162
; %bb.163:                              ;   in Loop: Header=BB110_161 Depth=1
	s_or_b64 exec, exec, s[10:11]
	global_load_dwordx2 v[8:9], v[10:11], off offset:8
	s_mov_b64 s[10:11], 0
.LBB110_164:                            ;   Parent Loop BB110_161 Depth=1
                                        ; =>  This Inner Loop Header: Depth=2
	s_waitcnt vmcnt(0)
	v_add_f64 v[6:7], v[8:9], v[4:5]
	global_atomic_cmpswap_x2 v[2:3], v[10:11], v[6:9], off offset:8 glc
	s_waitcnt vmcnt(0)
	v_cmp_eq_u64_e32 vcc, v[2:3], v[8:9]
	s_or_b64 s[10:11], vcc, s[10:11]
	v_pk_mov_b32 v[8:9], v[2:3], v[2:3] op_sel:[0,1]
	s_andn2_b64 exec, exec, s[10:11]
	s_cbranch_execnz .LBB110_164
; %bb.165:                              ;   in Loop: Header=BB110_161 Depth=1
	s_or_b64 exec, exec, s[10:11]
	v_add_u32_e32 v14, 0x100, v14
	v_cmp_le_i32_e32 vcc, s14, v14
	s_or_b64 s[6:7], vcc, s[6:7]
	s_andn2_b64 exec, exec, s[6:7]
	s_cbranch_execnz .LBB110_161
.LBB110_166:
	s_or_b64 exec, exec, s[4:5]
	s_mul_i32 s4, s33, s28
	s_sub_i32 s4, s29, s4
	s_add_i32 s5, s33, 1
	s_sub_i32 s6, s4, s28
	s_cmp_ge_u32 s4, s28
	s_cselect_b32 s5, s5, s33
	s_cselect_b32 s4, s6, s4
	s_add_i32 s6, s5, 1
	s_cmp_ge_u32 s4, s28
	s_cselect_b32 s4, s6, s5
	s_add_i32 s4, s4, -1
	s_ashr_i32 s5, s4, 1
	s_or_b32 s4, s5, s4
	s_ashr_i32 s5, s4, 2
	s_or_b32 s4, s5, s4
	;; [unrolled: 2-line block ×5, first 2 shown]
	s_add_i32 s15, s15, 1
	s_ashr_i32 s16, s15, 1
	v_add_u32_e32 v10, s34, v0
	s_cmp_gt_i32 s16, 1
	s_mov_b64 s[4:5], -1
	s_barrier
	s_cbranch_scc1 .LBB110_179
; %bb.167:
	v_cmp_gt_i32_e32 vcc, s35, v10
	s_and_saveexec_b64 s[4:5], vcc
	s_cbranch_execz .LBB110_178
; %bb.168:
	s_sub_i32 s6, s12, s35
	s_lshl_b32 s6, s6, 4
	s_add_i32 s17, s6, 0x4000
	s_lshl_b32 s6, s31, 4
	s_sub_i32 s22, 0, s6
	s_mov_b64 s[6:7], 0
	v_mov_b32_e32 v11, s21
	v_mov_b32_e32 v18, s19
	;; [unrolled: 1-line block ×3, first 2 shown]
.LBB110_169:                            ; =>This Loop Header: Depth=1
                                        ;     Child Loop BB110_171 Depth 2
                                        ;     Child Loop BB110_174 Depth 2
	;; [unrolled: 1-line block ×3, first 2 shown]
	v_ashrrev_i32_e32 v13, 31, v12
	v_lshlrev_b64 v[2:3], 2, v[12:13]
	v_add_co_u32_e32 v2, vcc, s20, v2
	v_addc_co_u32_e32 v3, vcc, v11, v3, vcc
	global_load_dwordx2 v[2:3], v[2:3], off
	v_pk_mov_b32 v[14:15], 0, 0
	v_pk_mov_b32 v[6:7], v[14:15], v[14:15] op_sel:[0,1]
	s_waitcnt vmcnt(0)
	v_cmp_lt_i32_e32 vcc, v2, v3
	s_and_saveexec_b64 s[10:11], vcc
	s_cbranch_execz .LBB110_173
; %bb.170:                              ;   in Loop: Header=BB110_169 Depth=1
	v_pk_mov_b32 v[14:15], 0, 0
	v_subrev_u32_e32 v3, s31, v3
	v_subrev_u32_e32 v4, s31, v2
	v_lshl_add_u32 v2, v2, 4, s22
	s_mov_b64 s[12:13], 0
	v_pk_mov_b32 v[6:7], v[14:15], v[14:15] op_sel:[0,1]
.LBB110_171:                            ;   Parent Loop BB110_169 Depth=1
                                        ; =>  This Inner Loop Header: Depth=2
	ds_read_b128 v[20:23], v2
	v_add_u32_e32 v4, 1, v4
	v_cmp_ge_i32_e32 vcc, v4, v3
	v_add_u32_e32 v2, 16, v2
	s_or_b64 s[12:13], vcc, s[12:13]
	s_waitcnt lgkmcnt(0)
	v_add_f64 v[6:7], v[6:7], v[20:21]
	v_add_f64 v[14:15], v[14:15], v[22:23]
	s_andn2_b64 exec, exec, s[12:13]
	s_cbranch_execnz .LBB110_171
; %bb.172:                              ;   in Loop: Header=BB110_169 Depth=1
	s_or_b64 exec, exec, s[12:13]
.LBB110_173:                            ;   in Loop: Header=BB110_169 Depth=1
	s_or_b64 exec, exec, s[10:11]
	v_lshlrev_b64 v[2:3], 4, v[12:13]
	v_add_co_u32_e32 v16, vcc, s18, v2
	v_addc_co_u32_e32 v17, vcc, v18, v3, vcc
	global_load_dwordx2 v[8:9], v[16:17], off
	v_lshl_add_u32 v2, v12, 4, s17
	ds_read2_b64 v[2:5], v2 offset1:1
	s_mov_b64 s[10:11], 0
	s_waitcnt lgkmcnt(0)
	v_add_f64 v[2:3], v[6:7], v[2:3]
.LBB110_174:                            ;   Parent Loop BB110_169 Depth=1
                                        ; =>  This Inner Loop Header: Depth=2
	s_waitcnt vmcnt(0)
	v_add_f64 v[6:7], v[8:9], v[2:3]
	global_atomic_cmpswap_x2 v[6:7], v[16:17], v[6:9], off glc
	s_waitcnt vmcnt(0)
	v_cmp_eq_u64_e32 vcc, v[6:7], v[8:9]
	s_or_b64 s[10:11], vcc, s[10:11]
	v_pk_mov_b32 v[8:9], v[6:7], v[6:7] op_sel:[0,1]
	s_andn2_b64 exec, exec, s[10:11]
	s_cbranch_execnz .LBB110_174
; %bb.175:                              ;   in Loop: Header=BB110_169 Depth=1
	s_or_b64 exec, exec, s[10:11]
	global_load_dwordx2 v[6:7], v[16:17], off offset:8
	v_add_f64 v[2:3], v[14:15], v[4:5]
	s_mov_b64 s[10:11], 0
.LBB110_176:                            ;   Parent Loop BB110_169 Depth=1
                                        ; =>  This Inner Loop Header: Depth=2
	s_waitcnt vmcnt(0)
	v_add_f64 v[4:5], v[6:7], v[2:3]
	global_atomic_cmpswap_x2 v[4:5], v[16:17], v[4:7], off offset:8 glc
	s_waitcnt vmcnt(0)
	v_cmp_eq_u64_e32 vcc, v[4:5], v[6:7]
	s_or_b64 s[10:11], vcc, s[10:11]
	v_pk_mov_b32 v[6:7], v[4:5], v[4:5] op_sel:[0,1]
	s_andn2_b64 exec, exec, s[10:11]
	s_cbranch_execnz .LBB110_176
; %bb.177:                              ;   in Loop: Header=BB110_169 Depth=1
	s_or_b64 exec, exec, s[10:11]
	v_add_u32_e32 v12, s29, v12
	v_cmp_le_i32_e32 vcc, s35, v12
	s_or_b64 s[6:7], vcc, s[6:7]
	s_andn2_b64 exec, exec, s[6:7]
	s_cbranch_execnz .LBB110_169
.LBB110_178:
	s_or_b64 exec, exec, s[4:5]
	s_mov_b64 s[4:5], 0
.LBB110_179:
	s_andn2_b64 vcc, exec, s[4:5]
	s_cbranch_vccnz .LBB110_206
; %bb.180:
	v_cvt_f32_u32_e32 v2, s16
	s_sub_i32 s4, 0, s16
	v_rcp_iflag_f32_e32 v2, v2
	v_mul_f32_e32 v2, 0x4f7ffffe, v2
	v_cvt_u32_f32_e32 v2, v2
	v_mul_lo_u32 v3, s4, v2
	v_mul_hi_u32 v3, v2, v3
	v_add_u32_e32 v2, v2, v3
	v_mul_hi_u32 v2, v0, v2
	v_mul_lo_u32 v3, v2, s16
	v_sub_u32_e32 v3, v0, v3
	v_add_u32_e32 v4, 1, v2
	v_cmp_le_u32_e32 vcc, s16, v3
	v_cndmask_b32_e32 v2, v2, v4, vcc
	v_subrev_u32_e32 v4, s16, v3
	v_cndmask_b32_e32 v3, v3, v4, vcc
	v_add_u32_e32 v4, 1, v2
	v_cmp_le_u32_e32 vcc, s16, v3
	v_cndmask_b32_e32 v2, v2, v4, vcc
	v_lshlrev_b32_e32 v3, 2, v2
	global_load_dwordx2 v[8:9], v3, s[8:9]
	v_pk_mov_b32 v[4:5], 0, 0
	v_cmp_gt_i32_e32 vcc, s28, v2
	v_pk_mov_b32 v[2:3], v[4:5], v[4:5] op_sel:[0,1]
	s_and_saveexec_b64 s[4:5], vcc
	s_cbranch_execz .LBB110_194
; %bb.181:
	s_abs_i32 s8, s16
	v_cvt_f32_u32_e32 v2, s8
	s_waitcnt vmcnt(0)
	v_subrev_u32_e32 v6, s31, v8
	v_subrev_u32_e32 v9, s31, v9
	v_sub_u32_e32 v3, v9, v6
	v_rcp_iflag_f32_e32 v2, v2
	s_sub_i32 s6, 0, s8
	v_sub_u32_e32 v5, 0, v3
	v_ashrrev_i32_e32 v4, 31, v3
	v_mul_f32_e32 v2, 0x4f7ffffe, v2
	v_cvt_u32_f32_e32 v2, v2
	v_max_i32_e32 v5, v3, v5
	s_ashr_i32 s9, s16, 31
	v_mul_lo_u32 v3, s6, v2
	v_mul_hi_u32 v3, v2, v3
	v_add_u32_e32 v2, v2, v3
	v_mad_u64_u32 v[2:3], s[6:7], v5, v2, 0
	v_xor_b32_e32 v2, s9, v4
	v_mul_lo_u32 v4, v3, s8
	v_sub_u32_e32 v4, v5, v4
	v_add_u32_e32 v5, 1, v3
	v_cmp_le_u32_e32 vcc, s8, v4
	v_cndmask_b32_e32 v3, v3, v5, vcc
	v_subrev_u32_e32 v5, s8, v4
	v_cndmask_b32_e32 v4, v4, v5, vcc
	v_add_u32_e32 v5, 1, v3
	v_cmp_le_u32_e32 vcc, s8, v4
	v_cndmask_b32_e32 v3, v3, v5, vcc
	v_xor_b32_e32 v3, v3, v2
	v_sub_u32_e32 v7, v3, v2
	s_add_i32 s6, s16, -1
	v_pk_mov_b32 v[4:5], 0, 0
	v_and_b32_e32 v11, s6, v0
	v_cmp_lt_i32_e32 vcc, 0, v7
	v_pk_mov_b32 v[2:3], v[4:5], v[4:5] op_sel:[0,1]
	s_and_saveexec_b64 s[6:7], vcc
	s_cbranch_execz .LBB110_191
; %bb.182:
	v_pk_mov_b32 v[2:3], 0, 0
	v_cmp_lt_u32_e32 vcc, 7, v7
	v_mov_b32_e32 v12, 0
	v_pk_mov_b32 v[4:5], v[2:3], v[2:3] op_sel:[0,1]
	s_and_saveexec_b64 s[8:9], vcc
	s_cbranch_execz .LBB110_186
; %bb.183:
	v_add_u32_e32 v2, v8, v11
	v_subrev_u32_e32 v2, s31, v2
	v_pk_mov_b32 v[4:5], 0, 0
	v_and_b32_e32 v12, 0x7ffffff8, v7
	v_lshlrev_b32_e32 v13, 4, v2
	s_lshl_b32 s12, s16, 7
	s_lshl_b32 s13, s16, 4
	s_mov_b64 s[10:11], 0
	s_mov_b32 s17, 0
	v_pk_mov_b32 v[2:3], v[4:5], v[4:5] op_sel:[0,1]
.LBB110_184:                            ; =>This Inner Loop Header: Depth=1
	ds_read_b128 v[14:17], v13
	v_add_u32_e32 v18, s13, v13
	v_add_u32_e32 v26, s13, v18
	ds_read_b128 v[18:21], v18
	ds_read_b128 v[22:25], v26
	v_add_u32_e32 v26, s13, v26
	v_add_u32_e32 v34, s13, v26
	ds_read_b128 v[26:29], v26
	ds_read_b128 v[30:33], v34
	v_add_u32_e32 v34, s13, v34
	s_waitcnt lgkmcnt(4)
	v_add_f64 v[14:15], v[2:3], v[14:15]
	v_add_f64 v[16:17], v[4:5], v[16:17]
	ds_read_b128 v[2:5], v34
	v_add_u32_e32 v34, s13, v34
	s_waitcnt lgkmcnt(4)
	v_add_f64 v[18:19], v[14:15], v[18:19]
	v_add_f64 v[20:21], v[16:17], v[20:21]
	ds_read2_b64 v[14:17], v34 offset1:1
	v_add_u32_e32 v34, s13, v34
	s_waitcnt lgkmcnt(4)
	v_add_f64 v[22:23], v[18:19], v[22:23]
	v_add_f64 v[24:25], v[20:21], v[24:25]
	ds_read2_b64 v[18:21], v34 offset1:1
	s_waitcnt lgkmcnt(4)
	v_add_f64 v[22:23], v[22:23], v[26:27]
	v_add_f64 v[24:25], v[24:25], v[28:29]
	s_waitcnt lgkmcnt(3)
	v_add_f64 v[22:23], v[22:23], v[30:31]
	v_add_f64 v[24:25], v[24:25], v[32:33]
	s_add_i32 s17, s17, 8
	s_waitcnt lgkmcnt(2)
	v_add_f64 v[2:3], v[22:23], v[2:3]
	v_add_f64 v[4:5], v[24:25], v[4:5]
	v_cmp_eq_u32_e32 vcc, s17, v12
	s_waitcnt lgkmcnt(1)
	v_add_f64 v[2:3], v[2:3], v[14:15]
	v_add_f64 v[4:5], v[4:5], v[16:17]
	v_add_u32_e32 v13, s12, v13
	s_or_b64 s[10:11], vcc, s[10:11]
	s_waitcnt lgkmcnt(0)
	v_add_f64 v[2:3], v[2:3], v[18:19]
	v_add_f64 v[4:5], v[4:5], v[20:21]
	s_andn2_b64 exec, exec, s[10:11]
	s_cbranch_execnz .LBB110_184
; %bb.185:
	s_or_b64 exec, exec, s[10:11]
.LBB110_186:
	s_or_b64 exec, exec, s[8:9]
	v_and_b32_e32 v13, 7, v7
	v_cmp_ne_u32_e32 vcc, 0, v13
	s_and_saveexec_b64 s[8:9], vcc
	s_cbranch_execz .LBB110_190
; %bb.187:
	v_mul_lo_u32 v12, v12, s16
	v_add3_u32 v8, v8, v11, v12
	v_subrev_u32_e32 v8, s31, v8
	v_lshlrev_b32_e32 v8, 4, v8
	s_lshl_b32 s12, s16, 4
	s_mov_b64 s[10:11], 0
.LBB110_188:                            ; =>This Inner Loop Header: Depth=1
	ds_read_b128 v[14:17], v8
	v_add_u32_e32 v13, -1, v13
	v_cmp_eq_u32_e32 vcc, 0, v13
	v_add_u32_e32 v8, s12, v8
	s_or_b64 s[10:11], vcc, s[10:11]
	s_waitcnt lgkmcnt(0)
	v_add_f64 v[2:3], v[2:3], v[14:15]
	v_add_f64 v[4:5], v[4:5], v[16:17]
	s_andn2_b64 exec, exec, s[10:11]
	s_cbranch_execnz .LBB110_188
; %bb.189:
	s_or_b64 exec, exec, s[10:11]
.LBB110_190:
	s_or_b64 exec, exec, s[8:9]
.LBB110_191:
	s_or_b64 exec, exec, s[6:7]
	v_mad_u64_u32 v[6:7], s[6:7], v7, s16, v[6:7]
	v_sub_u32_e32 v7, v9, v6
	v_cmp_lt_i32_e32 vcc, v11, v7
	s_and_saveexec_b64 s[6:7], vcc
	s_cbranch_execz .LBB110_193
; %bb.192:
	v_add_lshl_u32 v6, v6, v11, 4
	ds_read_b128 v[6:9], v6
	s_waitcnt lgkmcnt(0)
	v_add_f64 v[2:3], v[2:3], v[6:7]
	v_add_f64 v[4:5], v[4:5], v[8:9]
.LBB110_193:
	s_or_b64 exec, exec, s[6:7]
.LBB110_194:
	s_or_b64 exec, exec, s[4:5]
	v_cmp_gt_i32_e32 vcc, s28, v0
	s_barrier
	ds_write_b128 v1, v[2:5]
	s_waitcnt lgkmcnt(0)
	s_barrier
	s_and_b64 exec, exec, vcc
	s_cbranch_execz .LBB110_206
; %bb.195:
	v_mul_lo_u32 v1, s16, v0
	s_cmp_lt_u32 s16, 8
	v_pk_mov_b32 v[4:5], 0, 0
	s_cbranch_scc1 .LBB110_198
; %bb.196:
	s_waitcnt vmcnt(0)
	v_pk_mov_b32 v[8:9], 0, 0
	s_and_b32 s4, s16, 0x7ffffff8
	v_lshlrev_b32_e32 v2, 4, v1
	s_mov_b32 s5, 0
	v_pk_mov_b32 v[4:5], v[8:9], v[8:9] op_sel:[0,1]
.LBB110_197:                            ; =>This Inner Loop Header: Depth=1
	ds_read_b128 v[12:15], v2
	ds_read_b128 v[16:19], v2 offset:16
	ds_read_b128 v[20:23], v2 offset:32
	ds_read_b128 v[24:27], v2 offset:48
	ds_read_b128 v[28:31], v2 offset:64
	ds_read_b128 v[32:35], v2 offset:80
	ds_read_b128 v[36:39], v2 offset:96
	ds_read_b128 v[40:43], v2 offset:112
	s_waitcnt lgkmcnt(7)
	v_add_f64 v[4:5], v[4:5], v[12:13]
	v_add_f64 v[6:7], v[8:9], v[14:15]
	s_waitcnt lgkmcnt(6)
	v_add_f64 v[4:5], v[4:5], v[16:17]
	v_add_f64 v[6:7], v[6:7], v[18:19]
	;; [unrolled: 3-line block ×6, first 2 shown]
	s_add_i32 s5, s5, 8
	s_waitcnt lgkmcnt(1)
	v_add_f64 v[4:5], v[4:5], v[36:37]
	v_add_f64 v[6:7], v[6:7], v[38:39]
	v_add_u32_e32 v2, 0x80, v2
	s_cmp_eq_u32 s4, s5
	s_waitcnt lgkmcnt(0)
	v_add_f64 v[4:5], v[4:5], v[40:41]
	v_add_f64 v[8:9], v[6:7], v[42:43]
	s_cbranch_scc0 .LBB110_197
	s_branch .LBB110_199
.LBB110_198:
	s_mov_b32 s4, 0
	s_waitcnt vmcnt(0)
	v_pk_mov_b32 v[8:9], v[4:5], v[4:5] op_sel:[0,1]
.LBB110_199:
	s_bfe_u32 s5, s15, 0x30001
	s_cmp_eq_u32 s5, 0
	s_cbranch_scc1 .LBB110_202
; %bb.200:
	v_add_lshl_u32 v1, s4, v1, 4
.LBB110_201:                            ; =>This Inner Loop Header: Depth=1
	ds_read_b128 v[12:15], v1
	s_add_i32 s5, s5, -1
	v_add_u32_e32 v1, 16, v1
	s_cmp_lg_u32 s5, 0
	s_waitcnt lgkmcnt(0)
	v_add_f64 v[4:5], v[4:5], v[12:13]
	v_add_f64 v[8:9], v[8:9], v[14:15]
	s_cbranch_scc1 .LBB110_201
.LBB110_202:
	v_ashrrev_i32_e32 v11, 31, v10
	v_lshlrev_b64 v[2:3], 4, v[10:11]
	v_mov_b32_e32 v1, s19
	v_add_co_u32_e32 v10, vcc, s18, v2
	v_addc_co_u32_e32 v11, vcc, v1, v3, vcc
	global_load_dwordx2 v[6:7], v[10:11], off
	s_lshl_b32 s4, s14, 4
	s_addk_i32 s4, 0x4000
	v_lshl_add_u32 v0, v0, 4, s4
	ds_read2_b64 v[0:3], v0 offset1:1
	s_mov_b64 s[4:5], 0
	s_waitcnt lgkmcnt(0)
	v_add_f64 v[0:1], v[4:5], v[0:1]
.LBB110_203:                            ; =>This Inner Loop Header: Depth=1
	s_waitcnt vmcnt(0)
	v_add_f64 v[4:5], v[6:7], v[0:1]
	global_atomic_cmpswap_x2 v[4:5], v[10:11], v[4:7], off glc
	s_waitcnt vmcnt(0)
	v_cmp_eq_u64_e32 vcc, v[4:5], v[6:7]
	s_or_b64 s[4:5], vcc, s[4:5]
	v_pk_mov_b32 v[6:7], v[4:5], v[4:5] op_sel:[0,1]
	s_andn2_b64 exec, exec, s[4:5]
	s_cbranch_execnz .LBB110_203
; %bb.204:
	s_or_b64 exec, exec, s[4:5]
	global_load_dwordx2 v[4:5], v[10:11], off offset:8
	v_add_f64 v[0:1], v[8:9], v[2:3]
	s_mov_b64 s[4:5], 0
.LBB110_205:                            ; =>This Inner Loop Header: Depth=1
	s_waitcnt vmcnt(0)
	v_add_f64 v[2:3], v[4:5], v[0:1]
	global_atomic_cmpswap_x2 v[2:3], v[10:11], v[2:5], off offset:8 glc
	s_waitcnt vmcnt(0)
	v_cmp_eq_u64_e32 vcc, v[2:3], v[4:5]
	s_or_b64 s[4:5], vcc, s[4:5]
	v_pk_mov_b32 v[4:5], v[2:3], v[2:3] op_sel:[0,1]
	s_andn2_b64 exec, exec, s[4:5]
	s_cbranch_execnz .LBB110_205
.LBB110_206:
	s_endpgm
	.section	.rodata,"a",@progbits
	.p2align	6, 0x0
	.amdhsa_kernel _ZN9rocsparseL27csrmvn_symm_adaptive_kernelIii21rocsparse_complex_numIfES1_IdES3_S3_EEvbT_S4_PKS4_NS_24const_host_device_scalarIT4_EES6_PKT0_PKT1_PKT2_S9_PT3_21rocsparse_index_base_b
		.amdhsa_group_segment_fixed_size 16384
		.amdhsa_private_segment_fixed_size 24
		.amdhsa_kernarg_size 360
		.amdhsa_user_sgpr_count 8
		.amdhsa_user_sgpr_private_segment_buffer 1
		.amdhsa_user_sgpr_dispatch_ptr 0
		.amdhsa_user_sgpr_queue_ptr 0
		.amdhsa_user_sgpr_kernarg_segment_ptr 1
		.amdhsa_user_sgpr_dispatch_id 0
		.amdhsa_user_sgpr_flat_scratch_init 1
		.amdhsa_user_sgpr_kernarg_preload_length 0
		.amdhsa_user_sgpr_kernarg_preload_offset 0
		.amdhsa_user_sgpr_private_segment_size 0
		.amdhsa_uses_dynamic_stack 0
		.amdhsa_system_sgpr_private_segment_wavefront_offset 1
		.amdhsa_system_sgpr_workgroup_id_x 1
		.amdhsa_system_sgpr_workgroup_id_y 0
		.amdhsa_system_sgpr_workgroup_id_z 0
		.amdhsa_system_sgpr_workgroup_info 0
		.amdhsa_system_vgpr_workitem_id 0
		.amdhsa_next_free_vgpr 44
		.amdhsa_next_free_sgpr 54
		.amdhsa_accum_offset 44
		.amdhsa_reserve_vcc 1
		.amdhsa_reserve_flat_scratch 1
		.amdhsa_float_round_mode_32 0
		.amdhsa_float_round_mode_16_64 0
		.amdhsa_float_denorm_mode_32 3
		.amdhsa_float_denorm_mode_16_64 3
		.amdhsa_dx10_clamp 1
		.amdhsa_ieee_mode 1
		.amdhsa_fp16_overflow 0
		.amdhsa_tg_split 0
		.amdhsa_exception_fp_ieee_invalid_op 0
		.amdhsa_exception_fp_denorm_src 0
		.amdhsa_exception_fp_ieee_div_zero 0
		.amdhsa_exception_fp_ieee_overflow 0
		.amdhsa_exception_fp_ieee_underflow 0
		.amdhsa_exception_fp_ieee_inexact 0
		.amdhsa_exception_int_div_zero 0
	.end_amdhsa_kernel
	.section	.text._ZN9rocsparseL27csrmvn_symm_adaptive_kernelIii21rocsparse_complex_numIfES1_IdES3_S3_EEvbT_S4_PKS4_NS_24const_host_device_scalarIT4_EES6_PKT0_PKT1_PKT2_S9_PT3_21rocsparse_index_base_b,"axG",@progbits,_ZN9rocsparseL27csrmvn_symm_adaptive_kernelIii21rocsparse_complex_numIfES1_IdES3_S3_EEvbT_S4_PKS4_NS_24const_host_device_scalarIT4_EES6_PKT0_PKT1_PKT2_S9_PT3_21rocsparse_index_base_b,comdat
.Lfunc_end110:
	.size	_ZN9rocsparseL27csrmvn_symm_adaptive_kernelIii21rocsparse_complex_numIfES1_IdES3_S3_EEvbT_S4_PKS4_NS_24const_host_device_scalarIT4_EES6_PKT0_PKT1_PKT2_S9_PT3_21rocsparse_index_base_b, .Lfunc_end110-_ZN9rocsparseL27csrmvn_symm_adaptive_kernelIii21rocsparse_complex_numIfES1_IdES3_S3_EEvbT_S4_PKS4_NS_24const_host_device_scalarIT4_EES6_PKT0_PKT1_PKT2_S9_PT3_21rocsparse_index_base_b
                                        ; -- End function
	.section	.AMDGPU.csdata,"",@progbits
; Kernel info:
; codeLenInByte = 9108
; NumSgprs: 60
; NumVgprs: 44
; NumAgprs: 0
; TotalNumVgprs: 44
; ScratchSize: 24
; MemoryBound: 0
; FloatMode: 240
; IeeeMode: 1
; LDSByteSize: 16384 bytes/workgroup (compile time only)
; SGPRBlocks: 7
; VGPRBlocks: 5
; NumSGPRsForWavesPerEU: 60
; NumVGPRsForWavesPerEU: 44
; AccumOffset: 44
; Occupancy: 4
; WaveLimiterHint : 1
; COMPUTE_PGM_RSRC2:SCRATCH_EN: 1
; COMPUTE_PGM_RSRC2:USER_SGPR: 8
; COMPUTE_PGM_RSRC2:TRAP_HANDLER: 0
; COMPUTE_PGM_RSRC2:TGID_X_EN: 1
; COMPUTE_PGM_RSRC2:TGID_Y_EN: 0
; COMPUTE_PGM_RSRC2:TGID_Z_EN: 0
; COMPUTE_PGM_RSRC2:TIDIG_COMP_CNT: 0
; COMPUTE_PGM_RSRC3_GFX90A:ACCUM_OFFSET: 10
; COMPUTE_PGM_RSRC3_GFX90A:TG_SPLIT: 0
	.section	.text._ZL33csrmvn_symm_large_adaptive_kernelIii21rocsparse_complex_numIfES0_IdES2_S2_EvbT_PKS3_N9rocsparse24const_host_device_scalarIT4_EES5_PKT0_PKT1_PKT2_S9_PT3_21rocsparse_index_base_b,"axG",@progbits,_ZL33csrmvn_symm_large_adaptive_kernelIii21rocsparse_complex_numIfES0_IdES2_S2_EvbT_PKS3_N9rocsparse24const_host_device_scalarIT4_EES5_PKT0_PKT1_PKT2_S9_PT3_21rocsparse_index_base_b,comdat
	.globl	_ZL33csrmvn_symm_large_adaptive_kernelIii21rocsparse_complex_numIfES0_IdES2_S2_EvbT_PKS3_N9rocsparse24const_host_device_scalarIT4_EES5_PKT0_PKT1_PKT2_S9_PT3_21rocsparse_index_base_b ; -- Begin function _ZL33csrmvn_symm_large_adaptive_kernelIii21rocsparse_complex_numIfES0_IdES2_S2_EvbT_PKS3_N9rocsparse24const_host_device_scalarIT4_EES5_PKT0_PKT1_PKT2_S9_PT3_21rocsparse_index_base_b
	.p2align	8
	.type	_ZL33csrmvn_symm_large_adaptive_kernelIii21rocsparse_complex_numIfES0_IdES2_S2_EvbT_PKS3_N9rocsparse24const_host_device_scalarIT4_EES5_PKT0_PKT1_PKT2_S9_PT3_21rocsparse_index_base_b,@function
_ZL33csrmvn_symm_large_adaptive_kernelIii21rocsparse_complex_numIfES0_IdES2_S2_EvbT_PKS3_N9rocsparse24const_host_device_scalarIT4_EES5_PKT0_PKT1_PKT2_S9_PT3_21rocsparse_index_base_b: ; @_ZL33csrmvn_symm_large_adaptive_kernelIii21rocsparse_complex_numIfES0_IdES2_S2_EvbT_PKS3_N9rocsparse24const_host_device_scalarIT4_EES5_PKT0_PKT1_PKT2_S9_PT3_21rocsparse_index_base_b
; %bb.0:
	s_add_u32 flat_scratch_lo, s6, s9
	s_addc_u32 flat_scratch_hi, s7, 0
	s_load_dwordx2 s[24:25], s[4:5], 0x58
	s_load_dwordx4 s[16:19], s[4:5], 0x10
	s_load_dwordx4 s[12:15], s[4:5], 0x40
	s_add_u32 s0, s0, s9
	s_addc_u32 s1, s1, 0
	s_waitcnt lgkmcnt(0)
	s_bitcmp1_b32 s25, 0
	v_mov_b32_e32 v1, 0
	v_mov_b32_e32 v3, s16
	s_cselect_b64 s[6:7], -1, 0
	v_cndmask_b32_e64 v2, v3, v1, s[6:7]
	v_mov_b32_e32 v1, s17
	s_mov_b64 s[10:11], src_private_base
	s_and_b64 vcc, s[6:7], exec
	buffer_store_dword v1, off, s[0:3], 0 offset:4
	buffer_store_dword v3, off, s[0:3], 0
	v_mov_b32_e32 v1, s13
	s_cselect_b32 s9, s11, s17
	buffer_store_dword v1, off, s[0:3], 0 offset:12
	v_mov_b32_e32 v1, s12
	buffer_store_dword v1, off, s[0:3], 0 offset:8
	v_mov_b32_e32 v3, s9
	flat_load_dwordx2 v[8:9], v[2:3]
	s_xor_b64 s[20:21], s[6:7], -1
	v_pk_mov_b32 v[10:11], s[18:19], s[18:19] op_sel:[0,1]
	s_cbranch_vccnz .LBB111_2
; %bb.1:
	v_pk_mov_b32 v[2:3], s[16:17], s[16:17] op_sel:[0,1]
	flat_load_dwordx2 v[10:11], v[2:3] offset:8
.LBB111_2:
	s_and_b64 s[16:17], s[6:7], exec
	s_cselect_b32 s9, s11, s13
	v_mov_b32_e32 v1, 8
	v_mov_b32_e32 v2, s12
	v_cndmask_b32_e64 v2, v2, v1, s[6:7]
	v_mov_b32_e32 v3, s9
	flat_load_dwordx2 v[2:3], v[2:3]
	s_andn2_b64 vcc, exec, s[20:21]
	v_pk_mov_b32 v[4:5], s[14:15], s[14:15] op_sel:[0,1]
	s_cbranch_vccnz .LBB111_4
; %bb.3:
	v_pk_mov_b32 v[4:5], s[12:13], s[12:13] op_sel:[0,1]
	flat_load_dwordx2 v[4:5], v[4:5] offset:8
.LBB111_4:
	s_waitcnt vmcnt(0) lgkmcnt(0)
	v_cmp_eq_f64_e32 vcc, 0, v[8:9]
	v_cmp_eq_f64_e64 s[6:7], 0, v[10:11]
	s_and_b64 s[12:13], vcc, s[6:7]
	s_mov_b64 s[6:7], -1
	s_and_saveexec_b64 s[10:11], s[12:13]
; %bb.5:
	v_cmp_neq_f64_e32 vcc, 1.0, v[2:3]
	v_cmp_neq_f64_e64 s[6:7], 0, v[4:5]
	s_or_b64 s[6:7], vcc, s[6:7]
	s_orn2_b64 s[6:7], s[6:7], exec
; %bb.6:
	s_or_b64 exec, exec, s[10:11]
	s_and_saveexec_b64 s[10:11], s[6:7]
	s_cbranch_execz .LBB111_51
; %bb.7:
	s_load_dword s9, s[4:5], 0x0
	s_load_dwordx2 s[6:7], s[4:5], 0x8
	s_mov_b32 s12, 0
	s_mov_b32 s13, s12
	;; [unrolled: 1-line block ×3, first 2 shown]
	s_waitcnt lgkmcnt(0)
	s_bitcmp1_b32 s9, 0
	s_cselect_b64 s[26:27], -1, 0
	s_ashr_i32 s9, s8, 31
	s_lshl_b64 s[8:9], s[8:9], 2
	s_mov_b32 s15, s12
	v_pk_mov_b32 v[2:3], s[12:13], s[12:13] op_sel:[0,1]
	s_add_u32 s6, s6, s8
	v_lshlrev_b32_e32 v14, 4, v0
	v_pk_mov_b32 v[4:5], s[14:15], s[14:15] op_sel:[0,1]
	s_addc_u32 s7, s7, s9
	ds_write_b128 v14, v[2:5]
	ds_write_b128 v14, v[2:5] offset:4096
	ds_write_b128 v14, v[2:5] offset:8192
	ds_write_b128 v14, v[2:5] offset:12288
	s_waitcnt lgkmcnt(0)
	s_barrier
	s_load_dwordx2 s[28:29], s[6:7], 0x0
	s_load_dwordx2 s[30:31], s[4:5], 0x50
	s_load_dwordx8 s[16:23], s[4:5], 0x20
	s_waitcnt lgkmcnt(0)
	s_cmp_lt_i32 s28, s29
	s_cbranch_scc1 .LBB111_9
; %bb.8:
	s_ashr_i32 s5, s28, 31
	s_mov_b32 s4, s28
	s_lshl_b64 s[4:5], s[4:5], 2
	s_add_u32 s4, s16, s4
	s_addc_u32 s5, s17, s5
	s_load_dword s25, s[4:5], 0x0
	v_subrev_u32_e32 v15, s24, v0
	s_cbranch_execz .LBB111_10
	s_branch .LBB111_39
.LBB111_9:
                                        ; implicit-def: $sgpr25
	v_subrev_u32_e32 v15, s24, v0
.LBB111_10:
	s_ashr_i32 s15, s28, 31
	s_mov_b32 s14, s28
	s_lshl_b64 s[14:15], s[14:15], 2
	s_add_u32 s14, s16, s14
	s_addc_u32 s15, s17, s15
	s_waitcnt lgkmcnt(0)
	s_load_dword s25, s[14:15], 0x0
	s_add_u32 s33, s16, 4
	s_addc_u32 s42, s17, 0
	s_movk_i32 s4, 0x100
	s_add_u32 s43, s20, 4
	v_cmp_gt_u32_e64 s[4:5], s4, v0
	v_cmp_gt_u32_e64 s[6:7], 64, v0
	;; [unrolled: 1-line block ×4, first 2 shown]
	v_cmp_eq_u32_e64 s[12:13], 0, v0
	s_addc_u32 s44, s21, 0
	v_mov_b32_e32 v16, s23
	v_mov_b32_e32 v17, 0
	s_waitcnt lgkmcnt(0)
	s_mov_b32 s45, s25
	s_mov_b32 s34, s28
	s_branch .LBB111_12
.LBB111_11:                             ;   in Loop: Header=BB111_12 Depth=1
	s_or_b64 exec, exec, s[14:15]
	s_add_i32 s34, s34, 1
	s_cmp_ge_i32 s34, s29
	s_cbranch_scc1 .LBB111_39
.LBB111_12:                             ; =>This Loop Header: Depth=1
                                        ;     Child Loop BB111_14 Depth 2
                                        ;     Child Loop BB111_28 Depth 2
	;; [unrolled: 1-line block ×5, first 2 shown]
	s_ashr_i32 s35, s34, 31
	s_lshl_b64 s[14:15], s[34:35], 2
	s_add_u32 s14, s33, s14
	s_addc_u32 s15, s42, s15
	s_mov_b32 s36, s45
	s_load_dword s45, s[14:15], 0x0
	v_pk_mov_b32 v[2:3], 0, 0
	v_add_u32_e32 v4, s36, v15
	v_pk_mov_b32 v[0:1], v[2:3], v[2:3] op_sel:[0,1]
	s_waitcnt lgkmcnt(0)
	s_sub_i32 s40, s45, s24
	v_cmp_gt_i32_e32 vcc, s40, v4
	s_and_saveexec_b64 s[36:37], vcc
	s_cbranch_execz .LBB111_16
; %bb.13:                               ;   in Loop: Header=BB111_12 Depth=1
	v_ashrrev_i32_e32 v5, 31, v4
	v_lshlrev_b64 v[0:1], 2, v[4:5]
	v_mov_b32_e32 v2, s19
	v_add_co_u32_e32 v6, vcc, s18, v0
	v_addc_co_u32_e32 v7, vcc, v2, v1, vcc
	v_lshlrev_b64 v[0:1], 3, v[4:5]
	v_mov_b32_e32 v2, s44
	v_add_co_u32_e32 v12, vcc, s43, v0
	v_addc_co_u32_e32 v13, vcc, v2, v1, vcc
	v_pk_mov_b32 v[2:3], 0, 0
	s_mov_b64 s[38:39], 0
	v_pk_mov_b32 v[0:1], v[2:3], v[2:3] op_sel:[0,1]
.LBB111_14:                             ;   Parent Loop BB111_12 Depth=1
                                        ; =>  This Inner Loop Header: Depth=2
	global_load_dword v5, v[6:7], off
	global_load_dwordx2 v[22:23], v[12:13], off offset:-4
	v_add_u32_e32 v4, 0x100, v4
	v_cmp_le_i32_e64 s[14:15], s40, v4
	s_or_b64 s[38:39], s[14:15], s[38:39]
	s_waitcnt vmcnt(1)
	v_subrev_u32_e32 v18, s24, v5
	v_ashrrev_i32_e32 v19, 31, v18
	v_lshlrev_b64 v[18:19], 4, v[18:19]
	v_add_co_u32_e32 v18, vcc, s22, v18
	v_addc_co_u32_e32 v19, vcc, v16, v19, vcc
	global_load_dwordx4 v[18:21], v[18:19], off
	v_add_co_u32_e32 v6, vcc, 0x400, v6
	s_waitcnt vmcnt(1)
	v_cndmask_b32_e64 v5, v23, -v23, s[26:27]
	v_addc_co_u32_e32 v7, vcc, 0, v7, vcc
	v_cvt_f64_f32_e32 v[22:23], v22
	v_cvt_f64_f32_e32 v[24:25], v5
	v_add_co_u32_e32 v12, vcc, 0x800, v12
	v_addc_co_u32_e32 v13, vcc, 0, v13, vcc
	s_waitcnt vmcnt(0)
	v_fmac_f64_e32 v[0:1], v[22:23], v[18:19]
	v_fmac_f64_e32 v[2:3], v[24:25], v[18:19]
	v_fma_f64 v[0:1], -v[24:25], v[20:21], v[0:1]
	v_fmac_f64_e32 v[2:3], v[22:23], v[20:21]
	s_andn2_b64 exec, exec, s[38:39]
	s_cbranch_execnz .LBB111_14
; %bb.15:                               ;   in Loop: Header=BB111_12 Depth=1
	s_or_b64 exec, exec, s[38:39]
.LBB111_16:                             ;   in Loop: Header=BB111_12 Depth=1
	s_or_b64 exec, exec, s[36:37]
	ds_write_b128 v14, v[0:3]
	s_waitcnt lgkmcnt(0)
	s_barrier
	s_and_saveexec_b64 s[14:15], s[4:5]
	s_cbranch_execz .LBB111_18
; %bb.17:                               ;   in Loop: Header=BB111_12 Depth=1
	ds_read_b128 v[0:3], v14 offset:4096
	ds_read_b128 v[4:7], v14 offset:8192
	ds_read_b128 v[18:21], v14 offset:12288
	ds_read_b128 v[22:25], v14
	s_waitcnt lgkmcnt(2)
	v_add_f64 v[0:1], v[4:5], v[0:1]
	v_add_f64 v[2:3], v[6:7], v[2:3]
	s_waitcnt lgkmcnt(1)
	v_add_f64 v[0:1], v[0:1], v[18:19]
	v_add_f64 v[2:3], v[2:3], v[20:21]
	s_waitcnt lgkmcnt(0)
	v_add_f64 v[0:1], v[0:1], v[22:23]
	v_add_f64 v[2:3], v[2:3], v[24:25]
	ds_write_b128 v14, v[0:3]
.LBB111_18:                             ;   in Loop: Header=BB111_12 Depth=1
	s_or_b64 exec, exec, s[14:15]
	s_waitcnt lgkmcnt(0)
	s_barrier
	s_and_saveexec_b64 s[14:15], s[6:7]
	s_cbranch_execz .LBB111_20
; %bb.19:                               ;   in Loop: Header=BB111_12 Depth=1
	ds_read_b128 v[0:3], v14 offset:1024
	ds_read_b128 v[4:7], v14 offset:2048
	ds_read_b128 v[18:21], v14 offset:3072
	ds_read_b128 v[22:25], v14
	s_waitcnt lgkmcnt(2)
	v_add_f64 v[0:1], v[4:5], v[0:1]
	v_add_f64 v[2:3], v[6:7], v[2:3]
	s_waitcnt lgkmcnt(1)
	v_add_f64 v[0:1], v[0:1], v[18:19]
	v_add_f64 v[2:3], v[2:3], v[20:21]
	s_waitcnt lgkmcnt(0)
	v_add_f64 v[0:1], v[0:1], v[22:23]
	v_add_f64 v[2:3], v[2:3], v[24:25]
	ds_write_b128 v14, v[0:3]
.LBB111_20:                             ;   in Loop: Header=BB111_12 Depth=1
	s_or_b64 exec, exec, s[14:15]
	;; [unrolled: 21-line block ×5, first 2 shown]
	s_waitcnt lgkmcnt(0)
	s_barrier
	s_and_saveexec_b64 s[14:15], s[12:13]
	s_cbranch_execz .LBB111_11
; %bb.27:                               ;   in Loop: Header=BB111_12 Depth=1
	ds_read_b128 v[0:3], v17
	v_mov_b32_e32 v12, 0
	s_mov_b64 s[36:37], exec
	v_bfrev_b32_e32 v13, 1
	s_waitcnt lgkmcnt(0)
	v_mul_f64 v[4:5], v[2:3], -v[10:11]
	v_fmac_f64_e32 v[4:5], v[8:9], v[0:1]
.LBB111_28:                             ;   Parent Loop BB111_12 Depth=1
                                        ; =>  This Inner Loop Header: Depth=2
	s_ff1_i32_b64 s40, s[36:37]
	v_readlane_b32 s39, v5, s40
	v_readlane_b32 s38, v4, s40
	s_lshl_b64 s[40:41], 1, s40
	s_andn2_b64 s[36:37], s[36:37], s[40:41]
	s_cmp_lg_u64 s[36:37], 0
	v_add_f64 v[12:13], v[12:13], s[38:39]
	s_cbranch_scc1 .LBB111_28
; %bb.29:                               ;   in Loop: Header=BB111_12 Depth=1
	s_lshl_b64 s[36:37], s[34:35], 4
	v_mbcnt_lo_u32_b32 v4, exec_lo, 0
	s_add_u32 s36, s30, s36
	v_mbcnt_hi_u32_b32 v4, exec_hi, v4
	s_addc_u32 s37, s31, s37
	v_cmp_eq_u32_e32 vcc, 0, v4
	s_and_saveexec_b64 s[38:39], vcc
	s_xor_b64 s[38:39], exec, s[38:39]
	s_cbranch_execz .LBB111_33
; %bb.30:                               ;   in Loop: Header=BB111_12 Depth=1
	global_load_dwordx2 v[6:7], v17, s[36:37]
	s_mov_b64 s[40:41], 0
.LBB111_31:                             ;   Parent Loop BB111_12 Depth=1
                                        ; =>  This Inner Loop Header: Depth=2
	s_waitcnt vmcnt(0)
	v_add_f64 v[4:5], v[6:7], v[12:13]
	global_atomic_cmpswap_x2 v[4:5], v17, v[4:7], s[36:37] glc
	s_waitcnt vmcnt(0)
	v_cmp_eq_u64_e32 vcc, v[4:5], v[6:7]
	s_or_b64 s[40:41], vcc, s[40:41]
	v_pk_mov_b32 v[6:7], v[4:5], v[4:5] op_sel:[0,1]
	s_andn2_b64 exec, exec, s[40:41]
	s_cbranch_execnz .LBB111_31
; %bb.32:                               ;   in Loop: Header=BB111_12 Depth=1
	s_or_b64 exec, exec, s[40:41]
.LBB111_33:                             ;   in Loop: Header=BB111_12 Depth=1
	s_or_b64 exec, exec, s[38:39]
	v_mul_f64 v[2:3], v[8:9], v[2:3]
	v_mov_b32_e32 v4, 0
	s_mov_b64 s[38:39], exec
	v_fmac_f64_e32 v[2:3], v[10:11], v[0:1]
	v_bfrev_b32_e32 v5, 1
.LBB111_34:                             ;   Parent Loop BB111_12 Depth=1
                                        ; =>  This Inner Loop Header: Depth=2
	s_ff1_i32_b64 s35, s[38:39]
	s_lshl_b64 s[46:47], 1, s35
	v_readlane_b32 s41, v3, s35
	v_readlane_b32 s40, v2, s35
	s_andn2_b64 s[38:39], s[38:39], s[46:47]
	s_cmp_lg_u64 s[38:39], 0
	v_add_f64 v[4:5], v[4:5], s[40:41]
	s_cbranch_scc1 .LBB111_34
; %bb.35:                               ;   in Loop: Header=BB111_12 Depth=1
	v_mbcnt_lo_u32_b32 v0, exec_lo, 0
	v_mbcnt_hi_u32_b32 v0, exec_hi, v0
	v_cmp_eq_u32_e32 vcc, 0, v0
	s_and_saveexec_b64 s[38:39], vcc
	s_xor_b64 s[38:39], exec, s[38:39]
	s_cbranch_execz .LBB111_11
; %bb.36:                               ;   in Loop: Header=BB111_12 Depth=1
	global_load_dwordx2 v[2:3], v17, s[36:37] offset:8
	s_mov_b64 s[38:39], 0
.LBB111_37:                             ;   Parent Loop BB111_12 Depth=1
                                        ; =>  This Inner Loop Header: Depth=2
	s_waitcnt vmcnt(0)
	v_add_f64 v[0:1], v[2:3], v[4:5]
	global_atomic_cmpswap_x2 v[0:1], v17, v[0:3], s[36:37] offset:8 glc
	s_waitcnt vmcnt(0)
	v_cmp_eq_u64_e32 vcc, v[0:1], v[2:3]
	s_or_b64 s[38:39], vcc, s[38:39]
	v_pk_mov_b32 v[2:3], v[0:1], v[0:1] op_sel:[0,1]
	s_andn2_b64 exec, exec, s[38:39]
	s_cbranch_execnz .LBB111_37
; %bb.38:                               ;   in Loop: Header=BB111_12 Depth=1
	s_or_b64 exec, exec, s[38:39]
	s_branch .LBB111_11
.LBB111_39:
	s_ashr_i32 s5, s29, 31
	s_mov_b32 s4, s29
	s_lshl_b64 s[4:5], s[4:5], 2
	s_add_u32 s4, s16, s4
	s_addc_u32 s5, s17, s5
	s_load_dword s4, s[4:5], 0x0
	s_waitcnt lgkmcnt(0)
	v_add_u32_e32 v12, s25, v15
	s_sub_i32 s12, s4, s24
	v_cmp_gt_i32_e32 vcc, s12, v12
	s_and_b64 exec, exec, vcc
	s_cbranch_execz .LBB111_51
; %bb.40:
	s_add_i32 s13, s29, -1
	s_cmp_gt_i32 s13, s28
	s_cselect_b64 s[4:5], -1, 0
	s_add_i32 s6, s29, -2
	s_cmp_lg_u32 s6, s28
	s_cselect_b64 s[6:7], -1, 0
	s_and_b64 s[4:5], s[4:5], s[6:7]
	v_cndmask_b32_e64 v0, 0, 1, s[4:5]
	s_mov_b64 s[8:9], 0
	v_cmp_ne_u32_e64 s[4:5], 1, v0
	v_mov_b32_e32 v22, s17
	v_mov_b32_e32 v23, s19
	s_branch .LBB111_42
.LBB111_41:                             ;   in Loop: Header=BB111_42 Depth=1
	s_or_b64 exec, exec, s[6:7]
	v_add_u32_e32 v12, 0x100, v12
	v_cmp_le_i32_e32 vcc, s12, v12
	s_or_b64 s[8:9], vcc, s[8:9]
	s_andn2_b64 exec, exec, s[8:9]
	s_cbranch_execz .LBB111_51
.LBB111_42:                             ; =>This Loop Header: Depth=1
                                        ;     Child Loop BB111_44 Depth 2
                                        ;     Child Loop BB111_48 Depth 2
	;; [unrolled: 1-line block ×3, first 2 shown]
	s_and_b64 vcc, exec, s[4:5]
	v_mov_b32_e32 v2, s28
	v_mov_b32_e32 v0, s13
	s_cbranch_vccnz .LBB111_46
; %bb.43:                               ;   in Loop: Header=BB111_42 Depth=1
	s_mov_b64 s[10:11], 0
	v_mov_b32_e32 v2, s28
	v_mov_b32_e32 v0, s13
.LBB111_44:                             ;   Parent Loop BB111_42 Depth=1
                                        ; =>  This Inner Loop Header: Depth=2
	v_add_u32_e32 v1, v0, v2
	v_lshrrev_b32_e32 v4, 31, v1
	v_add_u32_e32 v1, v1, v4
	v_ashrrev_i32_e32 v4, 1, v1
	v_ashrrev_i32_e32 v5, 31, v4
	v_lshlrev_b64 v[6:7], 2, v[4:5]
	v_mov_b32_e32 v3, s17
	v_add_co_u32_e32 v6, vcc, s16, v6
	v_addc_co_u32_e32 v7, vcc, v3, v7, vcc
	global_load_dword v1, v[6:7], off
	s_waitcnt vmcnt(0)
	v_subrev_u32_e32 v1, s24, v1
	v_cmp_gt_i32_e32 vcc, v1, v12
	v_cndmask_b32_e32 v0, v0, v4, vcc
	v_cndmask_b32_e32 v2, v4, v2, vcc
	v_add_u32_e32 v1, -1, v0
	v_cmp_ge_i32_e32 vcc, v2, v0
	v_cmp_eq_u32_e64 s[6:7], v2, v1
	s_or_b64 s[6:7], vcc, s[6:7]
	s_and_b64 s[6:7], exec, s[6:7]
	s_or_b64 s[10:11], s[6:7], s[10:11]
	s_andn2_b64 exec, exec, s[10:11]
	s_cbranch_execnz .LBB111_44
; %bb.45:                               ;   in Loop: Header=BB111_42 Depth=1
	s_or_b64 exec, exec, s[10:11]
.LBB111_46:                             ;   in Loop: Header=BB111_42 Depth=1
	v_ashrrev_i32_e32 v1, 31, v0
	v_lshlrev_b64 v[4:5], 2, v[0:1]
	v_add_co_u32_e32 v4, vcc, s16, v4
	v_addc_co_u32_e32 v5, vcc, v22, v5, vcc
	v_ashrrev_i32_e32 v13, 31, v12
	global_load_dword v1, v[4:5], off
	v_lshlrev_b64 v[4:5], 2, v[12:13]
	v_add_co_u32_e32 v4, vcc, s18, v4
	v_addc_co_u32_e32 v5, vcc, v23, v5, vcc
	global_load_dword v3, v[4:5], off
	s_waitcnt vmcnt(1)
	v_subrev_u32_e32 v1, s24, v1
	v_cmp_gt_i32_e32 vcc, v1, v12
	v_cndmask_b32_e32 v0, v0, v2, vcc
	s_waitcnt vmcnt(0)
	v_subrev_u32_e32 v2, s24, v3
	v_cmp_ne_u32_e32 vcc, v2, v0
	s_and_saveexec_b64 s[6:7], vcc
	s_cbranch_execz .LBB111_41
; %bb.47:                               ;   in Loop: Header=BB111_42 Depth=1
	v_ashrrev_i32_e32 v3, 31, v2
	v_lshlrev_b64 v[4:5], 4, v[2:3]
	v_lshlrev_b64 v[2:3], 3, v[12:13]
	v_mov_b32_e32 v1, s21
	v_add_co_u32_e32 v2, vcc, s20, v2
	v_addc_co_u32_e32 v3, vcc, v1, v3, vcc
	global_load_dwordx2 v[16:17], v[2:3], off
	v_ashrrev_i32_e32 v1, 31, v0
	v_lshlrev_b64 v[0:1], 4, v[0:1]
	v_mov_b32_e32 v2, s23
	v_add_co_u32_e32 v0, vcc, s22, v0
	v_addc_co_u32_e32 v1, vcc, v2, v1, vcc
	v_mov_b32_e32 v6, s31
	global_load_dwordx4 v[0:3], v[0:1], off
	v_add_co_u32_e32 v14, vcc, s30, v4
	v_addc_co_u32_e32 v15, vcc, v6, v5, vcc
	global_load_dwordx2 v[6:7], v[14:15], off
	s_mov_b64 s[10:11], 0
	s_waitcnt vmcnt(2)
	v_cndmask_b32_e64 v13, v17, -v17, s[26:27]
	v_cvt_f64_f32_e32 v[18:19], v13
	v_cvt_f64_f32_e32 v[4:5], v16
	v_mul_f64 v[16:17], -v[10:11], v[18:19]
	v_mul_f64 v[18:19], v[8:9], v[18:19]
	v_fmac_f64_e32 v[18:19], v[10:11], v[4:5]
	v_fmac_f64_e32 v[16:17], v[8:9], v[4:5]
	s_waitcnt vmcnt(1)
	v_mul_f64 v[20:21], v[2:3], -v[18:19]
	v_fmac_f64_e32 v[20:21], v[16:17], v[0:1]
.LBB111_48:                             ;   Parent Loop BB111_42 Depth=1
                                        ; =>  This Inner Loop Header: Depth=2
	s_waitcnt vmcnt(0)
	v_add_f64 v[4:5], v[6:7], v[20:21]
	global_atomic_cmpswap_x2 v[4:5], v[14:15], v[4:7], off glc
	s_waitcnt vmcnt(0)
	v_cmp_eq_u64_e32 vcc, v[4:5], v[6:7]
	s_or_b64 s[10:11], vcc, s[10:11]
	v_pk_mov_b32 v[6:7], v[4:5], v[4:5] op_sel:[0,1]
	s_andn2_b64 exec, exec, s[10:11]
	s_cbranch_execnz .LBB111_48
; %bb.49:                               ;   in Loop: Header=BB111_42 Depth=1
	s_or_b64 exec, exec, s[10:11]
	global_load_dwordx2 v[4:5], v[14:15], off offset:8
	v_mul_f64 v[6:7], v[2:3], v[16:17]
	v_fmac_f64_e32 v[6:7], v[18:19], v[0:1]
	s_mov_b64 s[10:11], 0
.LBB111_50:                             ;   Parent Loop BB111_42 Depth=1
                                        ; =>  This Inner Loop Header: Depth=2
	s_waitcnt vmcnt(0)
	v_add_f64 v[2:3], v[4:5], v[6:7]
	global_atomic_cmpswap_x2 v[0:1], v[14:15], v[2:5], off offset:8 glc
	s_waitcnt vmcnt(0)
	v_cmp_eq_u64_e32 vcc, v[0:1], v[4:5]
	s_or_b64 s[10:11], vcc, s[10:11]
	v_pk_mov_b32 v[4:5], v[0:1], v[0:1] op_sel:[0,1]
	s_andn2_b64 exec, exec, s[10:11]
	s_cbranch_execnz .LBB111_50
	s_branch .LBB111_41
.LBB111_51:
	s_endpgm
	.section	.rodata,"a",@progbits
	.p2align	6, 0x0
	.amdhsa_kernel _ZL33csrmvn_symm_large_adaptive_kernelIii21rocsparse_complex_numIfES0_IdES2_S2_EvbT_PKS3_N9rocsparse24const_host_device_scalarIT4_EES5_PKT0_PKT1_PKT2_S9_PT3_21rocsparse_index_base_b
		.amdhsa_group_segment_fixed_size 16384
		.amdhsa_private_segment_fixed_size 24
		.amdhsa_kernarg_size 96
		.amdhsa_user_sgpr_count 8
		.amdhsa_user_sgpr_private_segment_buffer 1
		.amdhsa_user_sgpr_dispatch_ptr 0
		.amdhsa_user_sgpr_queue_ptr 0
		.amdhsa_user_sgpr_kernarg_segment_ptr 1
		.amdhsa_user_sgpr_dispatch_id 0
		.amdhsa_user_sgpr_flat_scratch_init 1
		.amdhsa_user_sgpr_kernarg_preload_length 0
		.amdhsa_user_sgpr_kernarg_preload_offset 0
		.amdhsa_user_sgpr_private_segment_size 0
		.amdhsa_uses_dynamic_stack 0
		.amdhsa_system_sgpr_private_segment_wavefront_offset 1
		.amdhsa_system_sgpr_workgroup_id_x 1
		.amdhsa_system_sgpr_workgroup_id_y 0
		.amdhsa_system_sgpr_workgroup_id_z 0
		.amdhsa_system_sgpr_workgroup_info 0
		.amdhsa_system_vgpr_workitem_id 0
		.amdhsa_next_free_vgpr 26
		.amdhsa_next_free_sgpr 48
		.amdhsa_accum_offset 28
		.amdhsa_reserve_vcc 1
		.amdhsa_reserve_flat_scratch 1
		.amdhsa_float_round_mode_32 0
		.amdhsa_float_round_mode_16_64 0
		.amdhsa_float_denorm_mode_32 3
		.amdhsa_float_denorm_mode_16_64 3
		.amdhsa_dx10_clamp 1
		.amdhsa_ieee_mode 1
		.amdhsa_fp16_overflow 0
		.amdhsa_tg_split 0
		.amdhsa_exception_fp_ieee_invalid_op 0
		.amdhsa_exception_fp_denorm_src 0
		.amdhsa_exception_fp_ieee_div_zero 0
		.amdhsa_exception_fp_ieee_overflow 0
		.amdhsa_exception_fp_ieee_underflow 0
		.amdhsa_exception_fp_ieee_inexact 0
		.amdhsa_exception_int_div_zero 0
	.end_amdhsa_kernel
	.section	.text._ZL33csrmvn_symm_large_adaptive_kernelIii21rocsparse_complex_numIfES0_IdES2_S2_EvbT_PKS3_N9rocsparse24const_host_device_scalarIT4_EES5_PKT0_PKT1_PKT2_S9_PT3_21rocsparse_index_base_b,"axG",@progbits,_ZL33csrmvn_symm_large_adaptive_kernelIii21rocsparse_complex_numIfES0_IdES2_S2_EvbT_PKS3_N9rocsparse24const_host_device_scalarIT4_EES5_PKT0_PKT1_PKT2_S9_PT3_21rocsparse_index_base_b,comdat
.Lfunc_end111:
	.size	_ZL33csrmvn_symm_large_adaptive_kernelIii21rocsparse_complex_numIfES0_IdES2_S2_EvbT_PKS3_N9rocsparse24const_host_device_scalarIT4_EES5_PKT0_PKT1_PKT2_S9_PT3_21rocsparse_index_base_b, .Lfunc_end111-_ZL33csrmvn_symm_large_adaptive_kernelIii21rocsparse_complex_numIfES0_IdES2_S2_EvbT_PKS3_N9rocsparse24const_host_device_scalarIT4_EES5_PKT0_PKT1_PKT2_S9_PT3_21rocsparse_index_base_b
                                        ; -- End function
	.section	.AMDGPU.csdata,"",@progbits
; Kernel info:
; codeLenInByte = 2556
; NumSgprs: 54
; NumVgprs: 26
; NumAgprs: 0
; TotalNumVgprs: 26
; ScratchSize: 24
; MemoryBound: 0
; FloatMode: 240
; IeeeMode: 1
; LDSByteSize: 16384 bytes/workgroup (compile time only)
; SGPRBlocks: 6
; VGPRBlocks: 3
; NumSGPRsForWavesPerEU: 54
; NumVGPRsForWavesPerEU: 26
; AccumOffset: 28
; Occupancy: 4
; WaveLimiterHint : 1
; COMPUTE_PGM_RSRC2:SCRATCH_EN: 1
; COMPUTE_PGM_RSRC2:USER_SGPR: 8
; COMPUTE_PGM_RSRC2:TRAP_HANDLER: 0
; COMPUTE_PGM_RSRC2:TGID_X_EN: 1
; COMPUTE_PGM_RSRC2:TGID_Y_EN: 0
; COMPUTE_PGM_RSRC2:TGID_Z_EN: 0
; COMPUTE_PGM_RSRC2:TIDIG_COMP_CNT: 0
; COMPUTE_PGM_RSRC3_GFX90A:ACCUM_OFFSET: 6
; COMPUTE_PGM_RSRC3_GFX90A:TG_SPLIT: 0
	.section	.text._ZN9rocsparseL22csrmvn_adaptive_kernelIli21rocsparse_complex_numIfES1_IdES3_S3_EEvbT_PKS4_PjPKT0_NS_24const_host_device_scalarIT4_EES6_SA_PKT1_PKT2_SD_PT3_21rocsparse_index_base_b,"axG",@progbits,_ZN9rocsparseL22csrmvn_adaptive_kernelIli21rocsparse_complex_numIfES1_IdES3_S3_EEvbT_PKS4_PjPKT0_NS_24const_host_device_scalarIT4_EES6_SA_PKT1_PKT2_SD_PT3_21rocsparse_index_base_b,comdat
	.globl	_ZN9rocsparseL22csrmvn_adaptive_kernelIli21rocsparse_complex_numIfES1_IdES3_S3_EEvbT_PKS4_PjPKT0_NS_24const_host_device_scalarIT4_EES6_SA_PKT1_PKT2_SD_PT3_21rocsparse_index_base_b ; -- Begin function _ZN9rocsparseL22csrmvn_adaptive_kernelIli21rocsparse_complex_numIfES1_IdES3_S3_EEvbT_PKS4_PjPKT0_NS_24const_host_device_scalarIT4_EES6_SA_PKT1_PKT2_SD_PT3_21rocsparse_index_base_b
	.p2align	8
	.type	_ZN9rocsparseL22csrmvn_adaptive_kernelIli21rocsparse_complex_numIfES1_IdES3_S3_EEvbT_PKS4_PjPKT0_NS_24const_host_device_scalarIT4_EES6_SA_PKT1_PKT2_SD_PT3_21rocsparse_index_base_b,@function
_ZN9rocsparseL22csrmvn_adaptive_kernelIli21rocsparse_complex_numIfES1_IdES3_S3_EEvbT_PKS4_PjPKT0_NS_24const_host_device_scalarIT4_EES6_SA_PKT1_PKT2_SD_PT3_21rocsparse_index_base_b: ; @_ZN9rocsparseL22csrmvn_adaptive_kernelIli21rocsparse_complex_numIfES1_IdES3_S3_EEvbT_PKS4_PjPKT0_NS_24const_host_device_scalarIT4_EES6_SA_PKT1_PKT2_SD_PT3_21rocsparse_index_base_b
; %bb.0:
	s_add_u32 flat_scratch_lo, s6, s9
	s_load_dwordx2 s[46:47], s[4:5], 0x70
	s_load_dwordx4 s[16:19], s[4:5], 0x28
	s_addc_u32 flat_scratch_hi, s7, 0
	s_add_u32 s0, s0, s9
	s_load_dwordx4 s[12:15], s[4:5], 0x58
	s_addc_u32 s1, s1, 0
	s_waitcnt lgkmcnt(0)
	s_bitcmp1_b32 s47, 0
	v_mov_b32_e32 v1, 0
	v_mov_b32_e32 v3, s16
	s_cselect_b64 s[6:7], -1, 0
	v_cndmask_b32_e64 v2, v3, v1, s[6:7]
	v_mov_b32_e32 v1, s17
	s_mov_b64 s[10:11], src_private_base
	s_and_b64 vcc, s[6:7], exec
	buffer_store_dword v1, off, s[0:3], 0 offset:4
	buffer_store_dword v3, off, s[0:3], 0
	v_mov_b32_e32 v1, s13
	s_cselect_b32 s9, s11, s17
	buffer_store_dword v1, off, s[0:3], 0 offset:12
	v_mov_b32_e32 v1, s12
	buffer_store_dword v1, off, s[0:3], 0 offset:8
	v_mov_b32_e32 v3, s9
	flat_load_dwordx2 v[14:15], v[2:3]
	s_xor_b64 s[20:21], s[6:7], -1
	v_pk_mov_b32 v[16:17], s[18:19], s[18:19] op_sel:[0,1]
	s_cbranch_vccnz .LBB112_2
; %bb.1:
	v_pk_mov_b32 v[2:3], s[16:17], s[16:17] op_sel:[0,1]
	flat_load_dwordx2 v[16:17], v[2:3] offset:8
.LBB112_2:
	s_and_b64 s[16:17], s[6:7], exec
	s_cselect_b32 s9, s11, s13
	v_mov_b32_e32 v1, 8
	v_mov_b32_e32 v2, s12
	v_cndmask_b32_e64 v2, v2, v1, s[6:7]
	v_mov_b32_e32 v3, s9
	flat_load_dwordx2 v[10:11], v[2:3]
	s_andn2_b64 vcc, exec, s[20:21]
	v_pk_mov_b32 v[12:13], s[14:15], s[14:15] op_sel:[0,1]
	s_cbranch_vccnz .LBB112_4
; %bb.3:
	v_pk_mov_b32 v[2:3], s[12:13], s[12:13] op_sel:[0,1]
	flat_load_dwordx2 v[12:13], v[2:3] offset:8
.LBB112_4:
	s_waitcnt vmcnt(0) lgkmcnt(0)
	v_cmp_eq_f64_e32 vcc, 0, v[14:15]
	v_cmp_eq_f64_e64 s[6:7], 0, v[16:17]
	s_and_b64 s[12:13], vcc, s[6:7]
	s_mov_b64 s[6:7], -1
	s_and_saveexec_b64 s[10:11], s[12:13]
; %bb.5:
	v_cmp_neq_f64_e32 vcc, 1.0, v[10:11]
	v_cmp_neq_f64_e64 s[6:7], 0, v[12:13]
	s_or_b64 s[6:7], vcc, s[6:7]
	s_orn2_b64 s[6:7], s[6:7], exec
; %bb.6:
	s_or_b64 exec, exec, s[10:11]
	s_and_saveexec_b64 s[10:11], s[6:7]
	s_cbranch_execz .LBB112_121
; %bb.7:
	s_load_dwordx2 s[6:7], s[4:5], 0x20
	s_load_dword s9, s[4:5], 0x0
	s_load_dwordx2 s[10:11], s[4:5], 0x10
	s_waitcnt lgkmcnt(0)
	s_bitcmp1_b32 s9, 0
	s_cselect_b64 s[48:49], -1, 0
	s_ashr_i32 s9, s8, 31
	s_lshl_b64 s[12:13], s[8:9], 3
	s_add_u32 s10, s10, s12
	s_addc_u32 s11, s11, s13
	s_load_dwordx4 s[28:31], s[10:11], 0x0
	s_load_dwordx2 s[26:27], s[4:5], 0x68
	s_load_dwordx8 s[36:43], s[4:5], 0x38
	s_lshl_b64 s[50:51], s[8:9], 2
	s_waitcnt lgkmcnt(0)
	s_sub_i32 s9, s30, s28
	s_add_u32 s6, s6, s50
	s_addc_u32 s7, s7, s51
	s_lshl_b64 s[10:11], s[28:29], 3
	s_add_u32 s44, s36, s10
	s_addc_u32 s45, s37, s11
	s_load_dword s33, s[6:7], 0x0
	s_load_dwordx2 s[34:35], s[44:45], 0x0
	s_cmp_lt_i32 s9, 2
	s_mov_b64 s[6:7], -1
	s_cbranch_scc0 .LBB112_77
; %bb.8:
	s_cmp_lg_u32 s9, 1
	s_cselect_b64 s[6:7], -1, 0
	s_waitcnt lgkmcnt(0)
	s_cmp_lg_u32 s33, 0
	s_cselect_b64 s[10:11], -1, 0
	s_or_b64 s[10:11], s[6:7], s[10:11]
	s_mov_b64 s[6:7], -1
	s_and_b64 vcc, exec, s[10:11]
	s_cbranch_vccnz .LBB112_37
; %bb.9:
	v_pk_mov_b32 v[2:3], s[28:29], s[28:29] op_sel:[0,1]
	v_cmp_le_i64_e32 vcc, s[30:31], v[2:3]
	s_cbranch_vccnz .LBB112_36
; %bb.10:
	v_subrev_co_u32_e32 v1, vcc, s46, v0
	v_subb_co_u32_e64 v20, s[6:7], 0, 0, vcc
	v_cmp_neq_f64_e32 vcc, 0, v[10:11]
	v_cmp_neq_f64_e64 s[24:25], 0, v[12:13]
	s_or_b64 s[52:53], vcc, s[24:25]
	s_add_u32 s9, s36, 8
	s_addc_u32 s47, s37, 0
	s_movk_i32 s6, 0x80
	s_add_u32 s64, s40, 4
	v_lshlrev_b32_e32 v21, 4, v0
	v_cmp_gt_u32_e64 s[6:7], s6, v0
	v_cmp_gt_u32_e64 s[10:11], 64, v0
	;; [unrolled: 1-line block ×7, first 2 shown]
	v_cmp_eq_u32_e64 s[22:23], 0, v0
	s_addc_u32 s65, s41, 0
	v_mov_b32_e32 v22, s43
	s_movk_i32 s66, 0x100
	v_mov_b32_e32 v23, 0
	s_mov_b64 s[56:57], s[34:35]
	s_mov_b64 s[54:55], s[28:29]
	s_branch .LBB112_13
.LBB112_11:                             ;   in Loop: Header=BB112_13 Depth=1
	s_or_b64 exec, exec, s[58:59]
	s_lshl_b64 s[58:59], s[54:55], 4
	s_add_u32 s58, s26, s58
	s_addc_u32 s59, s27, s59
	s_waitcnt lgkmcnt(0)
	global_store_dwordx4 v23, v[2:5], s[58:59]
.LBB112_12:                             ;   in Loop: Header=BB112_13 Depth=1
	s_or_b64 exec, exec, s[24:25]
	s_add_u32 s54, s54, 1
	s_addc_u32 s55, s55, 0
	v_pk_mov_b32 v[2:3], s[30:31], s[30:31] op_sel:[0,1]
	v_cmp_ge_i64_e32 vcc, s[54:55], v[2:3]
	s_cbranch_vccnz .LBB112_36
.LBB112_13:                             ; =>This Loop Header: Depth=1
                                        ;     Child Loop BB112_15 Depth 2
	s_mov_b64 s[24:25], s[56:57]
	s_lshl_b64 s[56:57], s[54:55], 3
	s_add_u32 s56, s9, s56
	s_addc_u32 s57, s47, s57
	s_load_dwordx2 s[56:57], s[56:57], 0x0
	v_mov_b32_e32 v2, s25
	v_add_co_u32_e32 v6, vcc, s24, v1
	v_addc_co_u32_e32 v7, vcc, v2, v20, vcc
	s_waitcnt lgkmcnt(0)
	s_sub_u32 s58, s56, s46
	s_subb_u32 s59, s57, 0
	v_pk_mov_b32 v[4:5], 0, 0
	v_cmp_gt_i64_e32 vcc, s[58:59], v[6:7]
	v_pk_mov_b32 v[2:3], v[4:5], v[4:5] op_sel:[0,1]
	s_and_saveexec_b64 s[60:61], vcc
	s_cbranch_execz .LBB112_17
; %bb.14:                               ;   in Loop: Header=BB112_13 Depth=1
	v_lshlrev_b64 v[2:3], 3, v[6:7]
	v_mov_b32_e32 v4, s65
	v_add_co_u32_e32 v8, vcc, s64, v2
	v_addc_co_u32_e32 v9, vcc, v4, v3, vcc
	v_lshlrev_b64 v[2:3], 2, v[6:7]
	v_mov_b32_e32 v4, s39
	v_add_co_u32_e32 v18, vcc, s38, v2
	v_addc_co_u32_e32 v19, vcc, v4, v3, vcc
	v_pk_mov_b32 v[4:5], 0, 0
	s_mov_b64 s[62:63], 0
	v_pk_mov_b32 v[2:3], v[4:5], v[4:5] op_sel:[0,1]
.LBB112_15:                             ;   Parent Loop BB112_13 Depth=1
                                        ; =>  This Inner Loop Header: Depth=2
	global_load_dword v24, v[18:19], off
	global_load_dwordx2 v[28:29], v[8:9], off offset:-4
	s_waitcnt vmcnt(1)
	v_subrev_u32_e32 v24, s46, v24
	v_ashrrev_i32_e32 v25, 31, v24
	v_lshlrev_b64 v[24:25], 4, v[24:25]
	v_add_co_u32_e32 v24, vcc, s42, v24
	v_addc_co_u32_e32 v25, vcc, v22, v25, vcc
	global_load_dwordx4 v[24:27], v[24:25], off
	v_add_co_u32_e32 v6, vcc, s66, v6
	s_waitcnt vmcnt(1)
	v_cndmask_b32_e64 v30, v29, -v29, s[48:49]
	v_addc_co_u32_e32 v7, vcc, 0, v7, vcc
	v_cvt_f64_f32_e32 v[30:31], v30
	v_add_co_u32_e32 v8, vcc, 0x800, v8
	v_cvt_f64_f32_e32 v[28:29], v28
	v_mul_f64 v[32:33], -v[16:17], v[30:31]
	v_mul_f64 v[30:31], v[14:15], v[30:31]
	v_addc_co_u32_e32 v9, vcc, 0, v9, vcc
	v_fmac_f64_e32 v[32:33], v[14:15], v[28:29]
	v_fmac_f64_e32 v[30:31], v[16:17], v[28:29]
	v_add_co_u32_e32 v18, vcc, 0x400, v18
	v_cmp_le_i64_e64 s[24:25], s[58:59], v[6:7]
	v_addc_co_u32_e32 v19, vcc, 0, v19, vcc
	s_or_b64 s[62:63], s[24:25], s[62:63]
	s_waitcnt vmcnt(0)
	v_fmac_f64_e32 v[2:3], v[32:33], v[24:25]
	v_fmac_f64_e32 v[4:5], v[30:31], v[24:25]
	v_fma_f64 v[2:3], -v[30:31], v[26:27], v[2:3]
	v_fmac_f64_e32 v[4:5], v[32:33], v[26:27]
	s_andn2_b64 exec, exec, s[62:63]
	s_cbranch_execnz .LBB112_15
; %bb.16:                               ;   in Loop: Header=BB112_13 Depth=1
	s_or_b64 exec, exec, s[62:63]
.LBB112_17:                             ;   in Loop: Header=BB112_13 Depth=1
	s_or_b64 exec, exec, s[60:61]
	ds_write_b128 v21, v[2:5]
	s_waitcnt lgkmcnt(0)
	s_barrier
	s_and_saveexec_b64 s[24:25], s[6:7]
	s_cbranch_execz .LBB112_19
; %bb.18:                               ;   in Loop: Header=BB112_13 Depth=1
	ds_read_b128 v[2:5], v21 offset:2048
	ds_read_b128 v[6:9], v21
	s_waitcnt lgkmcnt(0)
	v_add_f64 v[2:3], v[2:3], v[6:7]
	v_add_f64 v[4:5], v[4:5], v[8:9]
	ds_write_b128 v21, v[2:5]
.LBB112_19:                             ;   in Loop: Header=BB112_13 Depth=1
	s_or_b64 exec, exec, s[24:25]
	s_waitcnt lgkmcnt(0)
	s_barrier
	s_and_saveexec_b64 s[24:25], s[10:11]
	s_cbranch_execz .LBB112_21
; %bb.20:                               ;   in Loop: Header=BB112_13 Depth=1
	ds_read_b128 v[2:5], v21 offset:1024
	ds_read_b128 v[6:9], v21
	s_waitcnt lgkmcnt(0)
	v_add_f64 v[2:3], v[2:3], v[6:7]
	v_add_f64 v[4:5], v[4:5], v[8:9]
	ds_write_b128 v21, v[2:5]
.LBB112_21:                             ;   in Loop: Header=BB112_13 Depth=1
	s_or_b64 exec, exec, s[24:25]
	;; [unrolled: 13-line block ×6, first 2 shown]
	s_waitcnt lgkmcnt(0)
	s_barrier
	s_and_saveexec_b64 s[24:25], s[20:21]
	s_cbranch_execz .LBB112_31
; %bb.30:                               ;   in Loop: Header=BB112_13 Depth=1
	ds_read_b128 v[2:5], v21
	ds_read_b128 v[6:9], v21 offset:32
	s_waitcnt lgkmcnt(0)
	v_add_f64 v[2:3], v[6:7], v[2:3]
	v_add_f64 v[4:5], v[8:9], v[4:5]
	ds_write_b128 v21, v[2:5]
.LBB112_31:                             ;   in Loop: Header=BB112_13 Depth=1
	s_or_b64 exec, exec, s[24:25]
	s_waitcnt lgkmcnt(0)
	s_barrier
	s_and_saveexec_b64 s[24:25], s[22:23]
	s_cbranch_execz .LBB112_33
; %bb.32:                               ;   in Loop: Header=BB112_13 Depth=1
	ds_read_b128 v[2:5], v23
	ds_read_b128 v[6:9], v23 offset:16
	s_waitcnt lgkmcnt(0)
	v_add_f64 v[2:3], v[6:7], v[2:3]
	v_add_f64 v[4:5], v[8:9], v[4:5]
	ds_write_b128 v23, v[2:5]
.LBB112_33:                             ;   in Loop: Header=BB112_13 Depth=1
	s_or_b64 exec, exec, s[24:25]
	s_waitcnt lgkmcnt(0)
	s_barrier
	s_and_saveexec_b64 s[24:25], s[22:23]
	s_cbranch_execz .LBB112_12
; %bb.34:                               ;   in Loop: Header=BB112_13 Depth=1
	ds_read_b128 v[2:5], v23
	s_and_saveexec_b64 s[58:59], s[52:53]
	s_cbranch_execz .LBB112_11
; %bb.35:                               ;   in Loop: Header=BB112_13 Depth=1
	s_lshl_b64 s[60:61], s[54:55], 4
	s_add_u32 s60, s26, s60
	s_addc_u32 s61, s27, s61
	global_load_dwordx4 v[6:9], v23, s[60:61]
	s_waitcnt vmcnt(0) lgkmcnt(0)
	v_fmac_f64_e32 v[2:3], v[10:11], v[6:7]
	v_fmac_f64_e32 v[4:5], v[12:13], v[6:7]
	v_fma_f64 v[2:3], -v[12:13], v[8:9], v[2:3]
	v_fmac_f64_e32 v[4:5], v[10:11], v[8:9]
	s_branch .LBB112_11
.LBB112_36:
	s_mov_b64 s[6:7], 0
.LBB112_37:
	s_andn2_b64 vcc, exec, s[6:7]
	s_cbranch_vccnz .LBB112_76
; %bb.38:
	s_load_dwordx2 s[10:11], s[4:5], 0x18
	s_sub_i32 s12, s8, s33
	v_or_b32_e32 v1, s33, v0
	v_pk_mov_b32 v[2:3], 0, 0
	v_cmp_eq_u32_e32 vcc, 0, v1
	s_waitcnt lgkmcnt(0)
	s_add_u32 s8, s10, s50
	s_addc_u32 s9, s11, s51
	s_load_dword s20, s[8:9], 0x0
	v_pk_mov_b32 v[4:5], v[2:3], v[2:3] op_sel:[0,1]
	s_and_saveexec_b64 s[6:7], vcc
	s_cbranch_execz .LBB112_42
; %bb.39:
	s_lshl_b64 s[16:17], s[28:29], 4
	s_add_u32 s16, s26, s16
	s_addc_u32 s17, s27, s17
	v_mov_b32_e32 v1, 0
	global_load_dwordx4 v[6:9], v1, s[16:17]
	s_mov_b64 s[14:15], exec
	v_mbcnt_lo_u32_b32 v2, s14, 0
	v_add_f64 v[18:19], v[10:11], -1.0
	v_mbcnt_hi_u32_b32 v20, s15, v2
	v_cmp_eq_u32_e32 vcc, 0, v20
	s_waitcnt vmcnt(0) expcnt(0) lgkmcnt(0)
	v_mul_f64 v[2:3], v[8:9], -v[12:13]
	v_mul_f64 v[4:5], v[18:19], v[8:9]
	s_and_saveexec_b64 s[16:17], vcc
	s_cbranch_execz .LBB112_41
; %bb.40:
	s_ashr_i32 s13, s12, 31
	s_lshl_b64 s[18:19], s[12:13], 2
	s_add_u32 s18, s10, s18
	s_addc_u32 s19, s11, s19
	s_bcnt1_i32_b64 s13, s[14:15]
	s_and_b32 s13, s13, 1
	v_mov_b32_e32 v8, s13
	global_atomic_xor v1, v8, s[18:19]
.LBB112_41:
	s_or_b64 exec, exec, s[16:17]
	v_fmac_f64_e32 v[2:3], v[18:19], v[6:7]
	v_fmac_f64_e32 v[4:5], v[12:13], v[6:7]
.LBB112_42:
	s_or_b64 exec, exec, s[6:7]
	s_load_dwordx2 s[6:7], s[44:45], 0x8
	s_sub_u32 s15, s34, s46
	s_mul_i32 s13, s33, 0xc00
	s_subb_u32 s16, s35, 0
	s_mul_hi_i32 s14, s33, 0xc00
	s_add_u32 s13, s15, s13
	s_addc_u32 s16, s16, s14
	s_waitcnt lgkmcnt(0)
	s_sub_u32 s6, s6, s46
	v_mov_b32_e32 v1, s16
	v_add_co_u32_e32 v6, vcc, s13, v0
	s_subb_u32 s7, s7, 0
	v_addc_co_u32_e32 v7, vcc, 0, v1, vcc
	v_cmp_gt_i64_e32 vcc, s[6:7], v[6:7]
	s_and_saveexec_b64 s[14:15], vcc
	s_cbranch_execz .LBB112_46
; %bb.43:
	s_add_u32 s18, s13, 0xc00
	s_addc_u32 s19, s16, 0
	v_pk_mov_b32 v[8:9], s[6:7], s[6:7] op_sel:[0,1]
	v_cmp_lt_i64_e32 vcc, s[18:19], v[8:9]
	v_lshlrev_b64 v[8:9], 3, v[6:7]
	s_and_b64 s[16:17], vcc, exec
	v_mov_b32_e32 v1, s41
	v_add_co_u32_e32 v8, vcc, s40, v8
	v_addc_co_u32_e32 v1, vcc, v9, v1, vcc
	v_add_co_u32_e32 v8, vcc, 4, v8
	v_addc_co_u32_e32 v9, vcc, 0, v1, vcc
	v_lshlrev_b64 v[18:19], 2, v[6:7]
	v_mov_b32_e32 v1, s39
	v_add_co_u32_e32 v18, vcc, s38, v18
	s_cselect_b32 s17, s19, s7
	s_cselect_b32 s16, s18, s6
	v_addc_co_u32_e32 v19, vcc, v1, v19, vcc
	s_mov_b64 s[18:19], 0
	v_mov_b32_e32 v1, s43
	s_movk_i32 s13, 0x100
.LBB112_44:                             ; =>This Inner Loop Header: Depth=1
	global_load_dword v20, v[18:19], off
	global_load_dwordx2 v[24:25], v[8:9], off offset:-4
	s_waitcnt vmcnt(1)
	v_subrev_u32_e32 v20, s46, v20
	v_ashrrev_i32_e32 v21, 31, v20
	v_lshlrev_b64 v[20:21], 4, v[20:21]
	v_add_co_u32_e32 v20, vcc, s42, v20
	v_addc_co_u32_e32 v21, vcc, v1, v21, vcc
	global_load_dwordx4 v[20:23], v[20:21], off
	v_add_co_u32_e32 v6, vcc, s13, v6
	s_waitcnt vmcnt(1)
	v_cndmask_b32_e64 v26, v25, -v25, s[48:49]
	v_addc_co_u32_e32 v7, vcc, 0, v7, vcc
	v_cvt_f64_f32_e32 v[26:27], v26
	v_add_co_u32_e32 v8, vcc, 0x800, v8
	v_cvt_f64_f32_e32 v[24:25], v24
	v_mul_f64 v[28:29], -v[16:17], v[26:27]
	v_mul_f64 v[26:27], v[14:15], v[26:27]
	v_addc_co_u32_e32 v9, vcc, 0, v9, vcc
	v_fmac_f64_e32 v[28:29], v[14:15], v[24:25]
	v_fmac_f64_e32 v[26:27], v[16:17], v[24:25]
	v_add_co_u32_e32 v18, vcc, 0x400, v18
	v_cmp_le_i64_e64 s[6:7], s[16:17], v[6:7]
	v_addc_co_u32_e32 v19, vcc, 0, v19, vcc
	s_or_b64 s[18:19], s[6:7], s[18:19]
	s_waitcnt vmcnt(0)
	v_fmac_f64_e32 v[2:3], v[28:29], v[20:21]
	v_fmac_f64_e32 v[4:5], v[26:27], v[20:21]
	v_fma_f64 v[2:3], -v[26:27], v[22:23], v[2:3]
	v_fmac_f64_e32 v[4:5], v[28:29], v[22:23]
	s_andn2_b64 exec, exec, s[18:19]
	s_cbranch_execnz .LBB112_44
; %bb.45:
	s_or_b64 exec, exec, s[18:19]
.LBB112_46:
	s_or_b64 exec, exec, s[14:15]
	s_movk_i32 s6, 0x80
	v_lshlrev_b32_e32 v1, 4, v0
	v_cmp_gt_u32_e32 vcc, s6, v0
	ds_write_b128 v1, v[2:5]
	s_waitcnt lgkmcnt(0)
	s_barrier
	s_and_saveexec_b64 s[6:7], vcc
	s_cbranch_execz .LBB112_48
; %bb.47:
	ds_read_b128 v[2:5], v1 offset:2048
	ds_read_b128 v[6:9], v1
	s_waitcnt lgkmcnt(0)
	v_add_f64 v[2:3], v[2:3], v[6:7]
	v_add_f64 v[4:5], v[4:5], v[8:9]
	ds_write_b128 v1, v[2:5]
.LBB112_48:
	s_or_b64 exec, exec, s[6:7]
	v_cmp_gt_u32_e32 vcc, 64, v0
	s_waitcnt lgkmcnt(0)
	s_barrier
	s_and_saveexec_b64 s[6:7], vcc
	s_cbranch_execz .LBB112_50
; %bb.49:
	ds_read_b128 v[2:5], v1 offset:1024
	ds_read_b128 v[6:9], v1
	s_waitcnt lgkmcnt(0)
	v_add_f64 v[2:3], v[2:3], v[6:7]
	v_add_f64 v[4:5], v[4:5], v[8:9]
	ds_write_b128 v1, v[2:5]
.LBB112_50:
	s_or_b64 exec, exec, s[6:7]
	v_cmp_gt_u32_e32 vcc, 32, v0
	;; [unrolled: 14-line block ×6, first 2 shown]
	s_waitcnt lgkmcnt(0)
	s_barrier
	s_and_saveexec_b64 s[6:7], vcc
	s_cbranch_execz .LBB112_60
; %bb.59:
	ds_read_b128 v[2:5], v1
	ds_read_b128 v[6:9], v1 offset:32
	s_waitcnt lgkmcnt(0)
	v_add_f64 v[2:3], v[6:7], v[2:3]
	v_add_f64 v[4:5], v[8:9], v[4:5]
	ds_write_b128 v1, v[2:5]
.LBB112_60:
	s_or_b64 exec, exec, s[6:7]
	v_cmp_eq_u32_e32 vcc, 0, v0
	s_waitcnt lgkmcnt(0)
	s_barrier
	s_and_saveexec_b64 s[6:7], vcc
	s_cbranch_execz .LBB112_62
; %bb.61:
	v_mov_b32_e32 v1, 0
	ds_read_b128 v[2:5], v1
	ds_read_b128 v[6:9], v1 offset:16
	s_waitcnt lgkmcnt(0)
	v_add_f64 v[2:3], v[6:7], v[2:3]
	v_add_f64 v[4:5], v[8:9], v[4:5]
	ds_write_b128 v1, v[2:5]
.LBB112_62:
	s_or_b64 exec, exec, s[6:7]
	s_waitcnt lgkmcnt(0)
	s_barrier
	s_and_saveexec_b64 s[6:7], vcc
	s_cbranch_execz .LBB112_75
; %bb.63:
	s_cmp_eq_u32 s33, 0
	s_cbranch_scc1 .LBB112_69
; %bb.64:
	s_ashr_i32 s13, s12, 31
	s_lshl_b64 s[12:13], s[12:13], 2
	s_add_u32 s10, s10, s12
	s_addc_u32 s11, s11, s13
	v_mov_b32_e32 v1, 0
	s_branch .LBB112_66
.LBB112_65:                             ;   in Loop: Header=BB112_66 Depth=1
	s_or_b64 exec, exec, s[12:13]
	s_waitcnt vmcnt(0)
	v_readfirstlane_b32 s12, v2
	s_cmp_eq_u32 s12, s20
	s_cbranch_scc0 .LBB112_68
.LBB112_66:                             ; =>This Inner Loop Header: Depth=1
	v_mbcnt_lo_u32_b32 v2, exec_lo, 0
	v_mbcnt_hi_u32_b32 v2, exec_hi, v2
	v_cmp_eq_u32_e32 vcc, 0, v2
                                        ; implicit-def: $vgpr2
	s_and_saveexec_b64 s[12:13], vcc
	s_cbranch_execz .LBB112_65
; %bb.67:                               ;   in Loop: Header=BB112_66 Depth=1
	global_load_dword v2, v1, s[10:11] glc
	s_branch .LBB112_65
.LBB112_68:
	v_mov_b32_e32 v1, 0
	global_load_dword v2, v1, s[8:9]
	s_waitcnt vmcnt(0)
	v_xor_b32_e32 v2, 1, v2
	global_store_dword v1, v2, s[8:9]
.LBB112_69:
	v_mov_b32_e32 v1, 0
	ds_read_b128 v[2:5], v1
	s_mov_b64 s[12:13], exec
	s_lshl_b64 s[8:9], s[28:29], 4
	v_mbcnt_lo_u32_b32 v6, s12, 0
	s_add_u32 s8, s26, s8
	v_mbcnt_hi_u32_b32 v6, s13, v6
	s_addc_u32 s9, s27, s9
	v_cmp_eq_u32_e32 vcc, 0, v6
	s_and_saveexec_b64 s[10:11], vcc
	s_cbranch_execz .LBB112_72
; %bb.70:
	global_load_dwordx2 v[8:9], v1, s[8:9]
	s_bcnt1_i32_b64 s12, s[12:13]
	v_cvt_f64_u32_e32 v[6:7], s12
	s_waitcnt lgkmcnt(0)
	v_mul_f64 v[2:3], v[2:3], v[6:7]
	s_mov_b64 s[12:13], 0
.LBB112_71:                             ; =>This Inner Loop Header: Depth=1
	s_waitcnt vmcnt(0)
	v_add_f64 v[6:7], v[8:9], v[2:3]
	global_atomic_cmpswap_x2 v[6:7], v1, v[6:9], s[8:9] glc
	s_waitcnt vmcnt(0)
	v_cmp_eq_u64_e32 vcc, v[6:7], v[8:9]
	s_or_b64 s[12:13], vcc, s[12:13]
	v_pk_mov_b32 v[8:9], v[6:7], v[6:7] op_sel:[0,1]
	s_andn2_b64 exec, exec, s[12:13]
	s_cbranch_execnz .LBB112_71
.LBB112_72:
	s_or_b64 exec, exec, s[10:11]
	s_mov_b64 s[10:11], exec
	v_mbcnt_lo_u32_b32 v1, s10, 0
	v_mbcnt_hi_u32_b32 v1, s11, v1
	v_cmp_eq_u32_e32 vcc, 0, v1
	s_and_b64 s[12:13], exec, vcc
	s_mov_b64 exec, s[12:13]
	s_cbranch_execz .LBB112_75
; %bb.73:
	v_mov_b32_e32 v1, 0
	global_load_dwordx2 v[6:7], v1, s[8:9] offset:8
	s_bcnt1_i32_b64 s10, s[10:11]
	s_waitcnt lgkmcnt(0)
	v_cvt_f64_u32_e32 v[2:3], s10
	v_mul_f64 v[2:3], v[4:5], v[2:3]
	s_mov_b64 s[10:11], 0
.LBB112_74:                             ; =>This Inner Loop Header: Depth=1
	s_waitcnt vmcnt(0)
	v_add_f64 v[4:5], v[6:7], v[2:3]
	global_atomic_cmpswap_x2 v[4:5], v1, v[4:7], s[8:9] offset:8 glc
	s_waitcnt vmcnt(0)
	v_cmp_eq_u64_e32 vcc, v[4:5], v[6:7]
	s_or_b64 s[10:11], vcc, s[10:11]
	v_pk_mov_b32 v[6:7], v[4:5], v[4:5] op_sel:[0,1]
	s_andn2_b64 exec, exec, s[10:11]
	s_cbranch_execnz .LBB112_74
.LBB112_75:
	s_or_b64 exec, exec, s[6:7]
.LBB112_76:
	s_mov_b64 s[6:7], 0
.LBB112_77:
	s_andn2_b64 vcc, exec, s[6:7]
	s_cbranch_vccnz .LBB112_121
; %bb.78:
	s_load_dwordx2 s[4:5], s[4:5], 0x8
	v_subrev_co_u32_e32 v1, vcc, s46, v0
	s_waitcnt lgkmcnt(0)
	v_subb_co_u32_e64 v3, s[6:7], 0, 0, vcc
	v_mov_b32_e32 v4, s35
	v_add_co_u32_e32 v2, vcc, s34, v1
	v_addc_co_u32_e32 v3, vcc, v4, v3, vcc
	v_add_co_u32_e32 v4, vcc, 0x300, v2
	v_addc_co_u32_e32 v5, vcc, 0, v3, vcc
	v_cmp_le_i64_e32 vcc, s[4:5], v[4:5]
	s_and_saveexec_b64 s[4:5], vcc
	s_xor_b64 s[6:7], exec, s[4:5]
	s_cbranch_execz .LBB112_83
; %bb.79:
	s_lshl_b64 s[4:5], s[30:31], 3
	s_add_u32 s4, s36, s4
	s_addc_u32 s5, s37, s5
	s_load_dwordx2 s[4:5], s[4:5], 0x0
	s_waitcnt lgkmcnt(0)
	s_sub_u32 s8, s4, s46
	s_subb_u32 s9, s5, 0
	v_cmp_gt_i64_e32 vcc, s[8:9], v[2:3]
	s_and_saveexec_b64 s[10:11], vcc
	s_cbranch_execz .LBB112_82
; %bb.80:
	v_lshlrev_b64 v[4:5], 3, v[2:3]
	v_mov_b32_e32 v6, s41
	v_add_co_u32_e32 v4, vcc, s40, v4
	v_addc_co_u32_e32 v5, vcc, v5, v6, vcc
	v_add_co_u32_e32 v4, vcc, 4, v4
	v_addc_co_u32_e32 v5, vcc, 0, v5, vcc
	v_lshlrev_b64 v[6:7], 2, v[2:3]
	v_mov_b32_e32 v8, s39
	v_add_co_u32_e32 v6, vcc, s38, v6
	v_lshlrev_b32_e32 v1, 4, v0
	v_addc_co_u32_e32 v7, vcc, v8, v7, vcc
	s_mov_b64 s[12:13], 0
	v_mov_b32_e32 v8, s43
	s_movk_i32 s14, 0x100
.LBB112_81:                             ; =>This Inner Loop Header: Depth=1
	global_load_dword v9, v[6:7], off
	global_load_dwordx2 v[22:23], v[4:5], off offset:-4
	s_waitcnt vmcnt(1)
	v_subrev_u32_e32 v18, s46, v9
	v_ashrrev_i32_e32 v19, 31, v18
	v_lshlrev_b64 v[18:19], 4, v[18:19]
	v_add_co_u32_e32 v18, vcc, s42, v18
	v_addc_co_u32_e32 v19, vcc, v8, v19, vcc
	global_load_dwordx4 v[18:21], v[18:19], off
	s_waitcnt vmcnt(1)
	v_cndmask_b32_e64 v9, v23, -v23, s[48:49]
	v_add_co_u32_e32 v2, vcc, s14, v2
	v_cvt_f64_f32_e32 v[24:25], v9
	v_addc_co_u32_e32 v3, vcc, 0, v3, vcc
	v_cvt_f64_f32_e32 v[22:23], v22
	v_mul_f64 v[26:27], -v[16:17], v[24:25]
	v_mul_f64 v[28:29], v[14:15], v[24:25]
	v_add_co_u32_e32 v4, vcc, 0x800, v4
	v_fmac_f64_e32 v[26:27], v[14:15], v[22:23]
	v_fmac_f64_e32 v[28:29], v[16:17], v[22:23]
	v_addc_co_u32_e32 v5, vcc, 0, v5, vcc
	v_add_co_u32_e32 v6, vcc, 0x400, v6
	v_cmp_le_i64_e64 s[4:5], s[8:9], v[2:3]
	v_addc_co_u32_e32 v7, vcc, 0, v7, vcc
	s_or_b64 s[12:13], s[4:5], s[12:13]
	s_waitcnt vmcnt(0)
	v_mul_f64 v[22:23], v[20:21], -v[28:29]
	v_mul_f64 v[24:25], v[20:21], v[26:27]
	v_fmac_f64_e32 v[22:23], v[26:27], v[18:19]
	v_fmac_f64_e32 v[24:25], v[28:29], v[18:19]
	ds_write_b128 v1, v[22:25]
	v_add_u32_e32 v1, 0x1000, v1
	s_andn2_b64 exec, exec, s[12:13]
	s_cbranch_execnz .LBB112_81
.LBB112_82:
	s_or_b64 exec, exec, s[10:11]
                                        ; implicit-def: $vgpr2_vgpr3
                                        ; implicit-def: $vgpr16_vgpr17
                                        ; implicit-def: $vgpr14_vgpr15
.LBB112_83:
	s_or_saveexec_b64 s[4:5], s[6:7]
	v_lshlrev_b32_e32 v18, 4, v0
	s_xor_b64 exec, exec, s[4:5]
	s_cbranch_execz .LBB112_85
; %bb.84:
	v_lshlrev_b64 v[4:5], 2, v[2:3]
	v_mov_b32_e32 v1, s39
	v_add_co_u32_e32 v4, vcc, s38, v4
	v_addc_co_u32_e32 v5, vcc, v1, v5, vcc
	global_load_dword v1, v[4:5], off
	global_load_dword v6, v[4:5], off offset:1024
	global_load_dword v7, v[4:5], off offset:2048
	;; [unrolled: 1-line block ×3, first 2 shown]
	v_lshlrev_b64 v[2:3], 3, v[2:3]
	v_mov_b32_e32 v4, s41
	v_add_co_u32_e32 v2, vcc, s40, v2
	s_movk_i32 s6, 0x1000
	v_addc_co_u32_e32 v3, vcc, v4, v3, vcc
	global_load_dwordx2 v[28:29], v[2:3], off
	global_load_dwordx2 v[30:31], v[2:3], off offset:2048
	v_add_co_u32_e32 v2, vcc, s6, v2
	v_addc_co_u32_e32 v3, vcc, 0, v3, vcc
	global_load_dwordx2 v[32:33], v[2:3], off
	global_load_dwordx2 v[34:35], v[2:3], off offset:2048
	v_mov_b32_e32 v19, s43
	s_waitcnt vmcnt(7)
	v_subrev_u32_e32 v2, s46, v1
	v_ashrrev_i32_e32 v3, 31, v2
	s_waitcnt vmcnt(6)
	v_subrev_u32_e32 v4, s46, v6
	v_lshlrev_b64 v[2:3], 4, v[2:3]
	v_ashrrev_i32_e32 v5, 31, v4
	v_add_co_u32_e32 v26, vcc, s42, v2
	s_waitcnt vmcnt(5)
	v_subrev_u32_e32 v6, s46, v7
	v_lshlrev_b64 v[4:5], 4, v[4:5]
	v_addc_co_u32_e32 v27, vcc, v19, v3, vcc
	v_ashrrev_i32_e32 v7, 31, v6
	v_add_co_u32_e32 v36, vcc, s42, v4
	s_waitcnt vmcnt(4)
	v_subrev_u32_e32 v8, s46, v8
	v_lshlrev_b64 v[6:7], 4, v[6:7]
	v_addc_co_u32_e32 v37, vcc, v19, v5, vcc
	v_ashrrev_i32_e32 v9, 31, v8
	v_add_co_u32_e32 v38, vcc, s42, v6
	v_lshlrev_b64 v[24:25], 4, v[8:9]
	v_addc_co_u32_e32 v39, vcc, v19, v7, vcc
	v_add_co_u32_e32 v24, vcc, s42, v24
	v_addc_co_u32_e32 v25, vcc, v19, v25, vcc
	global_load_dwordx4 v[2:5], v[26:27], off
	global_load_dwordx4 v[6:9], v[36:37], off
	global_load_dwordx4 v[20:23], v[38:39], off
	s_waitcnt vmcnt(6)
	v_cndmask_b32_e64 v1, v29, -v29, s[48:49]
	global_load_dwordx4 v[24:27], v[24:25], off
	s_waitcnt vmcnt(6)
	v_cndmask_b32_e64 v19, v31, -v31, s[48:49]
	v_cvt_f64_f32_e32 v[36:37], v1
	v_cvt_f64_f32_e32 v[38:39], v19
	s_waitcnt vmcnt(5)
	v_cndmask_b32_e64 v1, v33, -v33, s[48:49]
	s_waitcnt vmcnt(4)
	v_cndmask_b32_e64 v19, v35, -v35, s[48:49]
	v_cvt_f64_f32_e32 v[28:29], v28
	v_mul_f64 v[40:41], -v[16:17], v[36:37]
	v_mul_f64 v[42:43], v[14:15], v[36:37]
	v_mul_f64 v[44:45], -v[16:17], v[38:39]
	v_mul_f64 v[46:47], v[14:15], v[38:39]
	v_cvt_f64_f32_e32 v[36:37], v1
	v_cvt_f64_f32_e32 v[38:39], v19
	;; [unrolled: 1-line block ×5, first 2 shown]
	v_fmac_f64_e32 v[40:41], v[14:15], v[28:29]
	v_fmac_f64_e32 v[42:43], v[16:17], v[28:29]
	v_mul_f64 v[48:49], -v[16:17], v[36:37]
	v_mul_f64 v[50:51], v[14:15], v[36:37]
	v_mul_f64 v[52:53], -v[16:17], v[38:39]
	v_mul_f64 v[54:55], v[14:15], v[38:39]
	v_fmac_f64_e32 v[44:45], v[14:15], v[30:31]
	v_fmac_f64_e32 v[46:47], v[16:17], v[30:31]
	;; [unrolled: 1-line block ×6, first 2 shown]
	s_waitcnt vmcnt(3)
	v_mul_f64 v[14:15], v[4:5], -v[42:43]
	v_mul_f64 v[16:17], v[4:5], v[40:41]
	s_waitcnt vmcnt(2)
	v_mul_f64 v[28:29], v[8:9], -v[46:47]
	v_mul_f64 v[30:31], v[8:9], v[44:45]
	;; [unrolled: 3-line block ×4, first 2 shown]
	v_fmac_f64_e32 v[14:15], v[40:41], v[2:3]
	v_fmac_f64_e32 v[16:17], v[42:43], v[2:3]
	;; [unrolled: 1-line block ×8, first 2 shown]
	ds_write_b128 v18, v[14:17]
	ds_write_b128 v18, v[28:31] offset:4096
	ds_write_b128 v18, v[32:35] offset:8192
	;; [unrolled: 1-line block ×3, first 2 shown]
.LBB112_85:
	s_or_b64 exec, exec, s[4:5]
	s_cmp_lt_i32 s33, 2
	s_mov_b64 s[4:5], -1
	s_waitcnt lgkmcnt(0)
	s_barrier
	s_cbranch_scc0 .LBB112_96
; %bb.86:
	v_mov_b32_e32 v1, s29
	v_add_co_u32_e32 v14, vcc, s28, v0
	v_addc_co_u32_e32 v15, vcc, 0, v1, vcc
	v_cmp_gt_i64_e32 vcc, s[30:31], v[14:15]
	s_and_saveexec_b64 s[6:7], vcc
	s_cbranch_execz .LBB112_95
; %bb.87:
	v_cmp_neq_f64_e32 vcc, 0, v[10:11]
	v_cmp_neq_f64_e64 s[4:5], 0, v[12:13]
	s_lshl_b32 s10, s34, 4
	s_mov_b64 s[8:9], 0
	s_or_b64 s[4:5], vcc, s[4:5]
	s_sub_i32 s14, 0, s10
	v_mov_b32_e32 v1, s37
	v_mov_b32_e32 v16, s27
	s_branch .LBB112_89
.LBB112_88:                             ;   in Loop: Header=BB112_89 Depth=1
	s_or_b64 exec, exec, s[10:11]
	v_add_co_u32_e32 v6, vcc, s26, v6
	v_addc_co_u32_e32 v7, vcc, v16, v7, vcc
	v_add_co_u32_e32 v14, vcc, 0x100, v14
	v_addc_co_u32_e32 v15, vcc, 0, v15, vcc
	v_cmp_le_i64_e32 vcc, s[30:31], v[14:15]
	s_or_b64 s[8:9], vcc, s[8:9]
	global_store_dwordx4 v[6:7], v[2:5], off
	s_andn2_b64 exec, exec, s[8:9]
	s_cbranch_execz .LBB112_95
.LBB112_89:                             ; =>This Loop Header: Depth=1
                                        ;     Child Loop BB112_91 Depth 2
	v_lshlrev_b64 v[2:3], 3, v[14:15]
	v_add_co_u32_e32 v2, vcc, s36, v2
	v_addc_co_u32_e32 v3, vcc, v1, v3, vcc
	global_load_dwordx4 v[6:9], v[2:3], off
	v_pk_mov_b32 v[4:5], 0, 0
	v_pk_mov_b32 v[2:3], v[4:5], v[4:5] op_sel:[0,1]
	s_waitcnt vmcnt(0)
	v_subrev_u32_e32 v7, s34, v6
	v_subrev_u32_e32 v8, s34, v8
	v_cmp_lt_i32_e32 vcc, v7, v8
	s_and_saveexec_b64 s[10:11], vcc
	s_cbranch_execz .LBB112_93
; %bb.90:                               ;   in Loop: Header=BB112_89 Depth=1
	v_pk_mov_b32 v[4:5], 0, 0
	v_lshl_add_u32 v6, v6, 4, s14
	s_mov_b64 s[12:13], 0
	v_pk_mov_b32 v[2:3], v[4:5], v[4:5] op_sel:[0,1]
.LBB112_91:                             ;   Parent Loop BB112_89 Depth=1
                                        ; =>  This Inner Loop Header: Depth=2
	ds_read_b128 v[20:23], v6
	v_add_u32_e32 v7, 1, v7
	v_cmp_ge_i32_e32 vcc, v7, v8
	v_add_u32_e32 v6, 16, v6
	s_or_b64 s[12:13], vcc, s[12:13]
	s_waitcnt lgkmcnt(0)
	v_add_f64 v[2:3], v[2:3], v[20:21]
	v_add_f64 v[4:5], v[4:5], v[22:23]
	s_andn2_b64 exec, exec, s[12:13]
	s_cbranch_execnz .LBB112_91
; %bb.92:                               ;   in Loop: Header=BB112_89 Depth=1
	s_or_b64 exec, exec, s[12:13]
.LBB112_93:                             ;   in Loop: Header=BB112_89 Depth=1
	s_or_b64 exec, exec, s[10:11]
	v_lshlrev_b64 v[6:7], 4, v[14:15]
	s_and_saveexec_b64 s[10:11], s[4:5]
	s_cbranch_execz .LBB112_88
; %bb.94:                               ;   in Loop: Header=BB112_89 Depth=1
	v_mov_b32_e32 v9, s27
	v_add_co_u32_e32 v8, vcc, s26, v6
	v_addc_co_u32_e32 v9, vcc, v9, v7, vcc
	global_load_dwordx4 v[20:23], v[8:9], off
	s_waitcnt vmcnt(0)
	v_fmac_f64_e32 v[2:3], v[10:11], v[20:21]
	v_fmac_f64_e32 v[4:5], v[12:13], v[20:21]
	v_fma_f64 v[2:3], -v[12:13], v[22:23], v[2:3]
	v_fmac_f64_e32 v[4:5], v[10:11], v[22:23]
	s_branch .LBB112_88
.LBB112_95:
	s_or_b64 exec, exec, s[6:7]
	s_mov_b64 s[4:5], 0
.LBB112_96:
	s_andn2_b64 vcc, exec, s[4:5]
	s_cbranch_vccnz .LBB112_121
; %bb.97:
	s_flbit_i32_b32 s4, s33
	s_xor_b32 s4, s4, 31
	v_lshrrev_b32_e32 v6, s4, v0
	v_mov_b32_e32 v1, s29
	v_add_co_u32_e32 v4, vcc, s28, v6
	s_add_i32 s4, s33, -1
	v_addc_co_u32_e32 v5, vcc, 0, v1, vcc
	v_and_b32_e32 v7, s4, v0
	v_pk_mov_b32 v[0:1], 0, 0
	v_cmp_le_i64_e32 vcc, s[30:31], v[4:5]
	v_cmp_gt_i64_e64 s[4:5], s[30:31], v[4:5]
	v_pk_mov_b32 v[2:3], v[0:1], v[0:1] op_sel:[0,1]
	s_and_saveexec_b64 s[6:7], s[4:5]
	s_cbranch_execz .LBB112_103
; %bb.98:
	v_lshlrev_b32_e32 v0, 3, v6
	global_load_dword v1, v0, s[44:45] offset:8
	global_load_dword v8, v0, s[44:45]
	v_pk_mov_b32 v[2:3], 0, 0
	s_waitcnt vmcnt(1)
	v_subrev_u32_e32 v6, s34, v1
	s_waitcnt vmcnt(0)
	v_subrev_u32_e32 v0, s34, v8
	v_add_u32_e32 v8, v7, v0
	v_cmp_lt_i32_e64 s[4:5], v8, v6
	v_pk_mov_b32 v[0:1], v[2:3], v[2:3] op_sel:[0,1]
	s_and_saveexec_b64 s[8:9], s[4:5]
	s_cbranch_execz .LBB112_102
; %bb.99:
	v_pk_mov_b32 v[2:3], 0, 0
	v_lshlrev_b32_e32 v9, 4, v8
	s_lshl_b32 s12, s33, 4
	s_mov_b64 s[10:11], 0
	v_pk_mov_b32 v[0:1], v[2:3], v[2:3] op_sel:[0,1]
.LBB112_100:                            ; =>This Inner Loop Header: Depth=1
	ds_read_b128 v[14:17], v9
	v_add_u32_e32 v8, s33, v8
	v_cmp_ge_i32_e64 s[4:5], v8, v6
	v_add_u32_e32 v9, s12, v9
	s_or_b64 s[10:11], s[4:5], s[10:11]
	s_waitcnt lgkmcnt(0)
	v_add_f64 v[0:1], v[0:1], v[14:15]
	v_add_f64 v[2:3], v[2:3], v[16:17]
	s_andn2_b64 exec, exec, s[10:11]
	s_cbranch_execnz .LBB112_100
; %bb.101:
	s_or_b64 exec, exec, s[10:11]
.LBB112_102:
	s_or_b64 exec, exec, s[8:9]
.LBB112_103:
	s_or_b64 exec, exec, s[6:7]
	s_cmpk_lt_i32 s33, 0x81
	s_barrier
	ds_write_b128 v18, v[0:3]
	s_waitcnt lgkmcnt(0)
	s_barrier
	s_cbranch_scc1 .LBB112_105
; %bb.104:
	ds_read_b128 v[14:17], v18 offset:2048
	s_waitcnt lgkmcnt(0)
	s_barrier
	v_add_f64 v[0:1], v[0:1], v[14:15]
	v_add_f64 v[2:3], v[2:3], v[16:17]
	ds_write_b128 v18, v[0:3]
.LBB112_105:
	s_cmpk_lt_i32 s33, 0x41
	s_waitcnt lgkmcnt(0)
	s_barrier
	s_cbranch_scc1 .LBB112_107
; %bb.106:
	ds_read_b128 v[14:17], v18 offset:1024
	s_waitcnt lgkmcnt(0)
	s_barrier
	v_add_f64 v[0:1], v[0:1], v[14:15]
	v_add_f64 v[2:3], v[2:3], v[16:17]
	ds_write_b128 v18, v[0:3]
.LBB112_107:
	s_cmp_lt_i32 s33, 33
	s_waitcnt lgkmcnt(0)
	s_barrier
	s_cbranch_scc1 .LBB112_109
; %bb.108:
	ds_read_b128 v[14:17], v18 offset:512
	s_waitcnt lgkmcnt(0)
	s_barrier
	v_add_f64 v[0:1], v[0:1], v[14:15]
	v_add_f64 v[2:3], v[2:3], v[16:17]
	ds_write_b128 v18, v[0:3]
.LBB112_109:
	s_cmp_lt_i32 s33, 17
	;; [unrolled: 12-line block ×4, first 2 shown]
	s_waitcnt lgkmcnt(0)
	s_barrier
	s_cbranch_scc1 .LBB112_115
; %bb.114:
	ds_read_b128 v[14:17], v18 offset:64
	s_waitcnt lgkmcnt(0)
	s_barrier
	v_add_f64 v[0:1], v[0:1], v[14:15]
	v_add_f64 v[2:3], v[2:3], v[16:17]
	ds_write_b128 v18, v[0:3]
.LBB112_115:
	s_cmp_eq_u32 s33, 2
	s_waitcnt lgkmcnt(0)
	s_barrier
	s_cbranch_scc1 .LBB112_117
; %bb.116:
	ds_read_b128 v[14:17], v18 offset:32
	s_waitcnt lgkmcnt(0)
	s_barrier
	v_add_f64 v[0:1], v[0:1], v[14:15]
	v_add_f64 v[2:3], v[2:3], v[16:17]
	ds_write_b128 v18, v[0:3]
.LBB112_117:
	s_waitcnt lgkmcnt(0)
	s_barrier
	ds_read_b128 v[14:17], v18 offset:16
	v_cmp_eq_u32_e64 s[4:5], 0, v7
	s_xor_b64 s[6:7], vcc, -1
	s_and_b64 s[4:5], s[4:5], s[6:7]
	s_waitcnt lgkmcnt(0)
	v_add_f64 v[0:1], v[0:1], v[14:15]
	v_add_f64 v[2:3], v[2:3], v[16:17]
	s_barrier
	ds_write_b128 v18, v[0:3]
	s_and_b64 exec, exec, s[4:5]
	s_cbranch_execz .LBB112_121
; %bb.118:
	v_cmp_neq_f64_e32 vcc, 0, v[10:11]
	v_cmp_neq_f64_e64 s[4:5], 0, v[12:13]
	s_or_b64 s[6:7], vcc, s[4:5]
	v_lshlrev_b64 v[4:5], 4, v[4:5]
	s_and_saveexec_b64 s[4:5], s[6:7]
	s_cbranch_execz .LBB112_120
; %bb.119:
	v_mov_b32_e32 v7, s27
	v_add_co_u32_e32 v6, vcc, s26, v4
	v_addc_co_u32_e32 v7, vcc, v7, v5, vcc
	global_load_dwordx4 v[6:9], v[6:7], off
	s_waitcnt vmcnt(0)
	v_fmac_f64_e32 v[0:1], v[10:11], v[6:7]
	v_fmac_f64_e32 v[2:3], v[12:13], v[6:7]
	v_fma_f64 v[0:1], -v[12:13], v[8:9], v[0:1]
	v_fmac_f64_e32 v[2:3], v[10:11], v[8:9]
.LBB112_120:
	s_or_b64 exec, exec, s[4:5]
	v_mov_b32_e32 v6, s27
	v_add_co_u32_e32 v4, vcc, s26, v4
	v_addc_co_u32_e32 v5, vcc, v6, v5, vcc
	global_store_dwordx4 v[4:5], v[0:3], off
.LBB112_121:
	s_endpgm
	.section	.rodata,"a",@progbits
	.p2align	6, 0x0
	.amdhsa_kernel _ZN9rocsparseL22csrmvn_adaptive_kernelIli21rocsparse_complex_numIfES1_IdES3_S3_EEvbT_PKS4_PjPKT0_NS_24const_host_device_scalarIT4_EES6_SA_PKT1_PKT2_SD_PT3_21rocsparse_index_base_b
		.amdhsa_group_segment_fixed_size 16384
		.amdhsa_private_segment_fixed_size 24
		.amdhsa_kernarg_size 120
		.amdhsa_user_sgpr_count 8
		.amdhsa_user_sgpr_private_segment_buffer 1
		.amdhsa_user_sgpr_dispatch_ptr 0
		.amdhsa_user_sgpr_queue_ptr 0
		.amdhsa_user_sgpr_kernarg_segment_ptr 1
		.amdhsa_user_sgpr_dispatch_id 0
		.amdhsa_user_sgpr_flat_scratch_init 1
		.amdhsa_user_sgpr_kernarg_preload_length 0
		.amdhsa_user_sgpr_kernarg_preload_offset 0
		.amdhsa_user_sgpr_private_segment_size 0
		.amdhsa_uses_dynamic_stack 0
		.amdhsa_system_sgpr_private_segment_wavefront_offset 1
		.amdhsa_system_sgpr_workgroup_id_x 1
		.amdhsa_system_sgpr_workgroup_id_y 0
		.amdhsa_system_sgpr_workgroup_id_z 0
		.amdhsa_system_sgpr_workgroup_info 0
		.amdhsa_system_vgpr_workitem_id 0
		.amdhsa_next_free_vgpr 56
		.amdhsa_next_free_sgpr 67
		.amdhsa_accum_offset 56
		.amdhsa_reserve_vcc 1
		.amdhsa_reserve_flat_scratch 1
		.amdhsa_float_round_mode_32 0
		.amdhsa_float_round_mode_16_64 0
		.amdhsa_float_denorm_mode_32 3
		.amdhsa_float_denorm_mode_16_64 3
		.amdhsa_dx10_clamp 1
		.amdhsa_ieee_mode 1
		.amdhsa_fp16_overflow 0
		.amdhsa_tg_split 0
		.amdhsa_exception_fp_ieee_invalid_op 0
		.amdhsa_exception_fp_denorm_src 0
		.amdhsa_exception_fp_ieee_div_zero 0
		.amdhsa_exception_fp_ieee_overflow 0
		.amdhsa_exception_fp_ieee_underflow 0
		.amdhsa_exception_fp_ieee_inexact 0
		.amdhsa_exception_int_div_zero 0
	.end_amdhsa_kernel
	.section	.text._ZN9rocsparseL22csrmvn_adaptive_kernelIli21rocsparse_complex_numIfES1_IdES3_S3_EEvbT_PKS4_PjPKT0_NS_24const_host_device_scalarIT4_EES6_SA_PKT1_PKT2_SD_PT3_21rocsparse_index_base_b,"axG",@progbits,_ZN9rocsparseL22csrmvn_adaptive_kernelIli21rocsparse_complex_numIfES1_IdES3_S3_EEvbT_PKS4_PjPKT0_NS_24const_host_device_scalarIT4_EES6_SA_PKT1_PKT2_SD_PT3_21rocsparse_index_base_b,comdat
.Lfunc_end112:
	.size	_ZN9rocsparseL22csrmvn_adaptive_kernelIli21rocsparse_complex_numIfES1_IdES3_S3_EEvbT_PKS4_PjPKT0_NS_24const_host_device_scalarIT4_EES6_SA_PKT1_PKT2_SD_PT3_21rocsparse_index_base_b, .Lfunc_end112-_ZN9rocsparseL22csrmvn_adaptive_kernelIli21rocsparse_complex_numIfES1_IdES3_S3_EEvbT_PKS4_PjPKT0_NS_24const_host_device_scalarIT4_EES6_SA_PKT1_PKT2_SD_PT3_21rocsparse_index_base_b
                                        ; -- End function
	.section	.AMDGPU.csdata,"",@progbits
; Kernel info:
; codeLenInByte = 5288
; NumSgprs: 73
; NumVgprs: 56
; NumAgprs: 0
; TotalNumVgprs: 56
; ScratchSize: 24
; MemoryBound: 0
; FloatMode: 240
; IeeeMode: 1
; LDSByteSize: 16384 bytes/workgroup (compile time only)
; SGPRBlocks: 9
; VGPRBlocks: 6
; NumSGPRsForWavesPerEU: 73
; NumVGPRsForWavesPerEU: 56
; AccumOffset: 56
; Occupancy: 4
; WaveLimiterHint : 1
; COMPUTE_PGM_RSRC2:SCRATCH_EN: 1
; COMPUTE_PGM_RSRC2:USER_SGPR: 8
; COMPUTE_PGM_RSRC2:TRAP_HANDLER: 0
; COMPUTE_PGM_RSRC2:TGID_X_EN: 1
; COMPUTE_PGM_RSRC2:TGID_Y_EN: 0
; COMPUTE_PGM_RSRC2:TGID_Z_EN: 0
; COMPUTE_PGM_RSRC2:TIDIG_COMP_CNT: 0
; COMPUTE_PGM_RSRC3_GFX90A:ACCUM_OFFSET: 13
; COMPUTE_PGM_RSRC3_GFX90A:TG_SPLIT: 0
	.section	.text._ZN9rocsparseL27csrmvn_symm_adaptive_kernelIli21rocsparse_complex_numIfES1_IdES3_S3_EEvbT_S4_PKS4_NS_24const_host_device_scalarIT4_EES6_PKT0_PKT1_PKT2_S9_PT3_21rocsparse_index_base_b,"axG",@progbits,_ZN9rocsparseL27csrmvn_symm_adaptive_kernelIli21rocsparse_complex_numIfES1_IdES3_S3_EEvbT_S4_PKS4_NS_24const_host_device_scalarIT4_EES6_PKT0_PKT1_PKT2_S9_PT3_21rocsparse_index_base_b,comdat
	.globl	_ZN9rocsparseL27csrmvn_symm_adaptive_kernelIli21rocsparse_complex_numIfES1_IdES3_S3_EEvbT_S4_PKS4_NS_24const_host_device_scalarIT4_EES6_PKT0_PKT1_PKT2_S9_PT3_21rocsparse_index_base_b ; -- Begin function _ZN9rocsparseL27csrmvn_symm_adaptive_kernelIli21rocsparse_complex_numIfES1_IdES3_S3_EEvbT_S4_PKS4_NS_24const_host_device_scalarIT4_EES6_PKT0_PKT1_PKT2_S9_PT3_21rocsparse_index_base_b
	.p2align	8
	.type	_ZN9rocsparseL27csrmvn_symm_adaptive_kernelIli21rocsparse_complex_numIfES1_IdES3_S3_EEvbT_S4_PKS4_NS_24const_host_device_scalarIT4_EES6_PKT0_PKT1_PKT2_S9_PT3_21rocsparse_index_base_b,@function
_ZN9rocsparseL27csrmvn_symm_adaptive_kernelIli21rocsparse_complex_numIfES1_IdES3_S3_EEvbT_S4_PKS4_NS_24const_host_device_scalarIT4_EES6_PKT0_PKT1_PKT2_S9_PT3_21rocsparse_index_base_b: ; @_ZN9rocsparseL27csrmvn_symm_adaptive_kernelIli21rocsparse_complex_numIfES1_IdES3_S3_EEvbT_S4_PKS4_NS_24const_host_device_scalarIT4_EES6_PKT0_PKT1_PKT2_S9_PT3_21rocsparse_index_base_b
; %bb.0:
	s_add_u32 flat_scratch_lo, s6, s9
	s_addc_u32 flat_scratch_hi, s7, 0
	s_load_dwordx2 s[36:37], s[4:5], 0x68
	s_load_dwordx4 s[16:19], s[4:5], 0x20
	s_load_dwordx4 s[12:15], s[4:5], 0x50
	s_add_u32 s0, s0, s9
	s_addc_u32 s1, s1, 0
	s_waitcnt lgkmcnt(0)
	s_bitcmp1_b32 s37, 0
	v_mov_b32_e32 v1, 0
	v_mov_b32_e32 v3, s16
	s_cselect_b64 s[6:7], -1, 0
	v_cndmask_b32_e64 v2, v3, v1, s[6:7]
	v_mov_b32_e32 v1, s17
	s_mov_b64 s[10:11], src_private_base
	s_and_b64 vcc, s[6:7], exec
	buffer_store_dword v1, off, s[0:3], 0 offset:4
	buffer_store_dword v3, off, s[0:3], 0
	v_mov_b32_e32 v1, s13
	s_cselect_b32 s9, s11, s17
	buffer_store_dword v1, off, s[0:3], 0 offset:12
	v_mov_b32_e32 v1, s12
	buffer_store_dword v1, off, s[0:3], 0 offset:8
	v_mov_b32_e32 v3, s9
	flat_load_dwordx2 v[10:11], v[2:3]
	s_xor_b64 s[20:21], s[6:7], -1
	v_pk_mov_b32 v[12:13], s[18:19], s[18:19] op_sel:[0,1]
	s_cbranch_vccnz .LBB113_2
; %bb.1:
	v_pk_mov_b32 v[2:3], s[16:17], s[16:17] op_sel:[0,1]
	flat_load_dwordx2 v[12:13], v[2:3] offset:8
.LBB113_2:
	s_and_b64 s[16:17], s[6:7], exec
	s_cselect_b32 s9, s11, s13
	v_mov_b32_e32 v1, 8
	v_mov_b32_e32 v2, s12
	v_cndmask_b32_e64 v2, v2, v1, s[6:7]
	v_mov_b32_e32 v3, s9
	flat_load_dwordx2 v[2:3], v[2:3]
	s_andn2_b64 vcc, exec, s[20:21]
	v_pk_mov_b32 v[4:5], s[14:15], s[14:15] op_sel:[0,1]
	s_cbranch_vccnz .LBB113_4
; %bb.3:
	v_pk_mov_b32 v[4:5], s[12:13], s[12:13] op_sel:[0,1]
	flat_load_dwordx2 v[4:5], v[4:5] offset:8
.LBB113_4:
	s_waitcnt vmcnt(0) lgkmcnt(0)
	v_cmp_eq_f64_e32 vcc, 0, v[10:11]
	v_cmp_eq_f64_e64 s[6:7], 0, v[12:13]
	s_and_b64 s[12:13], vcc, s[6:7]
	s_mov_b64 s[6:7], -1
	s_and_saveexec_b64 s[10:11], s[12:13]
; %bb.5:
	v_cmp_neq_f64_e32 vcc, 1.0, v[2:3]
	v_cmp_neq_f64_e64 s[6:7], 0, v[4:5]
	s_or_b64 s[6:7], vcc, s[6:7]
	s_orn2_b64 s[6:7], s[6:7], exec
; %bb.6:
	s_or_b64 exec, exec, s[10:11]
	s_and_saveexec_b64 s[10:11], s[6:7]
	s_cbranch_execz .LBB113_196
; %bb.7:
	s_load_dword s9, s[4:5], 0x0
	s_load_dwordx2 s[6:7], s[4:5], 0x18
	s_mov_b32 s33, 0
	s_mov_b32 s12, s33
	;; [unrolled: 1-line block ×3, first 2 shown]
	s_waitcnt lgkmcnt(0)
	s_bitcmp1_b32 s9, 0
	s_cselect_b64 s[40:41], -1, 0
	s_ashr_i32 s9, s8, 31
	s_lshl_b64 s[8:9], s[8:9], 3
	s_mov_b32 s14, s33
	s_mov_b32 s15, s33
	v_pk_mov_b32 v[2:3], s[12:13], s[12:13] op_sel:[0,1]
	s_add_u32 s6, s6, s8
	v_lshlrev_b32_e32 v26, 4, v0
	v_pk_mov_b32 v[4:5], s[14:15], s[14:15] op_sel:[0,1]
	s_addc_u32 s7, s7, s9
	ds_write_b128 v26, v[2:5]
	ds_write_b128 v26, v[2:5] offset:4096
	ds_write_b128 v26, v[2:5] offset:8192
	;; [unrolled: 1-line block ×3, first 2 shown]
	s_waitcnt lgkmcnt(0)
	s_barrier
	s_load_dwordx4 s[28:31], s[6:7], 0x0
	s_load_dwordx2 s[18:19], s[4:5], 0x60
	s_load_dwordx8 s[20:27], s[4:5], 0x30
	s_mov_b64 s[6:7], -1
	s_waitcnt lgkmcnt(0)
	s_sub_u32 s34, s30, s28
	s_subb_u32 s35, s31, s29
	v_cmp_gt_i64_e64 s[8:9], s[34:35], 2
	s_and_b64 vcc, exec, s[8:9]
	s_cbranch_vccnz .LBB113_53
; %bb.8:
	v_pk_mov_b32 v[2:3], s[28:29], s[28:29] op_sel:[0,1]
	v_cmp_gt_i64_e32 vcc, s[30:31], v[2:3]
	v_subrev_co_u32_e64 v1, s[6:7], s36, v0
	v_subb_co_u32_e64 v16, s[6:7], 0, 0, s[6:7]
	s_cbranch_vccnz .LBB113_10
; %bb.9:
	s_lshl_b64 s[6:7], s[28:29], 3
	s_add_u32 s6, s20, s6
	s_addc_u32 s7, s21, s7
	s_load_dwordx2 s[38:39], s[6:7], 0x0
	s_cbranch_execz .LBB113_11
	s_branch .LBB113_40
.LBB113_10:
                                        ; implicit-def: $sgpr38_sgpr39
.LBB113_11:
	s_lshl_b64 s[16:17], s[28:29], 3
	s_add_u32 s16, s20, s16
	s_addc_u32 s17, s21, s17
	s_waitcnt lgkmcnt(0)
	s_load_dwordx2 s[38:39], s[16:17], 0x0
	s_add_u32 s52, s20, 8
	s_addc_u32 s53, s21, 0
	s_movk_i32 s37, 0x100
	s_add_u32 s54, s24, 4
	v_cmp_gt_u32_e64 s[6:7], s37, v0
	v_cmp_gt_u32_e64 s[8:9], 64, v0
	;; [unrolled: 1-line block ×4, first 2 shown]
	v_cmp_eq_u32_e64 s[14:15], 0, v0
	s_addc_u32 s55, s25, 0
	v_mov_b32_e32 v17, s27
	v_mov_b32_e32 v18, 0
	s_waitcnt lgkmcnt(0)
	s_mov_b64 s[44:45], s[38:39]
	s_mov_b64 s[42:43], s[28:29]
	s_branch .LBB113_13
.LBB113_12:                             ;   in Loop: Header=BB113_13 Depth=1
	s_or_b64 exec, exec, s[16:17]
	s_add_u32 s42, s42, 1
	s_addc_u32 s43, s43, 0
	v_pk_mov_b32 v[2:3], s[30:31], s[30:31] op_sel:[0,1]
	v_cmp_ge_i64_e32 vcc, s[42:43], v[2:3]
	s_cbranch_vccnz .LBB113_40
.LBB113_13:                             ; =>This Loop Header: Depth=1
                                        ;     Child Loop BB113_15 Depth 2
                                        ;     Child Loop BB113_29 Depth 2
	;; [unrolled: 1-line block ×5, first 2 shown]
	s_mov_b64 s[16:17], s[44:45]
	s_lshl_b64 s[44:45], s[42:43], 3
	s_add_u32 s44, s52, s44
	s_addc_u32 s45, s53, s45
	s_load_dwordx2 s[44:45], s[44:45], 0x0
	v_mov_b32_e32 v2, s17
	v_add_co_u32_e32 v6, vcc, s16, v1
	v_addc_co_u32_e32 v7, vcc, v2, v16, vcc
	s_waitcnt lgkmcnt(0)
	s_sub_u32 s46, s44, s36
	s_subb_u32 s47, s45, 0
	v_pk_mov_b32 v[4:5], 0, 0
	v_cmp_gt_i64_e32 vcc, s[46:47], v[6:7]
	v_pk_mov_b32 v[2:3], v[4:5], v[4:5] op_sel:[0,1]
	s_and_saveexec_b64 s[48:49], vcc
	s_cbranch_execz .LBB113_17
; %bb.14:                               ;   in Loop: Header=BB113_13 Depth=1
	v_lshlrev_b64 v[2:3], 2, v[6:7]
	v_mov_b32_e32 v4, s23
	v_add_co_u32_e32 v8, vcc, s22, v2
	v_addc_co_u32_e32 v9, vcc, v4, v3, vcc
	v_lshlrev_b64 v[2:3], 3, v[6:7]
	v_mov_b32_e32 v4, s55
	v_add_co_u32_e32 v14, vcc, s54, v2
	v_addc_co_u32_e32 v15, vcc, v4, v3, vcc
	v_pk_mov_b32 v[4:5], 0, 0
	s_mov_b64 s[50:51], 0
	v_pk_mov_b32 v[2:3], v[4:5], v[4:5] op_sel:[0,1]
.LBB113_15:                             ;   Parent Loop BB113_13 Depth=1
                                        ; =>  This Inner Loop Header: Depth=2
	global_load_dword v19, v[8:9], off
	global_load_dwordx2 v[24:25], v[14:15], off offset:-4
	s_waitcnt vmcnt(1)
	v_subrev_u32_e32 v20, s36, v19
	v_ashrrev_i32_e32 v21, 31, v20
	v_lshlrev_b64 v[20:21], 4, v[20:21]
	v_add_co_u32_e32 v20, vcc, s26, v20
	v_addc_co_u32_e32 v21, vcc, v17, v21, vcc
	global_load_dwordx4 v[20:23], v[20:21], off
	v_add_co_u32_e32 v6, vcc, s37, v6
	v_addc_co_u32_e32 v7, vcc, 0, v7, vcc
	v_add_co_u32_e32 v8, vcc, 0x400, v8
	s_waitcnt vmcnt(1)
	v_cndmask_b32_e64 v19, v25, -v25, s[40:41]
	v_addc_co_u32_e32 v9, vcc, 0, v9, vcc
	v_cvt_f64_f32_e32 v[24:25], v24
	v_cvt_f64_f32_e32 v[28:29], v19
	v_add_co_u32_e32 v14, vcc, 0x800, v14
	v_cmp_le_i64_e64 s[16:17], s[46:47], v[6:7]
	v_addc_co_u32_e32 v15, vcc, 0, v15, vcc
	s_or_b64 s[50:51], s[16:17], s[50:51]
	s_waitcnt vmcnt(0)
	v_fmac_f64_e32 v[2:3], v[24:25], v[20:21]
	v_fmac_f64_e32 v[4:5], v[28:29], v[20:21]
	v_fma_f64 v[2:3], -v[28:29], v[22:23], v[2:3]
	v_fmac_f64_e32 v[4:5], v[24:25], v[22:23]
	s_andn2_b64 exec, exec, s[50:51]
	s_cbranch_execnz .LBB113_15
; %bb.16:                               ;   in Loop: Header=BB113_13 Depth=1
	s_or_b64 exec, exec, s[50:51]
.LBB113_17:                             ;   in Loop: Header=BB113_13 Depth=1
	s_or_b64 exec, exec, s[48:49]
	ds_write_b128 v26, v[2:5]
	s_waitcnt lgkmcnt(0)
	s_barrier
	s_and_saveexec_b64 s[16:17], s[6:7]
	s_cbranch_execz .LBB113_19
; %bb.18:                               ;   in Loop: Header=BB113_13 Depth=1
	ds_read_b128 v[2:5], v26 offset:4096
	ds_read_b128 v[6:9], v26 offset:8192
	ds_read_b128 v[20:23], v26 offset:12288
	ds_read_b128 v[28:31], v26
	s_waitcnt lgkmcnt(2)
	v_add_f64 v[2:3], v[6:7], v[2:3]
	v_add_f64 v[4:5], v[8:9], v[4:5]
	s_waitcnt lgkmcnt(1)
	v_add_f64 v[2:3], v[2:3], v[20:21]
	v_add_f64 v[4:5], v[4:5], v[22:23]
	s_waitcnt lgkmcnt(0)
	v_add_f64 v[2:3], v[2:3], v[28:29]
	v_add_f64 v[4:5], v[4:5], v[30:31]
	ds_write_b128 v26, v[2:5]
.LBB113_19:                             ;   in Loop: Header=BB113_13 Depth=1
	s_or_b64 exec, exec, s[16:17]
	s_waitcnt lgkmcnt(0)
	s_barrier
	s_and_saveexec_b64 s[16:17], s[8:9]
	s_cbranch_execz .LBB113_21
; %bb.20:                               ;   in Loop: Header=BB113_13 Depth=1
	ds_read_b128 v[2:5], v26 offset:1024
	ds_read_b128 v[6:9], v26 offset:2048
	ds_read_b128 v[20:23], v26 offset:3072
	ds_read_b128 v[28:31], v26
	s_waitcnt lgkmcnt(2)
	v_add_f64 v[2:3], v[6:7], v[2:3]
	v_add_f64 v[4:5], v[8:9], v[4:5]
	s_waitcnt lgkmcnt(1)
	v_add_f64 v[2:3], v[2:3], v[20:21]
	v_add_f64 v[4:5], v[4:5], v[22:23]
	s_waitcnt lgkmcnt(0)
	v_add_f64 v[2:3], v[2:3], v[28:29]
	v_add_f64 v[4:5], v[4:5], v[30:31]
	ds_write_b128 v26, v[2:5]
.LBB113_21:                             ;   in Loop: Header=BB113_13 Depth=1
	s_or_b64 exec, exec, s[16:17]
	;; [unrolled: 21-line block ×5, first 2 shown]
	s_waitcnt lgkmcnt(0)
	s_barrier
	s_and_saveexec_b64 s[16:17], s[14:15]
	s_cbranch_execz .LBB113_12
; %bb.28:                               ;   in Loop: Header=BB113_13 Depth=1
	ds_read_b128 v[2:5], v18
	v_mov_b32_e32 v14, 0
	s_mov_b64 s[46:47], exec
	v_bfrev_b32_e32 v15, 1
	s_waitcnt lgkmcnt(0)
	v_mul_f64 v[6:7], v[4:5], -v[12:13]
	v_fmac_f64_e32 v[6:7], v[10:11], v[2:3]
.LBB113_29:                             ;   Parent Loop BB113_13 Depth=1
                                        ; =>  This Inner Loop Header: Depth=2
	s_ff1_i32_b64 s50, s[46:47]
	v_readlane_b32 s49, v7, s50
	v_readlane_b32 s48, v6, s50
	s_lshl_b64 s[50:51], 1, s50
	s_andn2_b64 s[46:47], s[46:47], s[50:51]
	s_cmp_lg_u64 s[46:47], 0
	v_add_f64 v[14:15], v[14:15], s[48:49]
	s_cbranch_scc1 .LBB113_29
; %bb.30:                               ;   in Loop: Header=BB113_13 Depth=1
	s_lshl_b64 s[46:47], s[42:43], 4
	v_mbcnt_lo_u32_b32 v6, exec_lo, 0
	s_add_u32 s46, s18, s46
	v_mbcnt_hi_u32_b32 v6, exec_hi, v6
	s_addc_u32 s47, s19, s47
	v_cmp_eq_u32_e32 vcc, 0, v6
	s_and_saveexec_b64 s[48:49], vcc
	s_xor_b64 s[48:49], exec, s[48:49]
	s_cbranch_execz .LBB113_34
; %bb.31:                               ;   in Loop: Header=BB113_13 Depth=1
	global_load_dwordx2 v[8:9], v18, s[46:47]
	s_mov_b64 s[50:51], 0
.LBB113_32:                             ;   Parent Loop BB113_13 Depth=1
                                        ; =>  This Inner Loop Header: Depth=2
	s_waitcnt vmcnt(0)
	v_add_f64 v[6:7], v[8:9], v[14:15]
	global_atomic_cmpswap_x2 v[6:7], v18, v[6:9], s[46:47] glc
	s_waitcnt vmcnt(0)
	v_cmp_eq_u64_e32 vcc, v[6:7], v[8:9]
	s_or_b64 s[50:51], vcc, s[50:51]
	v_pk_mov_b32 v[8:9], v[6:7], v[6:7] op_sel:[0,1]
	s_andn2_b64 exec, exec, s[50:51]
	s_cbranch_execnz .LBB113_32
; %bb.33:                               ;   in Loop: Header=BB113_13 Depth=1
	s_or_b64 exec, exec, s[50:51]
.LBB113_34:                             ;   in Loop: Header=BB113_13 Depth=1
	s_or_b64 exec, exec, s[48:49]
	v_mul_f64 v[4:5], v[10:11], v[4:5]
	v_mov_b32_e32 v6, 0
	s_mov_b64 s[48:49], exec
	v_fmac_f64_e32 v[4:5], v[12:13], v[2:3]
	v_bfrev_b32_e32 v7, 1
.LBB113_35:                             ;   Parent Loop BB113_13 Depth=1
                                        ; =>  This Inner Loop Header: Depth=2
	s_ff1_i32_b64 s56, s[48:49]
	v_readlane_b32 s51, v5, s56
	v_readlane_b32 s50, v4, s56
	s_lshl_b64 s[56:57], 1, s56
	s_andn2_b64 s[48:49], s[48:49], s[56:57]
	s_cmp_lg_u64 s[48:49], 0
	v_add_f64 v[6:7], v[6:7], s[50:51]
	s_cbranch_scc1 .LBB113_35
; %bb.36:                               ;   in Loop: Header=BB113_13 Depth=1
	v_mbcnt_lo_u32_b32 v2, exec_lo, 0
	v_mbcnt_hi_u32_b32 v2, exec_hi, v2
	v_cmp_eq_u32_e32 vcc, 0, v2
	s_and_saveexec_b64 s[48:49], vcc
	s_xor_b64 s[48:49], exec, s[48:49]
	s_cbranch_execz .LBB113_12
; %bb.37:                               ;   in Loop: Header=BB113_13 Depth=1
	global_load_dwordx2 v[4:5], v18, s[46:47] offset:8
	s_mov_b64 s[48:49], 0
.LBB113_38:                             ;   Parent Loop BB113_13 Depth=1
                                        ; =>  This Inner Loop Header: Depth=2
	s_waitcnt vmcnt(0)
	v_add_f64 v[2:3], v[4:5], v[6:7]
	global_atomic_cmpswap_x2 v[2:3], v18, v[2:5], s[46:47] offset:8 glc
	s_waitcnt vmcnt(0)
	v_cmp_eq_u64_e32 vcc, v[2:3], v[4:5]
	s_or_b64 s[48:49], vcc, s[48:49]
	v_pk_mov_b32 v[4:5], v[2:3], v[2:3] op_sel:[0,1]
	s_andn2_b64 exec, exec, s[48:49]
	s_cbranch_execnz .LBB113_38
; %bb.39:                               ;   in Loop: Header=BB113_13 Depth=1
	s_or_b64 exec, exec, s[48:49]
	s_branch .LBB113_12
.LBB113_40:
	s_lshl_b64 s[6:7], s[30:31], 3
	s_add_u32 s6, s20, s6
	s_addc_u32 s7, s21, s7
	s_load_dwordx2 s[6:7], s[6:7], 0x0
	s_waitcnt lgkmcnt(0)
	v_mov_b32_e32 v2, s39
	v_add_co_u32_e32 v14, vcc, s38, v1
	v_addc_co_u32_e32 v15, vcc, v2, v16, vcc
	s_sub_u32 s10, s6, s36
	s_subb_u32 s11, s7, 0
	v_cmp_gt_i64_e32 vcc, s[10:11], v[14:15]
	s_and_saveexec_b64 s[12:13], vcc
	s_cbranch_execz .LBB113_52
; %bb.41:
	s_add_u32 s14, s30, -1
	s_addc_u32 s15, s31, -1
	s_add_u32 s6, s30, -2
	s_addc_u32 s7, s31, -1
	v_pk_mov_b32 v[2:3], s[28:29], s[28:29] op_sel:[0,1]
	s_cmp_lg_u64 s[6:7], s[28:29]
	v_cmp_gt_i64_e32 vcc, s[14:15], v[2:3]
	s_cselect_b64 s[6:7], -1, 0
	s_and_b64 s[6:7], vcc, s[6:7]
	v_cndmask_b32_e64 v1, 0, 1, s[6:7]
	s_mov_b64 s[16:17], 0
	v_cmp_ne_u32_e64 s[6:7], 1, v1
	v_mov_b32_e32 v1, s21
	v_mov_b32_e32 v24, s33
	;; [unrolled: 1-line block ×3, first 2 shown]
	s_branch .LBB113_43
.LBB113_42:                             ;   in Loop: Header=BB113_43 Depth=1
	s_or_b64 exec, exec, s[8:9]
	v_add_co_u32_e32 v14, vcc, 0x100, v14
	v_addc_co_u32_e32 v15, vcc, 0, v15, vcc
	v_cmp_le_i64_e32 vcc, s[10:11], v[14:15]
	s_or_b64 s[16:17], vcc, s[16:17]
	s_andn2_b64 exec, exec, s[16:17]
	s_cbranch_execz .LBB113_52
.LBB113_43:                             ; =>This Loop Header: Depth=1
                                        ;     Child Loop BB113_45 Depth 2
                                        ;     Child Loop BB113_49 Depth 2
	;; [unrolled: 1-line block ×3, first 2 shown]
	s_and_b64 vcc, exec, s[6:7]
	v_pk_mov_b32 v[2:3], s[28:29], s[28:29] op_sel:[0,1]
	v_pk_mov_b32 v[4:5], s[14:15], s[14:15] op_sel:[0,1]
	s_cbranch_vccnz .LBB113_47
; %bb.44:                               ;   in Loop: Header=BB113_43 Depth=1
	s_mov_b64 s[38:39], 0
	v_pk_mov_b32 v[2:3], s[28:29], s[28:29] op_sel:[0,1]
	v_pk_mov_b32 v[4:5], s[14:15], s[14:15] op_sel:[0,1]
.LBB113_45:                             ;   Parent Loop BB113_43 Depth=1
                                        ; =>  This Inner Loop Header: Depth=2
	v_add_co_u32_e32 v6, vcc, v4, v2
	v_addc_co_u32_e32 v7, vcc, v5, v3, vcc
	v_lshrrev_b32_e32 v8, 31, v7
	v_add_co_u32_e32 v6, vcc, v6, v8
	v_addc_co_u32_e32 v7, vcc, 0, v7, vcc
	v_ashrrev_i64 v[6:7], 1, v[6:7]
	v_lshlrev_b64 v[8:9], 3, v[6:7]
	v_mov_b32_e32 v16, s21
	v_add_co_u32_e32 v8, vcc, s20, v8
	v_addc_co_u32_e32 v9, vcc, v16, v9, vcc
	global_load_dwordx2 v[8:9], v[8:9], off
	v_mov_b32_e32 v16, s33
	s_waitcnt vmcnt(0)
	v_subrev_co_u32_e32 v8, vcc, s36, v8
	v_subb_co_u32_e32 v9, vcc, v9, v16, vcc
	v_cmp_gt_i64_e32 vcc, v[8:9], v[14:15]
	v_cndmask_b32_e32 v4, v4, v6, vcc
	v_cndmask_b32_e32 v5, v5, v7, vcc
	;; [unrolled: 1-line block ×3, first 2 shown]
	v_add_co_u32_e64 v6, s[8:9], -1, v4
	v_cndmask_b32_e32 v3, v7, v3, vcc
	v_addc_co_u32_e64 v7, s[8:9], -1, v5, s[8:9]
	v_cmp_ge_i64_e32 vcc, v[2:3], v[4:5]
	v_cmp_eq_u64_e64 s[8:9], v[2:3], v[6:7]
	s_or_b64 s[8:9], vcc, s[8:9]
	s_and_b64 s[8:9], exec, s[8:9]
	s_or_b64 s[38:39], s[8:9], s[38:39]
	s_andn2_b64 exec, exec, s[38:39]
	s_cbranch_execnz .LBB113_45
; %bb.46:                               ;   in Loop: Header=BB113_43 Depth=1
	s_or_b64 exec, exec, s[38:39]
.LBB113_47:                             ;   in Loop: Header=BB113_43 Depth=1
	v_lshlrev_b64 v[6:7], 3, v[4:5]
	v_add_co_u32_e32 v6, vcc, s20, v6
	v_addc_co_u32_e32 v7, vcc, v1, v7, vcc
	v_lshlrev_b64 v[8:9], 2, v[14:15]
	global_load_dwordx2 v[6:7], v[6:7], off
	v_add_co_u32_e32 v8, vcc, s22, v8
	v_addc_co_u32_e32 v9, vcc, v25, v9, vcc
	global_load_dword v16, v[8:9], off
	s_waitcnt vmcnt(1)
	v_subrev_co_u32_e32 v8, vcc, s36, v6
	v_subb_co_u32_e32 v9, vcc, v7, v24, vcc
	v_cmp_gt_i64_e32 vcc, v[8:9], v[14:15]
	s_waitcnt vmcnt(0)
	v_subrev_u32_e32 v6, s36, v16
	v_cndmask_b32_e32 v3, v5, v3, vcc
	v_cndmask_b32_e32 v2, v4, v2, vcc
	v_ashrrev_i32_e32 v7, 31, v6
	v_cmp_ne_u64_e32 vcc, v[2:3], v[6:7]
	s_and_saveexec_b64 s[8:9], vcc
	s_cbranch_execz .LBB113_42
; %bb.48:                               ;   in Loop: Header=BB113_43 Depth=1
	v_lshlrev_b64 v[4:5], 3, v[14:15]
	v_mov_b32_e32 v9, s25
	v_add_co_u32_e32 v4, vcc, s24, v4
	v_addc_co_u32_e32 v5, vcc, v9, v5, vcc
	global_load_dwordx2 v[18:19], v[4:5], off
	v_lshlrev_b64 v[2:3], 4, v[2:3]
	v_mov_b32_e32 v4, s27
	v_add_co_u32_e32 v2, vcc, s26, v2
	v_lshlrev_b64 v[6:7], 4, v[6:7]
	v_addc_co_u32_e32 v3, vcc, v4, v3, vcc
	v_mov_b32_e32 v8, s19
	global_load_dwordx4 v[2:5], v[2:3], off
	v_add_co_u32_e32 v16, vcc, s18, v6
	v_addc_co_u32_e32 v17, vcc, v8, v7, vcc
	global_load_dwordx2 v[8:9], v[16:17], off
	s_mov_b64 s[38:39], 0
	s_waitcnt vmcnt(2)
	v_cndmask_b32_e64 v19, v19, -v19, s[40:41]
	v_cvt_f64_f32_e32 v[20:21], v19
	v_cvt_f64_f32_e32 v[6:7], v18
	v_mul_f64 v[18:19], -v[12:13], v[20:21]
	v_mul_f64 v[20:21], v[10:11], v[20:21]
	v_fmac_f64_e32 v[20:21], v[12:13], v[6:7]
	v_fmac_f64_e32 v[18:19], v[10:11], v[6:7]
	s_waitcnt vmcnt(1)
	v_mul_f64 v[22:23], v[4:5], -v[20:21]
	v_fmac_f64_e32 v[22:23], v[18:19], v[2:3]
.LBB113_49:                             ;   Parent Loop BB113_43 Depth=1
                                        ; =>  This Inner Loop Header: Depth=2
	s_waitcnt vmcnt(0)
	v_add_f64 v[6:7], v[8:9], v[22:23]
	global_atomic_cmpswap_x2 v[6:7], v[16:17], v[6:9], off glc
	s_waitcnt vmcnt(0)
	v_cmp_eq_u64_e32 vcc, v[6:7], v[8:9]
	s_or_b64 s[38:39], vcc, s[38:39]
	v_pk_mov_b32 v[8:9], v[6:7], v[6:7] op_sel:[0,1]
	s_andn2_b64 exec, exec, s[38:39]
	s_cbranch_execnz .LBB113_49
; %bb.50:                               ;   in Loop: Header=BB113_43 Depth=1
	s_or_b64 exec, exec, s[38:39]
	global_load_dwordx2 v[6:7], v[16:17], off offset:8
	v_mul_f64 v[8:9], v[4:5], v[18:19]
	v_fmac_f64_e32 v[8:9], v[20:21], v[2:3]
	s_mov_b64 s[38:39], 0
.LBB113_51:                             ;   Parent Loop BB113_43 Depth=1
                                        ; =>  This Inner Loop Header: Depth=2
	s_waitcnt vmcnt(0)
	v_add_f64 v[4:5], v[6:7], v[8:9]
	global_atomic_cmpswap_x2 v[2:3], v[16:17], v[4:7], off offset:8 glc
	s_waitcnt vmcnt(0)
	v_cmp_eq_u64_e32 vcc, v[2:3], v[6:7]
	s_or_b64 s[38:39], vcc, s[38:39]
	v_pk_mov_b32 v[6:7], v[2:3], v[2:3] op_sel:[0,1]
	s_andn2_b64 exec, exec, s[38:39]
	s_cbranch_execnz .LBB113_51
	s_branch .LBB113_42
.LBB113_52:
	s_or_b64 exec, exec, s[12:13]
	s_mov_b64 s[6:7], 0
.LBB113_53:
	s_and_b64 vcc, exec, s[6:7]
	s_cbranch_vccz .LBB113_196
; %bb.54:
	s_load_dword s6, s[4:5], 0x7c
	s_mov_b32 s33, 0
	v_pk_mov_b32 v[2:3], s[34:35], s[34:35] op_sel:[0,1]
	s_mov_b32 s17, s33
	s_mov_b64 s[38:39], 0
	s_waitcnt lgkmcnt(0)
	s_and_b32 s16, s6, 0xffff
	v_cmp_lt_u64_e32 vcc, s[16:17], v[2:3]
	s_cbranch_vccnz .LBB113_56
; %bb.55:
	v_cvt_f32_u32_e32 v1, s34
	s_sub_i32 s6, 0, s34
	v_rcp_iflag_f32_e32 v1, v1
	v_mul_f32_e32 v1, 0x4f7ffffe, v1
	v_cvt_u32_f32_e32 v1, v1
	v_readfirstlane_b32 s7, v1
	s_mul_i32 s6, s6, s7
	s_mul_hi_u32 s6, s7, s6
	s_add_i32 s7, s7, s6
	s_mul_hi_u32 s6, s16, s7
	s_mul_i32 s8, s6, s34
	s_sub_i32 s8, s16, s8
	s_add_i32 s7, s6, 1
	s_sub_i32 s9, s8, s34
	s_cmp_ge_u32 s8, s34
	s_cselect_b32 s6, s7, s6
	s_cselect_b32 s8, s9, s8
	s_add_i32 s7, s6, 1
	s_cmp_ge_u32 s8, s34
	s_cselect_b32 s38, s7, s6
.LBB113_56:
	s_load_dwordx4 s[8:11], s[4:5], 0x8
	s_lshl_b64 s[4:5], s[28:29], 3
	s_add_u32 s14, s20, s4
	s_addc_u32 s15, s21, s5
	s_load_dwordx2 s[12:13], s[14:15], 0x0
	v_subrev_co_u32_e32 v2, vcc, s36, v0
	v_subb_co_u32_e64 v3, s[4:5], 0, 0, vcc
	s_waitcnt lgkmcnt(0)
	v_mov_b32_e32 v4, s13
	v_add_co_u32_e32 v14, vcc, s12, v2
	v_addc_co_u32_e32 v15, vcc, v4, v3, vcc
	v_add_co_u32_e32 v16, vcc, 0x300, v14
	v_addc_co_u32_e32 v17, vcc, 0, v15, vcc
	v_mov_b32_e32 v1, 0
	v_cmp_le_i64_e64 s[4:5], s[8:9], v[16:17]
	s_and_saveexec_b64 s[6:7], s[4:5]
	s_xor_b64 s[6:7], exec, s[6:7]
	s_cbranch_execnz .LBB113_59
; %bb.57:
	s_andn2_saveexec_b64 s[6:7], s[6:7]
	s_cbranch_execnz .LBB113_63
.LBB113_58:
	s_or_b64 exec, exec, s[6:7]
	v_cmp_gt_i64_e32 vcc, s[10:11], v[0:1]
	s_and_saveexec_b64 s[6:7], vcc
	s_cbranch_execnz .LBB113_64
	s_branch .LBB113_66
.LBB113_59:
	s_lshl_b64 s[8:9], s[30:31], 3
	s_add_u32 s8, s20, s8
	s_addc_u32 s9, s21, s9
	s_load_dwordx2 s[8:9], s[8:9], 0x0
	s_waitcnt lgkmcnt(0)
	s_sub_u32 s8, s8, s12
	s_subb_u32 s9, s9, s13
	v_cmp_gt_i64_e32 vcc, s[8:9], v[0:1]
	s_and_saveexec_b64 s[42:43], vcc
	s_cbranch_execz .LBB113_62
; %bb.60:
	v_lshlrev_b64 v[2:3], 3, v[14:15]
	v_mov_b32_e32 v4, s25
	v_add_co_u32_e32 v2, vcc, s24, v2
	v_addc_co_u32_e32 v3, vcc, v3, v4, vcc
	v_add_co_u32_e32 v2, vcc, 4, v2
	v_addc_co_u32_e32 v3, vcc, 0, v3, vcc
	s_mov_b64 s[44:45], 0
	v_mov_b32_e32 v6, v26
	v_pk_mov_b32 v[4:5], v[0:1], v[0:1] op_sel:[0,1]
.LBB113_61:                             ; =>This Inner Loop Header: Depth=1
	global_load_dwordx2 v[8:9], v[2:3], off offset:-4
	v_add_co_u32_e32 v2, vcc, 0x800, v2
	v_addc_co_u32_e32 v3, vcc, 0, v3, vcc
	v_add_co_u32_e32 v4, vcc, 0x100, v4
	v_addc_co_u32_e32 v5, vcc, 0, v5, vcc
	v_cmp_le_i64_e32 vcc, s[8:9], v[4:5]
	s_or_b64 s[44:45], vcc, s[44:45]
	s_waitcnt vmcnt(0)
	v_cndmask_b32_e64 v7, v9, -v9, s[40:41]
	v_cvt_f64_f32_e32 v[20:21], v7
	v_cvt_f64_f32_e32 v[8:9], v8
	v_mul_f64 v[18:19], -v[12:13], v[20:21]
	v_mul_f64 v[20:21], v[10:11], v[20:21]
	v_fmac_f64_e32 v[18:19], v[10:11], v[8:9]
	v_fmac_f64_e32 v[20:21], v[12:13], v[8:9]
	ds_write_b128 v6, v[18:21]
	v_add_u32_e32 v6, 0x1000, v6
	s_andn2_b64 exec, exec, s[44:45]
	s_cbranch_execnz .LBB113_61
.LBB113_62:
	s_or_b64 exec, exec, s[42:43]
                                        ; implicit-def: $vgpr12_vgpr13
                                        ; implicit-def: $vgpr10_vgpr11
	s_andn2_saveexec_b64 s[6:7], s[6:7]
	s_cbranch_execz .LBB113_58
.LBB113_63:
	v_lshlrev_b64 v[2:3], 3, v[14:15]
	v_mov_b32_e32 v4, s25
	v_add_co_u32_e32 v2, vcc, s24, v2
	v_addc_co_u32_e32 v3, vcc, v4, v3, vcc
	s_movk_i32 s8, 0x1000
	global_load_dwordx2 v[4:5], v[2:3], off
	global_load_dwordx2 v[6:7], v[2:3], off offset:2048
	v_add_co_u32_e32 v2, vcc, s8, v2
	v_addc_co_u32_e32 v3, vcc, 0, v3, vcc
	global_load_dwordx2 v[8:9], v[2:3], off
	global_load_dwordx2 v[18:19], v[2:3], off offset:2048
	s_waitcnt vmcnt(3)
	v_cndmask_b32_e64 v2, v5, -v5, s[40:41]
	s_waitcnt vmcnt(2)
	v_cndmask_b32_e64 v3, v7, -v7, s[40:41]
	v_cvt_f64_f32_e32 v[20:21], v4
	v_cvt_f64_f32_e32 v[4:5], v2
	;; [unrolled: 1-line block ×3, first 2 shown]
	s_waitcnt vmcnt(1)
	v_cndmask_b32_e64 v27, v9, -v9, s[40:41]
	v_cvt_f64_f32_e32 v[22:23], v6
	v_cvt_f64_f32_e32 v[28:29], v8
	s_waitcnt vmcnt(0)
	v_cndmask_b32_e64 v19, v19, -v19, s[40:41]
	v_mul_f64 v[2:3], -v[12:13], v[4:5]
	v_mul_f64 v[4:5], v[10:11], v[4:5]
	v_mul_f64 v[6:7], -v[12:13], v[24:25]
	v_mul_f64 v[8:9], v[10:11], v[24:25]
	v_cvt_f64_f32_e32 v[24:25], v27
	v_cvt_f64_f32_e32 v[30:31], v18
	;; [unrolled: 1-line block ×3, first 2 shown]
	v_fmac_f64_e32 v[2:3], v[10:11], v[20:21]
	v_fmac_f64_e32 v[4:5], v[12:13], v[20:21]
	v_mul_f64 v[18:19], -v[12:13], v[24:25]
	v_mul_f64 v[20:21], v[10:11], v[24:25]
	v_fmac_f64_e32 v[6:7], v[10:11], v[22:23]
	v_fmac_f64_e32 v[8:9], v[12:13], v[22:23]
	v_mul_f64 v[22:23], -v[12:13], v[32:33]
	v_mul_f64 v[24:25], v[10:11], v[32:33]
	v_fmac_f64_e32 v[18:19], v[10:11], v[28:29]
	v_fmac_f64_e32 v[20:21], v[12:13], v[28:29]
	ds_write_b128 v26, v[2:5]
	ds_write_b128 v26, v[6:9] offset:4096
	v_fmac_f64_e32 v[22:23], v[10:11], v[30:31]
	v_fmac_f64_e32 v[24:25], v[12:13], v[30:31]
	ds_write_b128 v26, v[18:21] offset:8192
	ds_write_b128 v26, v[22:25] offset:12288
	s_or_b64 exec, exec, s[6:7]
	v_cmp_gt_i64_e32 vcc, s[10:11], v[0:1]
	s_and_saveexec_b64 s[6:7], vcc
	s_cbranch_execz .LBB113_66
.LBB113_64:
	s_mov_b32 s24, 0
	v_mov_b32_e32 v2, 0x4000
	s_mov_b32 s25, s24
	s_mov_b32 s40, s24
	;; [unrolled: 1-line block ×3, first 2 shown]
	v_lshl_add_u32 v8, v0, 4, v2
	s_mov_b64 s[8:9], 0
	v_pk_mov_b32 v[2:3], s[24:25], s[24:25] op_sel:[0,1]
	v_pk_mov_b32 v[4:5], s[40:41], s[40:41] op_sel:[0,1]
	;; [unrolled: 1-line block ×3, first 2 shown]
.LBB113_65:                             ; =>This Inner Loop Header: Depth=1
	v_add_co_u32_e32 v6, vcc, 0x100, v6
	v_addc_co_u32_e32 v7, vcc, 0, v7, vcc
	v_cmp_le_i64_e32 vcc, s[10:11], v[6:7]
	ds_write2_b64 v8, v[2:3], v[4:5] offset1:1
	s_or_b64 s[8:9], vcc, s[8:9]
	v_add_u32_e32 v8, 0x1000, v8
	s_andn2_b64 exec, exec, s[8:9]
	s_cbranch_execnz .LBB113_65
.LBB113_66:
	s_or_b64 exec, exec, s[6:7]
	s_sub_u32 s8, s30, s10
	v_pk_mov_b32 v[2:3], s[10:11], s[10:11] op_sel:[0,1]
	s_subb_u32 s9, s31, s11
	v_cmp_ge_i64_e32 vcc, s[30:31], v[2:3]
	s_and_b64 s[6:7], vcc, exec
	s_cselect_b32 s9, s9, 0
	s_cselect_b32 s8, s8, 0
	s_waitcnt lgkmcnt(0)
	s_barrier
	s_and_saveexec_b64 s[6:7], s[4:5]
	s_xor_b64 s[24:25], exec, s[6:7]
	s_cbranch_execz .LBB113_87
; %bb.67:
	s_lshl_b64 s[4:5], s[30:31], 3
	s_add_u32 s4, s20, s4
	s_addc_u32 s5, s21, s5
	s_load_dwordx2 s[4:5], s[4:5], 0x0
	s_waitcnt lgkmcnt(0)
	s_sub_u32 s40, s4, s12
	s_subb_u32 s41, s5, s13
	v_cmp_gt_i64_e32 vcc, s[40:41], v[0:1]
	s_and_saveexec_b64 s[42:43], vcc
	s_cbranch_execz .LBB113_86
; %bb.68:
	s_add_u32 s44, s30, -1
	s_addc_u32 s45, s31, -1
	s_add_u32 s6, s30, -2
	s_addc_u32 s7, s31, -1
	v_pk_mov_b32 v[2:3], s[28:29], s[28:29] op_sel:[0,1]
	s_cmp_lg_u64 s[6:7], s[28:29]
	v_cmp_gt_i64_e32 vcc, s[44:45], v[2:3]
	s_cselect_b64 s[6:7], -1, 0
	s_and_b64 s[6:7], vcc, s[6:7]
	s_sub_u32 s46, s4, s36
	v_cndmask_b32_e64 v2, 0, 1, s[6:7]
	s_subb_u32 s47, s5, 0
	s_mov_b64 s[48:49], 0
	v_cmp_ne_u32_e64 s[4:5], 1, v2
	v_mov_b32_e32 v24, s21
	v_mov_b32_e32 v25, s33
	;; [unrolled: 1-line block ×4, first 2 shown]
	s_mov_b64 s[50:51], 0
	s_branch .LBB113_71
.LBB113_69:                             ;   in Loop: Header=BB113_71 Depth=1
	s_or_b64 exec, exec, s[6:7]
.LBB113_70:                             ;   in Loop: Header=BB113_71 Depth=1
	s_or_b64 exec, exec, s[52:53]
	v_lshlrev_b64 v[6:7], 4, v[16:17]
	v_mov_b32_e32 v8, s27
	v_add_co_u32_e32 v6, vcc, s26, v6
	v_addc_co_u32_e32 v7, vcc, v8, v7, vcc
	global_load_dwordx4 v[6:9], v[6:7], off
	s_add_u32 s50, s50, 0x100
	s_addc_u32 s51, s51, 0
	v_mov_b32_e32 v11, s51
	v_add_co_u32_e32 v10, vcc, s50, v0
	v_addc_co_u32_e32 v11, vcc, 0, v11, vcc
	v_cmp_le_i64_e32 vcc, s[40:41], v[10:11]
	v_lshlrev_b32_e32 v16, 4, v29
	s_or_b64 s[48:49], vcc, s[48:49]
	s_waitcnt vmcnt(0)
	v_mul_f64 v[10:11], v[8:9], v[18:19]
	v_mul_f64 v[12:13], v[8:9], v[2:3]
	v_fmac_f64_e32 v[10:11], v[2:3], v[6:7]
	v_fmac_f64_e32 v[12:13], v[4:5], v[6:7]
	ds_write_b128 v16, v[10:13]
	s_andn2_b64 exec, exec, s[48:49]
	s_cbranch_execz .LBB113_86
.LBB113_71:                             ; =>This Loop Header: Depth=1
                                        ;     Child Loop BB113_73 Depth 2
                                        ;     Child Loop BB113_80 Depth 2
	;; [unrolled: 1-line block ×3, first 2 shown]
	v_mov_b32_e32 v3, s51
	v_add_co_u32_e32 v2, vcc, s50, v14
	v_addc_co_u32_e32 v3, vcc, v3, v15, vcc
	s_and_b64 vcc, exec, s[4:5]
	v_pk_mov_b32 v[4:5], s[28:29], s[28:29] op_sel:[0,1]
	v_pk_mov_b32 v[6:7], s[44:45], s[44:45] op_sel:[0,1]
	s_cbranch_vccnz .LBB113_75
; %bb.72:                               ;   in Loop: Header=BB113_71 Depth=1
	s_mov_b64 s[52:53], 0
	v_pk_mov_b32 v[4:5], s[28:29], s[28:29] op_sel:[0,1]
	v_pk_mov_b32 v[6:7], s[44:45], s[44:45] op_sel:[0,1]
.LBB113_73:                             ;   Parent Loop BB113_71 Depth=1
                                        ; =>  This Inner Loop Header: Depth=2
	v_add_co_u32_e32 v8, vcc, v6, v4
	v_addc_co_u32_e32 v9, vcc, v7, v5, vcc
	v_lshrrev_b32_e32 v10, 31, v9
	v_add_co_u32_e32 v8, vcc, v8, v10
	v_addc_co_u32_e32 v9, vcc, 0, v9, vcc
	v_ashrrev_i64 v[8:9], 1, v[8:9]
	v_lshlrev_b64 v[10:11], 3, v[8:9]
	v_mov_b32_e32 v12, s21
	v_add_co_u32_e32 v10, vcc, s20, v10
	v_addc_co_u32_e32 v11, vcc, v12, v11, vcc
	global_load_dwordx2 v[10:11], v[10:11], off
	v_mov_b32_e32 v12, s33
	s_waitcnt vmcnt(0)
	v_subrev_co_u32_e32 v10, vcc, s36, v10
	v_subb_co_u32_e32 v11, vcc, v11, v12, vcc
	v_cmp_gt_i64_e32 vcc, v[10:11], v[2:3]
	v_cndmask_b32_e32 v6, v6, v8, vcc
	v_cndmask_b32_e32 v7, v7, v9, vcc
	;; [unrolled: 1-line block ×3, first 2 shown]
	v_add_co_u32_e64 v8, s[6:7], -1, v6
	v_cndmask_b32_e32 v5, v9, v5, vcc
	v_addc_co_u32_e64 v9, s[6:7], -1, v7, s[6:7]
	v_cmp_ge_i64_e32 vcc, v[4:5], v[6:7]
	v_cmp_eq_u64_e64 s[6:7], v[4:5], v[8:9]
	s_or_b64 s[6:7], vcc, s[6:7]
	s_and_b64 s[6:7], exec, s[6:7]
	s_or_b64 s[52:53], s[6:7], s[52:53]
	s_andn2_b64 exec, exec, s[52:53]
	s_cbranch_execnz .LBB113_73
; %bb.74:                               ;   in Loop: Header=BB113_71 Depth=1
	s_or_b64 exec, exec, s[52:53]
.LBB113_75:                             ;   in Loop: Header=BB113_71 Depth=1
	v_lshlrev_b64 v[8:9], 3, v[6:7]
	v_add_co_u32_e32 v8, vcc, s20, v8
	v_addc_co_u32_e32 v9, vcc, v24, v9, vcc
	v_lshlrev_b64 v[10:11], 2, v[2:3]
	global_load_dwordx2 v[8:9], v[8:9], off
	v_add_co_u32_e32 v10, vcc, s22, v10
	v_addc_co_u32_e32 v11, vcc, v27, v11, vcc
	global_load_dword v10, v[10:11], off
	v_add_co_u32_e32 v29, vcc, s50, v0
	v_cmp_le_i64_e32 vcc, s[46:47], v[2:3]
                                        ; implicit-def: $vgpr18_vgpr19
	s_waitcnt vmcnt(1)
	v_subrev_co_u32_e64 v8, s[6:7], s36, v8
	v_subb_co_u32_e64 v9, s[6:7], v9, v25, s[6:7]
	v_cmp_gt_i64_e64 s[6:7], v[8:9], v[2:3]
	s_waitcnt vmcnt(0)
	v_subrev_u32_e32 v16, s36, v10
	v_cndmask_b32_e64 v7, v7, v5, s[6:7]
	v_ashrrev_i32_e32 v17, 31, v16
	v_cndmask_b32_e64 v6, v6, v4, s[6:7]
	v_cmp_eq_u64_e64 s[6:7], v[6:7], v[16:17]
	s_or_b64 s[6:7], s[6:7], vcc
	v_lshlrev_b32_e32 v10, 4, v29
                                        ; implicit-def: $vgpr2_vgpr3
	s_and_saveexec_b64 s[52:53], s[6:7]
	s_xor_b64 s[6:7], exec, s[52:53]
	s_cbranch_execz .LBB113_77
; %bb.76:                               ;   in Loop: Header=BB113_71 Depth=1
	ds_read_b128 v[2:5], v10
                                        ; implicit-def: $vgpr10
                                        ; implicit-def: $vgpr6_vgpr7
	s_waitcnt lgkmcnt(0)
	v_xor_b32_e32 v19, 0x80000000, v5
	v_mov_b32_e32 v18, v4
.LBB113_77:                             ;   in Loop: Header=BB113_71 Depth=1
	s_andn2_saveexec_b64 s[52:53], s[6:7]
	s_cbranch_execz .LBB113_70
; %bb.78:                               ;   in Loop: Header=BB113_71 Depth=1
	v_cmp_gt_i64_e32 vcc, s[8:9], v[16:17]
	v_cmp_le_i64_e64 s[6:7], s[30:31], v[16:17]
	s_or_b64 s[6:7], vcc, s[6:7]
	v_lshlrev_b64 v[6:7], 4, v[6:7]
                                        ; implicit-def: $vgpr2_vgpr3
                                        ; implicit-def: $vgpr18_vgpr19
	s_and_saveexec_b64 s[54:55], s[6:7]
	s_xor_b64 s[6:7], exec, s[54:55]
	s_cbranch_execz .LBB113_84
; %bb.79:                               ;   in Loop: Header=BB113_71 Depth=1
	v_mov_b32_e32 v5, s27
	v_add_co_u32_e32 v4, vcc, s26, v6
	v_lshlrev_b64 v[2:3], 4, v[16:17]
	v_addc_co_u32_e32 v5, vcc, v5, v7, vcc
	v_mov_b32_e32 v11, s19
	global_load_dwordx4 v[6:9], v[4:5], off
	v_add_co_u32_e32 v20, vcc, s18, v2
	v_addc_co_u32_e32 v21, vcc, v11, v3, vcc
	global_load_dwordx2 v[12:13], v[20:21], off
	ds_read_b128 v[2:5], v10
	s_mov_b64 s[54:55], 0
	s_waitcnt lgkmcnt(0)
	v_xor_b32_e32 v19, 0x80000000, v5
	v_mov_b32_e32 v18, v4
	s_waitcnt vmcnt(1)
	v_mul_f64 v[22:23], v[8:9], -v[4:5]
	v_fmac_f64_e32 v[22:23], v[2:3], v[6:7]
.LBB113_80:                             ;   Parent Loop BB113_71 Depth=1
                                        ; =>  This Inner Loop Header: Depth=2
	s_waitcnt vmcnt(0)
	v_add_f64 v[10:11], v[12:13], v[22:23]
	global_atomic_cmpswap_x2 v[10:11], v[20:21], v[10:13], off glc
	s_waitcnt vmcnt(0)
	v_cmp_eq_u64_e32 vcc, v[10:11], v[12:13]
	s_or_b64 s[54:55], vcc, s[54:55]
	v_pk_mov_b32 v[12:13], v[10:11], v[10:11] op_sel:[0,1]
	s_andn2_b64 exec, exec, s[54:55]
	s_cbranch_execnz .LBB113_80
; %bb.81:                               ;   in Loop: Header=BB113_71 Depth=1
	s_or_b64 exec, exec, s[54:55]
	global_load_dwordx2 v[10:11], v[20:21], off offset:8
	v_mul_f64 v[12:13], v[8:9], v[2:3]
	v_fmac_f64_e32 v[12:13], v[4:5], v[6:7]
	s_mov_b64 s[54:55], 0
.LBB113_82:                             ;   Parent Loop BB113_71 Depth=1
                                        ; =>  This Inner Loop Header: Depth=2
	s_waitcnt vmcnt(0)
	v_add_f64 v[8:9], v[10:11], v[12:13]
	global_atomic_cmpswap_x2 v[6:7], v[20:21], v[8:11], off offset:8 glc
	s_waitcnt vmcnt(0)
	v_cmp_eq_u64_e32 vcc, v[6:7], v[10:11]
	s_or_b64 s[54:55], vcc, s[54:55]
	v_pk_mov_b32 v[10:11], v[6:7], v[6:7] op_sel:[0,1]
	s_andn2_b64 exec, exec, s[54:55]
	s_cbranch_execnz .LBB113_82
; %bb.83:                               ;   in Loop: Header=BB113_71 Depth=1
	s_or_b64 exec, exec, s[54:55]
                                        ; implicit-def: $vgpr6_vgpr7
                                        ; implicit-def: $vgpr10
.LBB113_84:                             ;   in Loop: Header=BB113_71 Depth=1
	s_andn2_saveexec_b64 s[6:7], s[6:7]
	s_cbranch_execz .LBB113_69
; %bb.85:                               ;   in Loop: Header=BB113_71 Depth=1
	v_mov_b32_e32 v3, s27
	v_add_co_u32_e32 v2, vcc, s26, v6
	v_addc_co_u32_e32 v3, vcc, v3, v7, vcc
	global_load_dwordx4 v[6:9], v[2:3], off
	ds_read_b128 v[2:5], v10
	v_subrev_u32_e32 v10, s8, v16
	v_lshl_add_u32 v12, v10, 4, v28
	s_waitcnt lgkmcnt(0)
	v_xor_b32_e32 v19, 0x80000000, v5
	v_mov_b32_e32 v18, v4
	s_waitcnt vmcnt(0)
	v_mul_f64 v[10:11], v[8:9], -v[4:5]
	v_mul_f64 v[8:9], v[8:9], v[2:3]
	v_fmac_f64_e32 v[10:11], v[2:3], v[6:7]
	v_fmac_f64_e32 v[8:9], v[4:5], v[6:7]
	ds_add_f64 v12, v[10:11]
	ds_add_f64 v12, v[8:9] offset:8
	s_branch .LBB113_69
.LBB113_86:
	s_or_b64 exec, exec, s[42:43]
                                        ; implicit-def: $vgpr16_vgpr17
                                        ; implicit-def: $vgpr14
.LBB113_87:
	s_andn2_saveexec_b64 s[24:25], s[24:25]
	s_cbranch_execz .LBB113_145
; %bb.88:
	s_add_u32 s40, s30, -1
	s_addc_u32 s41, s31, -1
	s_add_u32 s4, s30, -2
	s_addc_u32 s5, s31, -1
	v_pk_mov_b32 v[2:3], s[28:29], s[28:29] op_sel:[0,1]
	s_cmp_eq_u64 s[4:5], s[28:29]
	v_cmp_le_i64_e32 vcc, s[40:41], v[2:3]
	s_cselect_b64 s[4:5], -1, 0
	s_or_b64 s[6:7], vcc, s[4:5]
	s_and_b64 vcc, exec, s[6:7]
	v_pk_mov_b32 v[4:5], s[40:41], s[40:41] op_sel:[0,1]
	s_cbranch_vccnz .LBB113_92
; %bb.89:
	s_mov_b64 s[42:43], 0
	v_pk_mov_b32 v[2:3], s[28:29], s[28:29] op_sel:[0,1]
	v_pk_mov_b32 v[4:5], s[40:41], s[40:41] op_sel:[0,1]
	v_mov_b32_e32 v6, s21
	v_mov_b32_e32 v7, s33
.LBB113_90:                             ; =>This Inner Loop Header: Depth=1
	v_add_co_u32_e32 v8, vcc, v4, v2
	v_addc_co_u32_e32 v9, vcc, v5, v3, vcc
	v_lshrrev_b32_e32 v10, 31, v9
	v_add_co_u32_e32 v8, vcc, v8, v10
	v_addc_co_u32_e32 v9, vcc, 0, v9, vcc
	v_ashrrev_i64 v[8:9], 1, v[8:9]
	v_lshlrev_b64 v[10:11], 3, v[8:9]
	v_add_co_u32_e32 v10, vcc, s20, v10
	v_addc_co_u32_e32 v11, vcc, v6, v11, vcc
	global_load_dwordx2 v[10:11], v[10:11], off
	s_waitcnt vmcnt(0)
	v_subrev_co_u32_e32 v10, vcc, s36, v10
	v_subb_co_u32_e32 v11, vcc, v11, v7, vcc
	v_cmp_gt_i64_e32 vcc, v[10:11], v[14:15]
	v_cndmask_b32_e32 v4, v4, v8, vcc
	v_cndmask_b32_e32 v5, v5, v9, vcc
	;; [unrolled: 1-line block ×3, first 2 shown]
	v_add_co_u32_e64 v8, s[4:5], -1, v4
	v_cndmask_b32_e32 v3, v9, v3, vcc
	v_addc_co_u32_e64 v9, s[4:5], -1, v5, s[4:5]
	v_cmp_ge_i64_e32 vcc, v[2:3], v[4:5]
	v_cmp_eq_u64_e64 s[4:5], v[2:3], v[8:9]
	s_or_b64 s[4:5], vcc, s[4:5]
	s_and_b64 s[4:5], exec, s[4:5]
	s_or_b64 s[42:43], s[4:5], s[42:43]
	s_andn2_b64 exec, exec, s[42:43]
	s_cbranch_execnz .LBB113_90
; %bb.91:
	s_or_b64 exec, exec, s[42:43]
.LBB113_92:
	v_lshlrev_b64 v[6:7], 3, v[4:5]
	v_mov_b32_e32 v8, s21
	v_add_co_u32_e32 v6, vcc, s20, v6
	v_addc_co_u32_e32 v7, vcc, v8, v7, vcc
	v_lshlrev_b64 v[8:9], 2, v[14:15]
	global_load_dwordx2 v[6:7], v[6:7], off
	v_mov_b32_e32 v10, s23
	v_add_co_u32_e32 v18, vcc, s22, v8
	v_addc_co_u32_e32 v19, vcc, v10, v9, vcc
	global_load_dword v8, v[18:19], off
	v_mov_b32_e32 v9, s33
	s_xor_b64 s[6:7], s[6:7], -1
	s_lshl_b64 s[4:5], s[30:31], 3
	s_add_u32 s22, s20, s4
	s_addc_u32 s23, s21, s5
	s_waitcnt vmcnt(1)
	v_subrev_co_u32_e32 v6, vcc, s36, v6
	v_subb_co_u32_e32 v7, vcc, v7, v9, vcc
	v_cmp_gt_i64_e32 vcc, v[6:7], v[14:15]
	v_cndmask_b32_e32 v3, v5, v3, vcc
	s_waitcnt vmcnt(0)
	v_subrev_u32_e32 v20, s36, v8
	v_cndmask_b32_e32 v2, v4, v2, vcc
	v_ashrrev_i32_e32 v21, 31, v20
	v_cmp_ne_u64_e32 vcc, v[2:3], v[20:21]
	s_and_saveexec_b64 s[42:43], vcc
	s_cbranch_execz .LBB113_102
; %bb.93:
	s_load_dwordx2 s[4:5], s[22:23], 0x0
	s_waitcnt lgkmcnt(0)
	s_sub_u32 s4, s4, s36
	s_subb_u32 s5, s5, 0
	v_cmp_gt_i64_e32 vcc, s[4:5], v[14:15]
	s_and_b64 exec, exec, vcc
	s_cbranch_execz .LBB113_102
; %bb.94:
	v_cmp_gt_i64_e32 vcc, s[8:9], v[20:21]
	v_cmp_le_i64_e64 s[4:5], s[30:31], v[20:21]
	s_or_b64 s[4:5], vcc, s[4:5]
	v_lshlrev_b64 v[2:3], 4, v[2:3]
	s_and_saveexec_b64 s[44:45], s[4:5]
	s_xor_b64 s[4:5], exec, s[44:45]
	s_cbranch_execz .LBB113_100
; %bb.95:
	v_mov_b32_e32 v4, s27
	v_add_co_u32_e32 v2, vcc, s26, v2
	v_lshlrev_b64 v[6:7], 4, v[20:21]
	v_addc_co_u32_e32 v3, vcc, v4, v3, vcc
	v_mov_b32_e32 v8, s19
	global_load_dwordx4 v[2:5], v[2:3], off
	v_add_co_u32_e32 v22, vcc, s18, v6
	v_addc_co_u32_e32 v23, vcc, v8, v7, vcc
	global_load_dwordx2 v[12:13], v[22:23], off
	ds_read_b128 v[6:9], v26
	s_mov_b64 s[44:45], 0
	s_waitcnt vmcnt(1) lgkmcnt(0)
	v_mul_f64 v[24:25], v[4:5], -v[8:9]
	v_fmac_f64_e32 v[24:25], v[6:7], v[2:3]
.LBB113_96:                             ; =>This Inner Loop Header: Depth=1
	s_waitcnt vmcnt(0)
	v_add_f64 v[10:11], v[12:13], v[24:25]
	global_atomic_cmpswap_x2 v[10:11], v[22:23], v[10:13], off glc
	s_waitcnt vmcnt(0)
	v_cmp_eq_u64_e32 vcc, v[10:11], v[12:13]
	s_or_b64 s[44:45], vcc, s[44:45]
	v_pk_mov_b32 v[12:13], v[10:11], v[10:11] op_sel:[0,1]
	s_andn2_b64 exec, exec, s[44:45]
	s_cbranch_execnz .LBB113_96
; %bb.97:
	s_or_b64 exec, exec, s[44:45]
	global_load_dwordx2 v[10:11], v[22:23], off offset:8
	v_mul_f64 v[4:5], v[4:5], v[6:7]
	v_fmac_f64_e32 v[4:5], v[8:9], v[2:3]
	s_mov_b64 s[44:45], 0
.LBB113_98:                             ; =>This Inner Loop Header: Depth=1
	s_waitcnt vmcnt(0)
	v_add_f64 v[8:9], v[10:11], v[4:5]
	global_atomic_cmpswap_x2 v[2:3], v[22:23], v[8:11], off offset:8 glc
	s_waitcnt vmcnt(0)
	v_cmp_eq_u64_e32 vcc, v[2:3], v[10:11]
	s_or_b64 s[44:45], vcc, s[44:45]
	v_pk_mov_b32 v[10:11], v[2:3], v[2:3] op_sel:[0,1]
	s_andn2_b64 exec, exec, s[44:45]
	s_cbranch_execnz .LBB113_98
; %bb.99:
	s_or_b64 exec, exec, s[44:45]
                                        ; implicit-def: $vgpr2_vgpr3
.LBB113_100:
	s_andn2_saveexec_b64 s[4:5], s[4:5]
	s_cbranch_execz .LBB113_102
; %bb.101:
	v_mov_b32_e32 v4, s27
	v_add_co_u32_e32 v2, vcc, s26, v2
	v_addc_co_u32_e32 v3, vcc, v4, v3, vcc
	global_load_dwordx4 v[2:5], v[2:3], off
	ds_read_b128 v[6:9], v26
	v_subrev_u32_e32 v10, s8, v20
	v_mov_b32_e32 v11, 0x4000
	v_lshl_add_u32 v12, v10, 4, v11
	s_waitcnt vmcnt(0) lgkmcnt(0)
	v_mul_f64 v[10:11], v[4:5], -v[8:9]
	v_mul_f64 v[4:5], v[4:5], v[6:7]
	v_fmac_f64_e32 v[10:11], v[6:7], v[2:3]
	v_fmac_f64_e32 v[4:5], v[8:9], v[2:3]
	ds_add_f64 v12, v[10:11]
	ds_add_f64 v12, v[4:5] offset:8
.LBB113_102:
	s_or_b64 exec, exec, s[42:43]
	v_lshlrev_b64 v[2:3], 4, v[20:21]
	v_mov_b32_e32 v4, s27
	v_add_co_u32_e32 v2, vcc, s26, v2
	v_addc_co_u32_e32 v3, vcc, v4, v3, vcc
	global_load_dwordx4 v[6:9], v[2:3], off
	ds_read_b128 v[10:13], v26
	v_add_co_u32_e32 v2, vcc, 0x100, v14
	v_cndmask_b32_e64 v20, 0, 1, s[6:7]
	v_addc_co_u32_e32 v3, vcc, 0, v15, vcc
	v_cmp_ne_u32_e64 s[4:5], 1, v20
	v_pk_mov_b32 v[4:5], s[28:29], s[28:29] op_sel:[0,1]
	s_andn2_b64 vcc, exec, s[6:7]
	s_waitcnt vmcnt(0) lgkmcnt(0)
	v_mul_f64 v[20:21], v[8:9], -v[12:13]
	v_mul_f64 v[22:23], v[8:9], v[10:11]
	v_fmac_f64_e32 v[20:21], v[10:11], v[6:7]
	v_fmac_f64_e32 v[22:23], v[12:13], v[6:7]
	v_pk_mov_b32 v[6:7], s[40:41], s[40:41] op_sel:[0,1]
	ds_write_b128 v26, v[20:23]
	s_cbranch_vccnz .LBB113_106
; %bb.103:
	s_mov_b64 s[42:43], 0
	v_pk_mov_b32 v[4:5], s[28:29], s[28:29] op_sel:[0,1]
	v_pk_mov_b32 v[6:7], s[40:41], s[40:41] op_sel:[0,1]
	v_mov_b32_e32 v8, s21
	v_mov_b32_e32 v9, s33
.LBB113_104:                            ; =>This Inner Loop Header: Depth=1
	v_add_co_u32_e32 v10, vcc, v6, v4
	v_addc_co_u32_e32 v11, vcc, v7, v5, vcc
	v_lshrrev_b32_e32 v12, 31, v11
	v_add_co_u32_e32 v10, vcc, v10, v12
	v_addc_co_u32_e32 v11, vcc, 0, v11, vcc
	v_ashrrev_i64 v[10:11], 1, v[10:11]
	v_lshlrev_b64 v[12:13], 3, v[10:11]
	v_add_co_u32_e32 v12, vcc, s20, v12
	v_addc_co_u32_e32 v13, vcc, v8, v13, vcc
	global_load_dwordx2 v[12:13], v[12:13], off
	s_waitcnt vmcnt(0)
	v_subrev_co_u32_e32 v12, vcc, s36, v12
	v_subb_co_u32_e32 v13, vcc, v13, v9, vcc
	v_cmp_gt_i64_e32 vcc, v[12:13], v[2:3]
	v_cndmask_b32_e32 v6, v6, v10, vcc
	v_cndmask_b32_e32 v7, v7, v11, vcc
	;; [unrolled: 1-line block ×3, first 2 shown]
	v_add_co_u32_e64 v10, s[6:7], -1, v6
	v_cndmask_b32_e32 v5, v11, v5, vcc
	v_addc_co_u32_e64 v11, s[6:7], -1, v7, s[6:7]
	v_cmp_ge_i64_e32 vcc, v[4:5], v[6:7]
	v_cmp_eq_u64_e64 s[6:7], v[4:5], v[10:11]
	s_or_b64 s[6:7], vcc, s[6:7]
	s_and_b64 s[6:7], exec, s[6:7]
	s_or_b64 s[42:43], s[6:7], s[42:43]
	s_andn2_b64 exec, exec, s[42:43]
	s_cbranch_execnz .LBB113_104
; %bb.105:
	s_or_b64 exec, exec, s[42:43]
.LBB113_106:
	v_lshlrev_b64 v[8:9], 3, v[6:7]
	v_mov_b32_e32 v10, s21
	v_add_co_u32_e32 v8, vcc, s20, v8
	v_addc_co_u32_e32 v9, vcc, v10, v9, vcc
	global_load_dwordx2 v[8:9], v[8:9], off
	v_mov_b32_e32 v10, s33
	global_load_dword v11, v[18:19], off offset:1024
	s_waitcnt vmcnt(1)
	v_subrev_co_u32_e32 v8, vcc, s36, v8
	v_subb_co_u32_e32 v9, vcc, v9, v10, vcc
	s_waitcnt vmcnt(0)
	v_subrev_u32_e32 v20, s36, v11
	v_cmp_gt_i64_e32 vcc, v[8:9], v[2:3]
	v_cndmask_b32_e32 v5, v7, v5, vcc
	v_cndmask_b32_e32 v4, v6, v4, vcc
	v_ashrrev_i32_e32 v21, 31, v20
	v_cmp_ne_u64_e32 vcc, v[4:5], v[20:21]
	s_and_saveexec_b64 s[42:43], vcc
	s_cbranch_execz .LBB113_116
; %bb.107:
	s_load_dwordx2 s[6:7], s[22:23], 0x0
	s_waitcnt lgkmcnt(0)
	s_sub_u32 s6, s6, s36
	s_subb_u32 s7, s7, 0
	v_cmp_gt_i64_e32 vcc, s[6:7], v[2:3]
	s_and_b64 exec, exec, vcc
	s_cbranch_execz .LBB113_116
; %bb.108:
	v_cmp_gt_i64_e32 vcc, s[8:9], v[20:21]
	v_cmp_le_i64_e64 s[6:7], s[30:31], v[20:21]
	s_or_b64 s[6:7], vcc, s[6:7]
	v_lshlrev_b64 v[2:3], 4, v[4:5]
	s_and_saveexec_b64 s[44:45], s[6:7]
	s_xor_b64 s[6:7], exec, s[44:45]
	s_cbranch_execz .LBB113_114
; %bb.109:
	v_mov_b32_e32 v4, s27
	v_add_co_u32_e32 v2, vcc, s26, v2
	v_lshlrev_b64 v[6:7], 4, v[20:21]
	v_addc_co_u32_e32 v3, vcc, v4, v3, vcc
	v_mov_b32_e32 v8, s19
	global_load_dwordx4 v[2:5], v[2:3], off
	v_add_co_u32_e32 v22, vcc, s18, v6
	v_addc_co_u32_e32 v23, vcc, v8, v7, vcc
	global_load_dwordx2 v[12:13], v[22:23], off
	ds_read_b128 v[6:9], v26 offset:4096
	s_mov_b64 s[44:45], 0
	s_waitcnt vmcnt(1) lgkmcnt(0)
	v_mul_f64 v[24:25], v[4:5], -v[8:9]
	v_fmac_f64_e32 v[24:25], v[6:7], v[2:3]
.LBB113_110:                            ; =>This Inner Loop Header: Depth=1
	s_waitcnt vmcnt(0)
	v_add_f64 v[10:11], v[12:13], v[24:25]
	global_atomic_cmpswap_x2 v[10:11], v[22:23], v[10:13], off glc
	s_waitcnt vmcnt(0)
	v_cmp_eq_u64_e32 vcc, v[10:11], v[12:13]
	s_or_b64 s[44:45], vcc, s[44:45]
	v_pk_mov_b32 v[12:13], v[10:11], v[10:11] op_sel:[0,1]
	s_andn2_b64 exec, exec, s[44:45]
	s_cbranch_execnz .LBB113_110
; %bb.111:
	s_or_b64 exec, exec, s[44:45]
	global_load_dwordx2 v[10:11], v[22:23], off offset:8
	v_mul_f64 v[4:5], v[4:5], v[6:7]
	v_fmac_f64_e32 v[4:5], v[8:9], v[2:3]
	s_mov_b64 s[44:45], 0
.LBB113_112:                            ; =>This Inner Loop Header: Depth=1
	s_waitcnt vmcnt(0)
	v_add_f64 v[8:9], v[10:11], v[4:5]
	global_atomic_cmpswap_x2 v[2:3], v[22:23], v[8:11], off offset:8 glc
	s_waitcnt vmcnt(0)
	v_cmp_eq_u64_e32 vcc, v[2:3], v[10:11]
	s_or_b64 s[44:45], vcc, s[44:45]
	v_pk_mov_b32 v[10:11], v[2:3], v[2:3] op_sel:[0,1]
	s_andn2_b64 exec, exec, s[44:45]
	s_cbranch_execnz .LBB113_112
; %bb.113:
	s_or_b64 exec, exec, s[44:45]
                                        ; implicit-def: $vgpr2_vgpr3
.LBB113_114:
	s_andn2_saveexec_b64 s[6:7], s[6:7]
	s_cbranch_execz .LBB113_116
; %bb.115:
	v_mov_b32_e32 v4, s27
	v_add_co_u32_e32 v2, vcc, s26, v2
	v_addc_co_u32_e32 v3, vcc, v4, v3, vcc
	global_load_dwordx4 v[2:5], v[2:3], off
	ds_read_b128 v[6:9], v26 offset:4096
	v_subrev_u32_e32 v10, s8, v20
	v_mov_b32_e32 v11, 0x4000
	v_lshl_add_u32 v12, v10, 4, v11
	s_waitcnt vmcnt(0) lgkmcnt(0)
	v_mul_f64 v[10:11], v[4:5], -v[8:9]
	v_mul_f64 v[4:5], v[4:5], v[6:7]
	v_fmac_f64_e32 v[10:11], v[6:7], v[2:3]
	v_fmac_f64_e32 v[4:5], v[8:9], v[2:3]
	ds_add_f64 v12, v[10:11]
	ds_add_f64 v12, v[4:5] offset:8
.LBB113_116:
	s_or_b64 exec, exec, s[42:43]
	v_lshlrev_b64 v[2:3], 4, v[20:21]
	v_mov_b32_e32 v4, s27
	v_add_co_u32_e32 v2, vcc, s26, v2
	v_addc_co_u32_e32 v3, vcc, v4, v3, vcc
	global_load_dwordx4 v[6:9], v[2:3], off
	ds_read_b128 v[10:13], v26 offset:4096
	v_add_co_u32_e32 v2, vcc, 0x200, v14
	v_addc_co_u32_e32 v3, vcc, 0, v15, vcc
	v_pk_mov_b32 v[4:5], s[28:29], s[28:29] op_sel:[0,1]
	s_and_b64 vcc, exec, s[4:5]
	s_waitcnt vmcnt(0) lgkmcnt(0)
	v_mul_f64 v[20:21], v[8:9], -v[12:13]
	v_mul_f64 v[22:23], v[8:9], v[10:11]
	v_fmac_f64_e32 v[20:21], v[10:11], v[6:7]
	v_fmac_f64_e32 v[22:23], v[12:13], v[6:7]
	v_pk_mov_b32 v[6:7], s[40:41], s[40:41] op_sel:[0,1]
	ds_write_b128 v26, v[20:23] offset:4096
	s_cbranch_vccnz .LBB113_120
; %bb.117:
	s_mov_b64 s[42:43], 0
	v_pk_mov_b32 v[4:5], s[28:29], s[28:29] op_sel:[0,1]
	v_pk_mov_b32 v[6:7], s[40:41], s[40:41] op_sel:[0,1]
	v_mov_b32_e32 v8, s21
	v_mov_b32_e32 v9, s33
.LBB113_118:                            ; =>This Inner Loop Header: Depth=1
	v_add_co_u32_e32 v10, vcc, v6, v4
	v_addc_co_u32_e32 v11, vcc, v7, v5, vcc
	v_lshrrev_b32_e32 v12, 31, v11
	v_add_co_u32_e32 v10, vcc, v10, v12
	v_addc_co_u32_e32 v11, vcc, 0, v11, vcc
	v_ashrrev_i64 v[10:11], 1, v[10:11]
	v_lshlrev_b64 v[12:13], 3, v[10:11]
	v_add_co_u32_e32 v12, vcc, s20, v12
	v_addc_co_u32_e32 v13, vcc, v8, v13, vcc
	global_load_dwordx2 v[12:13], v[12:13], off
	s_waitcnt vmcnt(0)
	v_subrev_co_u32_e32 v12, vcc, s36, v12
	v_subb_co_u32_e32 v13, vcc, v13, v9, vcc
	v_cmp_gt_i64_e32 vcc, v[12:13], v[2:3]
	v_cndmask_b32_e32 v6, v6, v10, vcc
	v_cndmask_b32_e32 v7, v7, v11, vcc
	;; [unrolled: 1-line block ×3, first 2 shown]
	v_add_co_u32_e64 v10, s[6:7], -1, v6
	v_cndmask_b32_e32 v5, v11, v5, vcc
	v_addc_co_u32_e64 v11, s[6:7], -1, v7, s[6:7]
	v_cmp_ge_i64_e32 vcc, v[4:5], v[6:7]
	v_cmp_eq_u64_e64 s[6:7], v[4:5], v[10:11]
	s_or_b64 s[6:7], vcc, s[6:7]
	s_and_b64 s[6:7], exec, s[6:7]
	s_or_b64 s[42:43], s[6:7], s[42:43]
	s_andn2_b64 exec, exec, s[42:43]
	s_cbranch_execnz .LBB113_118
; %bb.119:
	s_or_b64 exec, exec, s[42:43]
.LBB113_120:
	v_lshlrev_b64 v[8:9], 3, v[6:7]
	v_mov_b32_e32 v10, s21
	v_add_co_u32_e32 v8, vcc, s20, v8
	v_addc_co_u32_e32 v9, vcc, v10, v9, vcc
	global_load_dwordx2 v[8:9], v[8:9], off
	v_mov_b32_e32 v10, s33
	global_load_dword v11, v[18:19], off offset:2048
	s_waitcnt vmcnt(1)
	v_subrev_co_u32_e32 v8, vcc, s36, v8
	v_subb_co_u32_e32 v9, vcc, v9, v10, vcc
	s_waitcnt vmcnt(0)
	v_subrev_u32_e32 v14, s36, v11
	v_cmp_gt_i64_e32 vcc, v[8:9], v[2:3]
	v_cndmask_b32_e32 v5, v7, v5, vcc
	v_cndmask_b32_e32 v4, v6, v4, vcc
	v_ashrrev_i32_e32 v15, 31, v14
	v_cmp_ne_u64_e32 vcc, v[4:5], v[14:15]
	s_and_saveexec_b64 s[42:43], vcc
	s_cbranch_execz .LBB113_130
; %bb.121:
	s_load_dwordx2 s[6:7], s[22:23], 0x0
	s_waitcnt lgkmcnt(0)
	s_sub_u32 s6, s6, s36
	s_subb_u32 s7, s7, 0
	v_cmp_gt_i64_e32 vcc, s[6:7], v[2:3]
	s_and_b64 exec, exec, vcc
	s_cbranch_execz .LBB113_130
; %bb.122:
	v_cmp_gt_i64_e32 vcc, s[8:9], v[14:15]
	v_cmp_le_i64_e64 s[6:7], s[30:31], v[14:15]
	s_or_b64 s[6:7], vcc, s[6:7]
	v_lshlrev_b64 v[2:3], 4, v[4:5]
	s_and_saveexec_b64 s[44:45], s[6:7]
	s_xor_b64 s[6:7], exec, s[44:45]
	s_cbranch_execz .LBB113_128
; %bb.123:
	v_mov_b32_e32 v4, s27
	v_add_co_u32_e32 v2, vcc, s26, v2
	v_lshlrev_b64 v[6:7], 4, v[14:15]
	v_addc_co_u32_e32 v3, vcc, v4, v3, vcc
	v_mov_b32_e32 v8, s19
	global_load_dwordx4 v[2:5], v[2:3], off
	v_add_co_u32_e32 v20, vcc, s18, v6
	v_addc_co_u32_e32 v21, vcc, v8, v7, vcc
	global_load_dwordx2 v[12:13], v[20:21], off
	ds_read_b128 v[6:9], v26 offset:8192
	s_mov_b64 s[44:45], 0
	s_waitcnt vmcnt(1) lgkmcnt(0)
	v_mul_f64 v[22:23], v[4:5], -v[8:9]
	v_fmac_f64_e32 v[22:23], v[6:7], v[2:3]
.LBB113_124:                            ; =>This Inner Loop Header: Depth=1
	s_waitcnt vmcnt(0)
	v_add_f64 v[10:11], v[12:13], v[22:23]
	global_atomic_cmpswap_x2 v[10:11], v[20:21], v[10:13], off glc
	s_waitcnt vmcnt(0)
	v_cmp_eq_u64_e32 vcc, v[10:11], v[12:13]
	s_or_b64 s[44:45], vcc, s[44:45]
	v_pk_mov_b32 v[12:13], v[10:11], v[10:11] op_sel:[0,1]
	s_andn2_b64 exec, exec, s[44:45]
	s_cbranch_execnz .LBB113_124
; %bb.125:
	s_or_b64 exec, exec, s[44:45]
	global_load_dwordx2 v[10:11], v[20:21], off offset:8
	v_mul_f64 v[4:5], v[4:5], v[6:7]
	v_fmac_f64_e32 v[4:5], v[8:9], v[2:3]
	s_mov_b64 s[44:45], 0
.LBB113_126:                            ; =>This Inner Loop Header: Depth=1
	s_waitcnt vmcnt(0)
	v_add_f64 v[8:9], v[10:11], v[4:5]
	global_atomic_cmpswap_x2 v[2:3], v[20:21], v[8:11], off offset:8 glc
	s_waitcnt vmcnt(0)
	v_cmp_eq_u64_e32 vcc, v[2:3], v[10:11]
	s_or_b64 s[44:45], vcc, s[44:45]
	v_pk_mov_b32 v[10:11], v[2:3], v[2:3] op_sel:[0,1]
	s_andn2_b64 exec, exec, s[44:45]
	s_cbranch_execnz .LBB113_126
; %bb.127:
	s_or_b64 exec, exec, s[44:45]
                                        ; implicit-def: $vgpr2_vgpr3
.LBB113_128:
	s_andn2_saveexec_b64 s[6:7], s[6:7]
	s_cbranch_execz .LBB113_130
; %bb.129:
	v_mov_b32_e32 v4, s27
	v_add_co_u32_e32 v2, vcc, s26, v2
	v_addc_co_u32_e32 v3, vcc, v4, v3, vcc
	global_load_dwordx4 v[2:5], v[2:3], off
	ds_read_b128 v[6:9], v26 offset:8192
	v_subrev_u32_e32 v10, s8, v14
	v_mov_b32_e32 v11, 0x4000
	v_lshl_add_u32 v12, v10, 4, v11
	s_waitcnt vmcnt(0) lgkmcnt(0)
	v_mul_f64 v[10:11], v[4:5], -v[8:9]
	v_mul_f64 v[4:5], v[4:5], v[6:7]
	v_fmac_f64_e32 v[10:11], v[6:7], v[2:3]
	v_fmac_f64_e32 v[4:5], v[8:9], v[2:3]
	ds_add_f64 v12, v[10:11]
	ds_add_f64 v12, v[4:5] offset:8
.LBB113_130:
	s_or_b64 exec, exec, s[42:43]
	v_lshlrev_b64 v[2:3], 4, v[14:15]
	v_mov_b32_e32 v4, s27
	v_add_co_u32_e32 v2, vcc, s26, v2
	v_addc_co_u32_e32 v3, vcc, v4, v3, vcc
	global_load_dwordx4 v[4:7], v[2:3], off
	ds_read_b128 v[8:11], v26 offset:8192
	s_and_b64 vcc, exec, s[4:5]
	v_pk_mov_b32 v[2:3], s[28:29], s[28:29] op_sel:[0,1]
	s_waitcnt vmcnt(0) lgkmcnt(0)
	v_mul_f64 v[12:13], v[6:7], -v[10:11]
	v_mul_f64 v[14:15], v[6:7], v[8:9]
	v_fmac_f64_e32 v[12:13], v[8:9], v[4:5]
	v_fmac_f64_e32 v[14:15], v[10:11], v[4:5]
	v_pk_mov_b32 v[4:5], s[40:41], s[40:41] op_sel:[0,1]
	ds_write_b128 v26, v[12:15] offset:8192
	s_cbranch_vccnz .LBB113_134
; %bb.131:
	s_mov_b64 s[6:7], 0
	v_pk_mov_b32 v[2:3], s[28:29], s[28:29] op_sel:[0,1]
	v_pk_mov_b32 v[4:5], s[40:41], s[40:41] op_sel:[0,1]
	v_mov_b32_e32 v6, s21
	v_mov_b32_e32 v7, s33
.LBB113_132:                            ; =>This Inner Loop Header: Depth=1
	v_add_co_u32_e32 v8, vcc, v4, v2
	v_addc_co_u32_e32 v9, vcc, v5, v3, vcc
	v_lshrrev_b32_e32 v10, 31, v9
	v_add_co_u32_e32 v8, vcc, v8, v10
	v_addc_co_u32_e32 v9, vcc, 0, v9, vcc
	v_ashrrev_i64 v[8:9], 1, v[8:9]
	v_lshlrev_b64 v[10:11], 3, v[8:9]
	v_add_co_u32_e32 v10, vcc, s20, v10
	v_addc_co_u32_e32 v11, vcc, v6, v11, vcc
	global_load_dwordx2 v[10:11], v[10:11], off
	s_waitcnt vmcnt(0)
	v_subrev_co_u32_e32 v10, vcc, s36, v10
	v_subb_co_u32_e32 v11, vcc, v11, v7, vcc
	v_cmp_gt_i64_e32 vcc, v[10:11], v[16:17]
	v_cndmask_b32_e32 v4, v4, v8, vcc
	v_cndmask_b32_e32 v5, v5, v9, vcc
	v_cndmask_b32_e32 v2, v8, v2, vcc
	v_add_co_u32_e64 v8, s[4:5], -1, v4
	v_cndmask_b32_e32 v3, v9, v3, vcc
	v_addc_co_u32_e64 v9, s[4:5], -1, v5, s[4:5]
	v_cmp_ge_i64_e32 vcc, v[2:3], v[4:5]
	v_cmp_eq_u64_e64 s[4:5], v[2:3], v[8:9]
	s_or_b64 s[4:5], vcc, s[4:5]
	s_and_b64 s[4:5], exec, s[4:5]
	s_or_b64 s[6:7], s[4:5], s[6:7]
	s_andn2_b64 exec, exec, s[6:7]
	s_cbranch_execnz .LBB113_132
; %bb.133:
	s_or_b64 exec, exec, s[6:7]
.LBB113_134:
	v_lshlrev_b64 v[6:7], 3, v[4:5]
	v_mov_b32_e32 v8, s21
	v_add_co_u32_e32 v6, vcc, s20, v6
	v_addc_co_u32_e32 v7, vcc, v8, v7, vcc
	global_load_dwordx2 v[6:7], v[6:7], off
	v_mov_b32_e32 v8, s33
	global_load_dword v9, v[18:19], off offset:3072
	s_waitcnt vmcnt(1)
	v_subrev_co_u32_e32 v6, vcc, s36, v6
	v_subb_co_u32_e32 v7, vcc, v7, v8, vcc
	s_waitcnt vmcnt(0)
	v_subrev_u32_e32 v14, s36, v9
	v_cmp_gt_i64_e32 vcc, v[6:7], v[16:17]
	v_cndmask_b32_e32 v3, v5, v3, vcc
	v_cndmask_b32_e32 v2, v4, v2, vcc
	v_ashrrev_i32_e32 v15, 31, v14
	v_cmp_ne_u64_e32 vcc, v[2:3], v[14:15]
	s_and_saveexec_b64 s[6:7], vcc
	s_cbranch_execz .LBB113_144
; %bb.135:
	s_load_dwordx2 s[4:5], s[22:23], 0x0
	s_waitcnt lgkmcnt(0)
	s_sub_u32 s4, s4, s36
	s_subb_u32 s5, s5, 0
	v_cmp_gt_i64_e32 vcc, s[4:5], v[16:17]
	s_and_b64 exec, exec, vcc
	s_cbranch_execz .LBB113_144
; %bb.136:
	v_cmp_gt_i64_e32 vcc, s[8:9], v[14:15]
	v_cmp_le_i64_e64 s[4:5], s[30:31], v[14:15]
	s_or_b64 s[4:5], vcc, s[4:5]
	v_lshlrev_b64 v[2:3], 4, v[2:3]
	s_and_saveexec_b64 s[22:23], s[4:5]
	s_xor_b64 s[4:5], exec, s[22:23]
	s_cbranch_execz .LBB113_142
; %bb.137:
	v_mov_b32_e32 v4, s27
	v_add_co_u32_e32 v2, vcc, s26, v2
	v_lshlrev_b64 v[6:7], 4, v[14:15]
	v_addc_co_u32_e32 v3, vcc, v4, v3, vcc
	v_mov_b32_e32 v8, s19
	global_load_dwordx4 v[2:5], v[2:3], off
	v_add_co_u32_e32 v16, vcc, s18, v6
	v_addc_co_u32_e32 v17, vcc, v8, v7, vcc
	global_load_dwordx2 v[12:13], v[16:17], off
	ds_read_b128 v[6:9], v26 offset:12288
	s_mov_b64 s[22:23], 0
	s_waitcnt vmcnt(1) lgkmcnt(0)
	v_mul_f64 v[18:19], v[4:5], -v[8:9]
	v_fmac_f64_e32 v[18:19], v[6:7], v[2:3]
.LBB113_138:                            ; =>This Inner Loop Header: Depth=1
	s_waitcnt vmcnt(0)
	v_add_f64 v[10:11], v[12:13], v[18:19]
	global_atomic_cmpswap_x2 v[10:11], v[16:17], v[10:13], off glc
	s_waitcnt vmcnt(0)
	v_cmp_eq_u64_e32 vcc, v[10:11], v[12:13]
	s_or_b64 s[22:23], vcc, s[22:23]
	v_pk_mov_b32 v[12:13], v[10:11], v[10:11] op_sel:[0,1]
	s_andn2_b64 exec, exec, s[22:23]
	s_cbranch_execnz .LBB113_138
; %bb.139:
	s_or_b64 exec, exec, s[22:23]
	global_load_dwordx2 v[10:11], v[16:17], off offset:8
	v_mul_f64 v[4:5], v[4:5], v[6:7]
	v_fmac_f64_e32 v[4:5], v[8:9], v[2:3]
	s_mov_b64 s[22:23], 0
.LBB113_140:                            ; =>This Inner Loop Header: Depth=1
	s_waitcnt vmcnt(0)
	v_add_f64 v[8:9], v[10:11], v[4:5]
	global_atomic_cmpswap_x2 v[2:3], v[16:17], v[8:11], off offset:8 glc
	s_waitcnt vmcnt(0)
	v_cmp_eq_u64_e32 vcc, v[2:3], v[10:11]
	s_or_b64 s[22:23], vcc, s[22:23]
	v_pk_mov_b32 v[10:11], v[2:3], v[2:3] op_sel:[0,1]
	s_andn2_b64 exec, exec, s[22:23]
	s_cbranch_execnz .LBB113_140
; %bb.141:
	s_or_b64 exec, exec, s[22:23]
                                        ; implicit-def: $vgpr2_vgpr3
.LBB113_142:
	s_andn2_saveexec_b64 s[4:5], s[4:5]
	s_cbranch_execz .LBB113_144
; %bb.143:
	v_mov_b32_e32 v4, s27
	v_add_co_u32_e32 v2, vcc, s26, v2
	v_addc_co_u32_e32 v3, vcc, v4, v3, vcc
	global_load_dwordx4 v[2:5], v[2:3], off
	ds_read_b128 v[6:9], v26 offset:12288
	v_subrev_u32_e32 v10, s8, v14
	v_mov_b32_e32 v11, 0x4000
	v_lshl_add_u32 v12, v10, 4, v11
	s_waitcnt vmcnt(0) lgkmcnt(0)
	v_mul_f64 v[10:11], v[4:5], -v[8:9]
	v_mul_f64 v[4:5], v[4:5], v[6:7]
	v_fmac_f64_e32 v[10:11], v[6:7], v[2:3]
	v_fmac_f64_e32 v[4:5], v[8:9], v[2:3]
	ds_add_f64 v12, v[10:11]
	ds_add_f64 v12, v[4:5] offset:8
.LBB113_144:
	s_or_b64 exec, exec, s[6:7]
	v_lshlrev_b64 v[2:3], 4, v[14:15]
	v_mov_b32_e32 v4, s27
	v_add_co_u32_e32 v2, vcc, s26, v2
	v_addc_co_u32_e32 v3, vcc, v4, v3, vcc
	global_load_dwordx4 v[2:5], v[2:3], off
	ds_read_b128 v[6:9], v26 offset:12288
	s_waitcnt vmcnt(0) lgkmcnt(0)
	v_mul_f64 v[10:11], v[4:5], -v[8:9]
	v_mul_f64 v[12:13], v[4:5], v[6:7]
	v_fmac_f64_e32 v[10:11], v[6:7], v[2:3]
	v_fmac_f64_e32 v[12:13], v[8:9], v[2:3]
	ds_write_b128 v26, v[10:13] offset:12288
.LBB113_145:
	s_or_b64 exec, exec, s[24:25]
	v_pk_mov_b32 v[2:3], s[10:11], s[10:11] op_sel:[0,1]
	v_cmp_lt_i64_e32 vcc, s[30:31], v[2:3]
	s_and_b64 s[4:5], vcc, exec
	s_cselect_b32 s22, s30, s10
	s_cselect_b32 s4, s31, s11
	s_sub_u32 s6, s22, s34
	s_subb_u32 s7, s4, s35
	v_cmp_gt_i64_e32 vcc, s[6:7], v[0:1]
	s_waitcnt lgkmcnt(0)
	s_barrier
	s_and_saveexec_b64 s[4:5], vcc
	s_cbranch_execz .LBB113_152
; %bb.146:
	s_lshl_b64 s[8:9], s[8:9], 4
	s_add_u32 s23, s18, s8
	s_addc_u32 s10, s19, s9
	s_mov_b64 s[8:9], 0
	v_mov_b32_e32 v14, s10
	v_mov_b32_e32 v15, 0x4000
	v_pk_mov_b32 v[10:11], v[0:1], v[0:1] op_sel:[0,1]
.LBB113_147:                            ; =>This Loop Header: Depth=1
                                        ;     Child Loop BB113_148 Depth 2
                                        ;     Child Loop BB113_150 Depth 2
	v_lshlrev_b64 v[2:3], 4, v[10:11]
	v_add_co_u32_e32 v12, vcc, s23, v2
	v_addc_co_u32_e32 v13, vcc, v14, v3, vcc
	global_load_dwordx2 v[8:9], v[12:13], off
	v_lshl_add_u32 v2, v10, 4, v15
	ds_read2_b64 v[2:5], v2 offset1:1
	s_mov_b64 s[10:11], 0
.LBB113_148:                            ;   Parent Loop BB113_147 Depth=1
                                        ; =>  This Inner Loop Header: Depth=2
	s_waitcnt vmcnt(0) lgkmcnt(0)
	v_add_f64 v[6:7], v[8:9], v[2:3]
	global_atomic_cmpswap_x2 v[6:7], v[12:13], v[6:9], off glc
	s_waitcnt vmcnt(0)
	v_cmp_eq_u64_e32 vcc, v[6:7], v[8:9]
	s_or_b64 s[10:11], vcc, s[10:11]
	v_pk_mov_b32 v[8:9], v[6:7], v[6:7] op_sel:[0,1]
	s_andn2_b64 exec, exec, s[10:11]
	s_cbranch_execnz .LBB113_148
; %bb.149:                              ;   in Loop: Header=BB113_147 Depth=1
	s_or_b64 exec, exec, s[10:11]
	global_load_dwordx2 v[8:9], v[12:13], off offset:8
	s_mov_b64 s[10:11], 0
.LBB113_150:                            ;   Parent Loop BB113_147 Depth=1
                                        ; =>  This Inner Loop Header: Depth=2
	s_waitcnt vmcnt(0)
	v_add_f64 v[6:7], v[8:9], v[4:5]
	global_atomic_cmpswap_x2 v[2:3], v[12:13], v[6:9], off offset:8 glc
	s_waitcnt vmcnt(0)
	v_cmp_eq_u64_e32 vcc, v[2:3], v[8:9]
	s_or_b64 s[10:11], vcc, s[10:11]
	v_pk_mov_b32 v[8:9], v[2:3], v[2:3] op_sel:[0,1]
	s_andn2_b64 exec, exec, s[10:11]
	s_cbranch_execnz .LBB113_150
; %bb.151:                              ;   in Loop: Header=BB113_147 Depth=1
	s_or_b64 exec, exec, s[10:11]
	v_add_co_u32_e32 v10, vcc, 0x100, v10
	v_addc_co_u32_e32 v11, vcc, 0, v11, vcc
	v_cmp_le_i64_e32 vcc, s[6:7], v[10:11]
	s_or_b64 s[8:9], vcc, s[8:9]
	s_andn2_b64 exec, exec, s[8:9]
	s_cbranch_execnz .LBB113_147
.LBB113_152:
	s_or_b64 exec, exec, s[4:5]
	s_add_i32 s4, s38, -1
	s_ashr_i32 s5, s4, 1
	s_or_b32 s4, s5, s4
	s_ashr_i32 s5, s4, 2
	s_or_b32 s4, s5, s4
	;; [unrolled: 2-line block ×5, first 2 shown]
	s_add_i32 s7, s7, 1
	s_ashr_i32 s24, s7, 1
	v_mov_b32_e32 v2, s29
	v_add_co_u32_e32 v10, vcc, s28, v0
	v_addc_co_u32_e32 v11, vcc, 0, v2, vcc
	s_cmp_gt_i32 s24, 1
	s_mov_b64 s[4:5], -1
	s_barrier
	s_cbranch_scc1 .LBB113_165
; %bb.153:
	v_cmp_gt_i64_e32 vcc, s[30:31], v[10:11]
	s_and_saveexec_b64 s[4:5], vcc
	s_cbranch_execz .LBB113_164
; %bb.154:
	s_sub_i32 s8, s22, s30
	s_lshl_b32 s8, s8, 4
	s_add_i32 s25, s8, 0x4000
	s_lshl_b32 s8, s12, 4
	s_sub_i32 s26, 0, s8
	s_mov_b64 s[8:9], 0
	v_mov_b32_e32 v18, s21
	v_mov_b32_e32 v19, s19
	;; [unrolled: 1-line block ×3, first 2 shown]
	v_pk_mov_b32 v[12:13], v[10:11], v[10:11] op_sel:[0,1]
.LBB113_155:                            ; =>This Loop Header: Depth=1
                                        ;     Child Loop BB113_157 Depth 2
                                        ;     Child Loop BB113_160 Depth 2
	;; [unrolled: 1-line block ×3, first 2 shown]
	v_lshlrev_b64 v[2:3], 3, v[12:13]
	v_add_co_u32_e32 v2, vcc, s20, v2
	v_addc_co_u32_e32 v3, vcc, v18, v3, vcc
	global_load_dwordx4 v[2:5], v[2:3], off
	v_pk_mov_b32 v[14:15], 0, 0
	v_pk_mov_b32 v[6:7], v[14:15], v[14:15] op_sel:[0,1]
	s_waitcnt vmcnt(0)
	v_cmp_lt_i64_e32 vcc, v[2:3], v[4:5]
	s_and_saveexec_b64 s[10:11], vcc
	s_cbranch_execz .LBB113_159
; %bb.156:                              ;   in Loop: Header=BB113_155 Depth=1
	v_mov_b32_e32 v6, s13
	v_subrev_co_u32_e32 v4, vcc, s12, v4
	v_subb_co_u32_e32 v5, vcc, v5, v6, vcc
	v_subrev_co_u32_e32 v8, vcc, s12, v2
	v_pk_mov_b32 v[14:15], 0, 0
	v_subb_co_u32_e32 v9, vcc, v3, v6, vcc
	v_lshl_add_u32 v2, v2, 4, s26
	s_mov_b64 s[22:23], 0
	v_pk_mov_b32 v[6:7], v[14:15], v[14:15] op_sel:[0,1]
.LBB113_157:                            ;   Parent Loop BB113_155 Depth=1
                                        ; =>  This Inner Loop Header: Depth=2
	ds_read_b128 v[22:25], v2
	v_add_co_u32_e32 v8, vcc, 1, v8
	v_addc_co_u32_e32 v9, vcc, 0, v9, vcc
	v_cmp_ge_i64_e32 vcc, v[8:9], v[4:5]
	v_add_u32_e32 v2, 16, v2
	s_or_b64 s[22:23], vcc, s[22:23]
	s_waitcnt lgkmcnt(0)
	v_add_f64 v[6:7], v[6:7], v[22:23]
	v_add_f64 v[14:15], v[14:15], v[24:25]
	s_andn2_b64 exec, exec, s[22:23]
	s_cbranch_execnz .LBB113_157
; %bb.158:                              ;   in Loop: Header=BB113_155 Depth=1
	s_or_b64 exec, exec, s[22:23]
.LBB113_159:                            ;   in Loop: Header=BB113_155 Depth=1
	s_or_b64 exec, exec, s[10:11]
	v_lshlrev_b64 v[2:3], 4, v[12:13]
	v_add_co_u32_e32 v16, vcc, s18, v2
	v_addc_co_u32_e32 v17, vcc, v19, v3, vcc
	global_load_dwordx2 v[8:9], v[16:17], off
	v_lshl_add_u32 v2, v12, 4, s25
	ds_read2_b64 v[2:5], v2 offset1:1
	s_mov_b64 s[10:11], 0
	s_waitcnt lgkmcnt(0)
	v_add_f64 v[2:3], v[6:7], v[2:3]
.LBB113_160:                            ;   Parent Loop BB113_155 Depth=1
                                        ; =>  This Inner Loop Header: Depth=2
	s_waitcnt vmcnt(0)
	v_add_f64 v[6:7], v[8:9], v[2:3]
	global_atomic_cmpswap_x2 v[6:7], v[16:17], v[6:9], off glc
	s_waitcnt vmcnt(0)
	v_cmp_eq_u64_e32 vcc, v[6:7], v[8:9]
	s_or_b64 s[10:11], vcc, s[10:11]
	v_pk_mov_b32 v[8:9], v[6:7], v[6:7] op_sel:[0,1]
	s_andn2_b64 exec, exec, s[10:11]
	s_cbranch_execnz .LBB113_160
; %bb.161:                              ;   in Loop: Header=BB113_155 Depth=1
	s_or_b64 exec, exec, s[10:11]
	global_load_dwordx2 v[6:7], v[16:17], off offset:8
	v_add_f64 v[2:3], v[14:15], v[4:5]
	s_mov_b64 s[10:11], 0
.LBB113_162:                            ;   Parent Loop BB113_155 Depth=1
                                        ; =>  This Inner Loop Header: Depth=2
	s_waitcnt vmcnt(0)
	v_add_f64 v[4:5], v[6:7], v[2:3]
	global_atomic_cmpswap_x2 v[4:5], v[16:17], v[4:7], off offset:8 glc
	s_waitcnt vmcnt(0)
	v_cmp_eq_u64_e32 vcc, v[4:5], v[6:7]
	s_or_b64 s[10:11], vcc, s[10:11]
	v_pk_mov_b32 v[6:7], v[4:5], v[4:5] op_sel:[0,1]
	s_andn2_b64 exec, exec, s[10:11]
	s_cbranch_execnz .LBB113_162
; %bb.163:                              ;   in Loop: Header=BB113_155 Depth=1
	s_or_b64 exec, exec, s[10:11]
	v_add_co_u32_e32 v12, vcc, s16, v12
	v_addc_co_u32_e32 v13, vcc, v13, v20, vcc
	v_cmp_le_i64_e32 vcc, s[30:31], v[12:13]
	s_or_b64 s[8:9], vcc, s[8:9]
	s_andn2_b64 exec, exec, s[8:9]
	s_cbranch_execnz .LBB113_155
.LBB113_164:
	s_or_b64 exec, exec, s[4:5]
	s_mov_b64 s[4:5], 0
.LBB113_165:
	s_andn2_b64 vcc, exec, s[4:5]
	s_cbranch_vccnz .LBB113_196
; %bb.166:
	v_cvt_f32_u32_e32 v14, s24
	s_sub_i32 s10, 0, s24
	v_mov_b32_e32 v7, 0
	v_mov_b32_e32 v4, s15
	v_rcp_iflag_f32_e32 v2, v14
	v_mov_b32_e32 v12, s13
	v_mul_f32_e32 v2, 0x4f7ffffe, v2
	v_cvt_u32_f32_e32 v2, v2
	v_mul_lo_u32 v3, s10, v2
	v_mul_hi_u32 v3, v2, v3
	v_add_u32_e32 v2, v2, v3
	v_mul_hi_u32 v2, v0, v2
	v_mul_lo_u32 v3, v2, s24
	v_sub_u32_e32 v3, v0, v3
	v_add_u32_e32 v5, 1, v2
	v_cmp_le_u32_e32 vcc, s24, v3
	v_cndmask_b32_e32 v2, v2, v5, vcc
	v_subrev_u32_e32 v5, s24, v3
	v_cndmask_b32_e32 v3, v3, v5, vcc
	v_add_u32_e32 v5, 1, v2
	v_cmp_le_u32_e32 vcc, s24, v3
	v_cndmask_b32_e32 v6, v2, v5, vcc
	v_lshlrev_b64 v[2:3], 3, v[6:7]
	v_add_co_u32_e32 v2, vcc, s14, v2
	v_addc_co_u32_e32 v3, vcc, v4, v3, vcc
	global_load_dwordx4 v[2:5], v[2:3], off
	s_waitcnt vmcnt(0)
	v_subrev_co_u32_e32 v8, vcc, s12, v2
	v_subb_co_u32_e32 v9, vcc, v3, v12, vcc
	v_subrev_co_u32_e32 v20, vcc, s12, v4
	v_subb_co_u32_e32 v21, vcc, v5, v12, vcc
	v_sub_co_u32_e32 v3, vcc, v20, v8
	v_subb_co_u32_e32 v5, vcc, v21, v9, vcc
	v_mov_b32_e32 v4, v7
	v_cmp_ne_u64_e32 vcc, 0, v[4:5]
                                        ; implicit-def: $vgpr12_vgpr13
	s_and_saveexec_b64 s[4:5], vcc
	s_xor_b64 s[8:9], exec, s[4:5]
	s_cbranch_execz .LBB113_168
; %bb.167:
	v_cvt_f32_ubyte0_e32 v4, 0
	v_madmk_f32 v4, v4, 0x4f800000, v14
	v_rcp_f32_e32 v4, v4
	s_sub_u32 s4, 0, s24
	s_subb_u32 s5, 0, 0
	v_mul_f32_e32 v4, 0x5f7ffffc, v4
	v_mul_f32_e32 v12, 0x2f800000, v4
	v_trunc_f32_e32 v12, v12
	v_madmk_f32 v4, v12, 0xcf800000, v4
	v_cvt_u32_f32_e32 v12, v12
	v_cvt_u32_f32_e32 v4, v4
	v_mul_lo_u32 v13, s4, v12
	v_mul_hi_u32 v15, s4, v4
	v_mul_lo_u32 v14, s5, v4
	v_add_u32_e32 v13, v15, v13
	v_add_u32_e32 v13, v13, v14
	v_mul_lo_u32 v16, s4, v4
	v_mul_lo_u32 v15, v4, v13
	v_mul_hi_u32 v17, v4, v16
	v_mul_hi_u32 v14, v4, v13
	v_add_co_u32_e32 v15, vcc, v17, v15
	v_addc_co_u32_e32 v14, vcc, 0, v14, vcc
	v_mul_hi_u32 v18, v12, v16
	v_mul_lo_u32 v16, v12, v16
	v_add_co_u32_e32 v15, vcc, v15, v16
	v_mul_hi_u32 v17, v12, v13
	v_addc_co_u32_e32 v14, vcc, v14, v18, vcc
	v_addc_co_u32_e32 v15, vcc, 0, v17, vcc
	v_mul_lo_u32 v13, v12, v13
	v_add_co_u32_e32 v13, vcc, v14, v13
	v_addc_co_u32_e32 v14, vcc, 0, v15, vcc
	v_add_co_u32_e32 v4, vcc, v4, v13
	v_addc_co_u32_e32 v12, vcc, v12, v14, vcc
	v_mul_lo_u32 v13, s4, v12
	v_mul_hi_u32 v14, s4, v4
	v_add_u32_e32 v13, v14, v13
	v_mul_lo_u32 v14, s5, v4
	v_add_u32_e32 v13, v13, v14
	v_mul_lo_u32 v15, s4, v4
	v_mul_hi_u32 v16, v12, v15
	v_mul_lo_u32 v17, v12, v15
	v_mul_lo_u32 v19, v4, v13
	v_mul_hi_u32 v15, v4, v15
	v_mul_hi_u32 v18, v4, v13
	v_add_co_u32_e32 v15, vcc, v15, v19
	v_addc_co_u32_e32 v18, vcc, 0, v18, vcc
	v_add_co_u32_e32 v15, vcc, v15, v17
	v_mul_hi_u32 v14, v12, v13
	v_addc_co_u32_e32 v15, vcc, v18, v16, vcc
	v_addc_co_u32_e32 v14, vcc, 0, v14, vcc
	v_mul_lo_u32 v13, v12, v13
	v_add_co_u32_e32 v13, vcc, v15, v13
	v_addc_co_u32_e32 v14, vcc, 0, v14, vcc
	v_add_co_u32_e32 v13, vcc, v4, v13
	v_addc_co_u32_e32 v12, vcc, v12, v14, vcc
	v_ashrrev_i32_e32 v14, 31, v5
	v_add_co_u32_e32 v3, vcc, v3, v14
	v_addc_co_u32_e32 v4, vcc, v5, v14, vcc
	v_xor_b32_e32 v3, v3, v14
	v_xor_b32_e32 v15, v4, v14
	v_mad_u64_u32 v[4:5], s[4:5], v3, v12, 0
	v_mul_hi_u32 v16, v3, v13
	v_add_co_u32_e32 v16, vcc, v16, v4
	v_addc_co_u32_e32 v17, vcc, 0, v5, vcc
	v_mad_u64_u32 v[4:5], s[4:5], v15, v12, 0
	v_mad_u64_u32 v[12:13], s[4:5], v15, v13, 0
	v_add_co_u32_e32 v12, vcc, v16, v12
	v_addc_co_u32_e32 v12, vcc, v17, v13, vcc
	v_addc_co_u32_e32 v5, vcc, 0, v5, vcc
	v_add_co_u32_e32 v16, vcc, v12, v4
	v_addc_co_u32_e32 v17, vcc, 0, v5, vcc
	v_mad_u64_u32 v[4:5], s[4:5], s24, v16, 0
	v_mov_b32_e32 v12, v5
	v_mad_u64_u32 v[12:13], s[4:5], s24, v17, v[12:13]
	v_sub_co_u32_e32 v3, vcc, v3, v4
	v_subb_co_u32_e32 v4, vcc, v15, v12, vcc
	v_subrev_co_u32_e32 v5, vcc, s24, v3
	v_subbrev_co_u32_e32 v12, vcc, 0, v4, vcc
	v_cmp_le_u32_e32 vcc, s24, v5
	v_cndmask_b32_e64 v5, 0, -1, vcc
	v_cmp_eq_u32_e32 vcc, 0, v12
	v_cndmask_b32_e32 v5, -1, v5, vcc
	v_add_co_u32_e32 v12, vcc, 2, v16
	v_addc_co_u32_e32 v13, vcc, 0, v17, vcc
	v_add_co_u32_e32 v15, vcc, 1, v16
	v_cmp_le_u32_e64 s[4:5], s24, v3
	v_addc_co_u32_e32 v18, vcc, 0, v17, vcc
	v_cndmask_b32_e64 v3, 0, -1, s[4:5]
	v_cmp_eq_u32_e64 s[4:5], 0, v4
	v_cmp_ne_u32_e32 vcc, 0, v5
	v_cndmask_b32_e64 v3, -1, v3, s[4:5]
	v_cmp_ne_u32_e64 s[4:5], 0, v3
	v_cndmask_b32_e32 v4, v15, v12, vcc
	v_cndmask_b32_e32 v5, v18, v13, vcc
	v_cndmask_b32_e64 v4, v16, v4, s[4:5]
	v_cndmask_b32_e64 v3, v17, v5, s[4:5]
	v_xor_b32_e32 v4, v4, v14
	v_xor_b32_e32 v3, v3, v14
	v_sub_co_u32_e32 v12, vcc, v4, v14
	v_subb_co_u32_e32 v13, vcc, v3, v14, vcc
                                        ; implicit-def: $vgpr3
.LBB113_168:
	s_andn2_saveexec_b64 s[4:5], s[8:9]
	s_cbranch_execz .LBB113_170
; %bb.169:
	v_cvt_f32_u32_e32 v4, s24
	v_mov_b32_e32 v13, 0
	v_rcp_iflag_f32_e32 v4, v4
	v_mul_f32_e32 v4, 0x4f7ffffe, v4
	v_cvt_u32_f32_e32 v4, v4
	v_mul_lo_u32 v5, s10, v4
	v_mul_hi_u32 v5, v4, v5
	v_add_u32_e32 v4, v4, v5
	v_mul_hi_u32 v4, v3, v4
	v_mul_lo_u32 v5, v4, s24
	v_sub_u32_e32 v3, v3, v5
	v_add_u32_e32 v12, 1, v4
	v_subrev_u32_e32 v5, s24, v3
	v_cmp_le_u32_e32 vcc, s24, v3
	v_cndmask_b32_e32 v3, v3, v5, vcc
	v_cndmask_b32_e32 v4, v4, v12, vcc
	v_add_u32_e32 v5, 1, v4
	v_cmp_le_u32_e32 vcc, s24, v3
	v_cndmask_b32_e32 v12, v4, v5, vcc
.LBB113_170:
	s_or_b64 exec, exec, s[4:5]
	v_cmp_gt_i64_e32 vcc, s[34:35], v[6:7]
	v_pk_mov_b32 v[6:7], 0, 0
	v_pk_mov_b32 v[4:5], v[6:7], v[6:7] op_sel:[0,1]
	s_and_saveexec_b64 s[4:5], vcc
	s_cbranch_execz .LBB113_184
; %bb.171:
	s_add_i32 s8, s24, -1
	v_pk_mov_b32 v[6:7], 0, 0
	v_and_b32_e32 v14, s8, v0
	v_cmp_lt_i64_e32 vcc, 0, v[12:13]
	v_pk_mov_b32 v[4:5], v[6:7], v[6:7] op_sel:[0,1]
	s_and_saveexec_b64 s[8:9], vcc
	s_cbranch_execz .LBB113_181
; %bb.172:
	v_pk_mov_b32 v[4:5], 0, 0
	v_cmp_lt_u64_e32 vcc, 3, v[12:13]
	v_pk_mov_b32 v[16:17], 0, 0
	v_pk_mov_b32 v[6:7], v[4:5], v[4:5] op_sel:[0,1]
	s_and_saveexec_b64 s[10:11], vcc
	s_cbranch_execz .LBB113_176
; %bb.173:
	v_add_u32_e32 v3, v14, v2
	v_subrev_u32_e32 v3, s12, v3
	v_pk_mov_b32 v[6:7], 0, 0
	v_and_b32_e32 v17, 0x7fffffff, v13
	v_and_b32_e32 v16, -4, v12
	v_lshlrev_b32_e32 v3, 4, v3
	s_lshl_b32 s13, s24, 6
	s_lshl_b32 s20, s24, 4
	s_mov_b64 s[14:15], 0
	s_mov_b64 s[16:17], 0
	v_pk_mov_b32 v[4:5], v[6:7], v[6:7] op_sel:[0,1]
.LBB113_174:                            ; =>This Inner Loop Header: Depth=1
	ds_read_b128 v[22:25], v3
	v_add_u32_e32 v15, s20, v3
	v_add_u32_e32 v18, s20, v15
	ds_read_b128 v[28:31], v15
	ds_read_b128 v[32:35], v18
	v_add_u32_e32 v15, s20, v18
	ds_read_b128 v[36:39], v15
	s_add_u32 s16, s16, 4
	s_waitcnt lgkmcnt(3)
	v_add_f64 v[4:5], v[4:5], v[22:23]
	v_add_f64 v[6:7], v[6:7], v[24:25]
	s_addc_u32 s17, s17, 0
	s_waitcnt lgkmcnt(2)
	v_add_f64 v[4:5], v[4:5], v[28:29]
	v_add_f64 v[6:7], v[6:7], v[30:31]
	v_cmp_eq_u64_e32 vcc, s[16:17], v[16:17]
	s_waitcnt lgkmcnt(1)
	v_add_f64 v[4:5], v[4:5], v[32:33]
	v_add_f64 v[6:7], v[6:7], v[34:35]
	v_add_u32_e32 v3, s13, v3
	s_or_b64 s[14:15], vcc, s[14:15]
	s_waitcnt lgkmcnt(0)
	v_add_f64 v[4:5], v[4:5], v[36:37]
	v_add_f64 v[6:7], v[6:7], v[38:39]
	s_andn2_b64 exec, exec, s[14:15]
	s_cbranch_execnz .LBB113_174
; %bb.175:
	s_or_b64 exec, exec, s[14:15]
.LBB113_176:
	s_or_b64 exec, exec, s[10:11]
	v_and_b32_e32 v18, 3, v12
	v_mov_b32_e32 v19, 0
	s_mov_b64 s[14:15], 0
	v_cmp_ne_u64_e32 vcc, 0, v[18:19]
	s_and_saveexec_b64 s[10:11], vcc
	s_cbranch_execz .LBB113_180
; %bb.177:
	v_mul_lo_u32 v3, s24, v16
	v_add3_u32 v2, v14, v3, v2
	v_subrev_u32_e32 v2, s12, v2
	v_lshlrev_b32_e32 v2, 4, v2
	s_lshl_b32 s12, s24, 4
.LBB113_178:                            ; =>This Inner Loop Header: Depth=1
	ds_read_b128 v[22:25], v2
	v_add_co_u32_e32 v18, vcc, -1, v18
	v_addc_co_u32_e32 v19, vcc, -1, v19, vcc
	v_cmp_eq_u64_e32 vcc, 0, v[18:19]
	v_add_u32_e32 v2, s12, v2
	s_or_b64 s[14:15], vcc, s[14:15]
	s_waitcnt lgkmcnt(0)
	v_add_f64 v[4:5], v[4:5], v[22:23]
	v_add_f64 v[6:7], v[6:7], v[24:25]
	s_andn2_b64 exec, exec, s[14:15]
	s_cbranch_execnz .LBB113_178
; %bb.179:
	s_or_b64 exec, exec, s[14:15]
.LBB113_180:
	s_or_b64 exec, exec, s[10:11]
.LBB113_181:
	s_or_b64 exec, exec, s[8:9]
	v_mad_u64_u32 v[2:3], s[8:9], v12, s24, v[8:9]
	v_mov_b32_e32 v8, v3
	v_mad_u64_u32 v[8:9], s[8:9], v13, s24, v[8:9]
	v_mov_b32_e32 v3, v8
	v_sub_co_u32_e32 v8, vcc, v20, v2
	v_mov_b32_e32 v15, 0
	v_subb_co_u32_e32 v9, vcc, v21, v3, vcc
	v_cmp_gt_i64_e32 vcc, v[8:9], v[14:15]
	s_and_saveexec_b64 s[8:9], vcc
	s_cbranch_execz .LBB113_183
; %bb.182:
	v_add_lshl_u32 v2, v14, v2, 4
	ds_read_b128 v[12:15], v2
	s_waitcnt lgkmcnt(0)
	v_add_f64 v[4:5], v[4:5], v[12:13]
	v_add_f64 v[6:7], v[6:7], v[14:15]
.LBB113_183:
	s_or_b64 exec, exec, s[8:9]
.LBB113_184:
	s_or_b64 exec, exec, s[4:5]
	v_cmp_gt_i64_e32 vcc, s[34:35], v[0:1]
	s_barrier
	ds_write_b128 v26, v[4:7]
	s_waitcnt lgkmcnt(0)
	s_barrier
	s_and_b64 exec, exec, vcc
	s_cbranch_execz .LBB113_196
; %bb.185:
	v_mul_lo_u32 v1, s24, v0
	s_cmp_lt_u32 s24, 8
	v_pk_mov_b32 v[4:5], 0, 0
	s_cbranch_scc1 .LBB113_188
; %bb.186:
	v_pk_mov_b32 v[8:9], 0, 0
	s_and_b32 s4, s24, 0x7ffffff8
	v_lshlrev_b32_e32 v2, 4, v1
	s_mov_b32 s5, 0
	v_pk_mov_b32 v[4:5], v[8:9], v[8:9] op_sel:[0,1]
.LBB113_187:                            ; =>This Inner Loop Header: Depth=1
	ds_read_b128 v[12:15], v2
	ds_read_b128 v[16:19], v2 offset:16
	ds_read_b128 v[20:23], v2 offset:32
	;; [unrolled: 1-line block ×7, first 2 shown]
	s_waitcnt lgkmcnt(7)
	v_add_f64 v[4:5], v[4:5], v[12:13]
	v_add_f64 v[6:7], v[8:9], v[14:15]
	s_waitcnt lgkmcnt(6)
	v_add_f64 v[4:5], v[4:5], v[16:17]
	v_add_f64 v[6:7], v[6:7], v[18:19]
	;; [unrolled: 3-line block ×6, first 2 shown]
	s_add_i32 s5, s5, 8
	s_waitcnt lgkmcnt(1)
	v_add_f64 v[4:5], v[4:5], v[36:37]
	v_add_f64 v[6:7], v[6:7], v[38:39]
	v_add_u32_e32 v2, 0x80, v2
	s_cmp_eq_u32 s4, s5
	s_waitcnt lgkmcnt(0)
	v_add_f64 v[4:5], v[4:5], v[40:41]
	v_add_f64 v[8:9], v[6:7], v[42:43]
	s_cbranch_scc0 .LBB113_187
	s_branch .LBB113_189
.LBB113_188:
	s_mov_b32 s4, 0
	v_pk_mov_b32 v[8:9], v[4:5], v[4:5] op_sel:[0,1]
.LBB113_189:
	s_bfe_u32 s5, s7, 0x30001
	s_cmp_eq_u32 s5, 0
	s_cbranch_scc1 .LBB113_192
; %bb.190:
	v_add_lshl_u32 v1, s4, v1, 4
.LBB113_191:                            ; =>This Inner Loop Header: Depth=1
	ds_read_b128 v[12:15], v1
	s_add_i32 s5, s5, -1
	v_add_u32_e32 v1, 16, v1
	s_cmp_lg_u32 s5, 0
	s_waitcnt lgkmcnt(0)
	v_add_f64 v[4:5], v[4:5], v[12:13]
	v_add_f64 v[8:9], v[8:9], v[14:15]
	s_cbranch_scc1 .LBB113_191
.LBB113_192:
	v_lshlrev_b64 v[2:3], 4, v[10:11]
	v_mov_b32_e32 v1, s19
	v_add_co_u32_e32 v10, vcc, s18, v2
	v_addc_co_u32_e32 v11, vcc, v1, v3, vcc
	global_load_dwordx2 v[6:7], v[10:11], off
	s_lshl_b32 s4, s6, 4
	s_addk_i32 s4, 0x4000
	v_lshl_add_u32 v0, v0, 4, s4
	ds_read2_b64 v[0:3], v0 offset1:1
	s_mov_b64 s[4:5], 0
	s_waitcnt lgkmcnt(0)
	v_add_f64 v[0:1], v[4:5], v[0:1]
.LBB113_193:                            ; =>This Inner Loop Header: Depth=1
	s_waitcnt vmcnt(0)
	v_add_f64 v[4:5], v[6:7], v[0:1]
	global_atomic_cmpswap_x2 v[4:5], v[10:11], v[4:7], off glc
	s_waitcnt vmcnt(0)
	v_cmp_eq_u64_e32 vcc, v[4:5], v[6:7]
	s_or_b64 s[4:5], vcc, s[4:5]
	v_pk_mov_b32 v[6:7], v[4:5], v[4:5] op_sel:[0,1]
	s_andn2_b64 exec, exec, s[4:5]
	s_cbranch_execnz .LBB113_193
; %bb.194:
	s_or_b64 exec, exec, s[4:5]
	global_load_dwordx2 v[4:5], v[10:11], off offset:8
	v_add_f64 v[0:1], v[8:9], v[2:3]
	s_mov_b64 s[4:5], 0
.LBB113_195:                            ; =>This Inner Loop Header: Depth=1
	s_waitcnt vmcnt(0)
	v_add_f64 v[2:3], v[4:5], v[0:1]
	global_atomic_cmpswap_x2 v[2:3], v[10:11], v[2:5], off offset:8 glc
	s_waitcnt vmcnt(0)
	v_cmp_eq_u64_e32 vcc, v[2:3], v[4:5]
	s_or_b64 s[4:5], vcc, s[4:5]
	v_pk_mov_b32 v[4:5], v[2:3], v[2:3] op_sel:[0,1]
	s_andn2_b64 exec, exec, s[4:5]
	s_cbranch_execnz .LBB113_195
.LBB113_196:
	s_endpgm
	.section	.rodata,"a",@progbits
	.p2align	6, 0x0
	.amdhsa_kernel _ZN9rocsparseL27csrmvn_symm_adaptive_kernelIli21rocsparse_complex_numIfES1_IdES3_S3_EEvbT_S4_PKS4_NS_24const_host_device_scalarIT4_EES6_PKT0_PKT1_PKT2_S9_PT3_21rocsparse_index_base_b
		.amdhsa_group_segment_fixed_size 16384
		.amdhsa_private_segment_fixed_size 24
		.amdhsa_kernarg_size 368
		.amdhsa_user_sgpr_count 8
		.amdhsa_user_sgpr_private_segment_buffer 1
		.amdhsa_user_sgpr_dispatch_ptr 0
		.amdhsa_user_sgpr_queue_ptr 0
		.amdhsa_user_sgpr_kernarg_segment_ptr 1
		.amdhsa_user_sgpr_dispatch_id 0
		.amdhsa_user_sgpr_flat_scratch_init 1
		.amdhsa_user_sgpr_kernarg_preload_length 0
		.amdhsa_user_sgpr_kernarg_preload_offset 0
		.amdhsa_user_sgpr_private_segment_size 0
		.amdhsa_uses_dynamic_stack 0
		.amdhsa_system_sgpr_private_segment_wavefront_offset 1
		.amdhsa_system_sgpr_workgroup_id_x 1
		.amdhsa_system_sgpr_workgroup_id_y 0
		.amdhsa_system_sgpr_workgroup_id_z 0
		.amdhsa_system_sgpr_workgroup_info 0
		.amdhsa_system_vgpr_workitem_id 0
		.amdhsa_next_free_vgpr 44
		.amdhsa_next_free_sgpr 58
		.amdhsa_accum_offset 44
		.amdhsa_reserve_vcc 1
		.amdhsa_reserve_flat_scratch 1
		.amdhsa_float_round_mode_32 0
		.amdhsa_float_round_mode_16_64 0
		.amdhsa_float_denorm_mode_32 3
		.amdhsa_float_denorm_mode_16_64 3
		.amdhsa_dx10_clamp 1
		.amdhsa_ieee_mode 1
		.amdhsa_fp16_overflow 0
		.amdhsa_tg_split 0
		.amdhsa_exception_fp_ieee_invalid_op 0
		.amdhsa_exception_fp_denorm_src 0
		.amdhsa_exception_fp_ieee_div_zero 0
		.amdhsa_exception_fp_ieee_overflow 0
		.amdhsa_exception_fp_ieee_underflow 0
		.amdhsa_exception_fp_ieee_inexact 0
		.amdhsa_exception_int_div_zero 0
	.end_amdhsa_kernel
	.section	.text._ZN9rocsparseL27csrmvn_symm_adaptive_kernelIli21rocsparse_complex_numIfES1_IdES3_S3_EEvbT_S4_PKS4_NS_24const_host_device_scalarIT4_EES6_PKT0_PKT1_PKT2_S9_PT3_21rocsparse_index_base_b,"axG",@progbits,_ZN9rocsparseL27csrmvn_symm_adaptive_kernelIli21rocsparse_complex_numIfES1_IdES3_S3_EEvbT_S4_PKS4_NS_24const_host_device_scalarIT4_EES6_PKT0_PKT1_PKT2_S9_PT3_21rocsparse_index_base_b,comdat
.Lfunc_end113:
	.size	_ZN9rocsparseL27csrmvn_symm_adaptive_kernelIli21rocsparse_complex_numIfES1_IdES3_S3_EEvbT_S4_PKS4_NS_24const_host_device_scalarIT4_EES6_PKT0_PKT1_PKT2_S9_PT3_21rocsparse_index_base_b, .Lfunc_end113-_ZN9rocsparseL27csrmvn_symm_adaptive_kernelIli21rocsparse_complex_numIfES1_IdES3_S3_EEvbT_S4_PKS4_NS_24const_host_device_scalarIT4_EES6_PKT0_PKT1_PKT2_S9_PT3_21rocsparse_index_base_b
                                        ; -- End function
	.section	.AMDGPU.csdata,"",@progbits
; Kernel info:
; codeLenInByte = 10412
; NumSgprs: 64
; NumVgprs: 44
; NumAgprs: 0
; TotalNumVgprs: 44
; ScratchSize: 24
; MemoryBound: 0
; FloatMode: 240
; IeeeMode: 1
; LDSByteSize: 16384 bytes/workgroup (compile time only)
; SGPRBlocks: 7
; VGPRBlocks: 5
; NumSGPRsForWavesPerEU: 64
; NumVGPRsForWavesPerEU: 44
; AccumOffset: 44
; Occupancy: 4
; WaveLimiterHint : 1
; COMPUTE_PGM_RSRC2:SCRATCH_EN: 1
; COMPUTE_PGM_RSRC2:USER_SGPR: 8
; COMPUTE_PGM_RSRC2:TRAP_HANDLER: 0
; COMPUTE_PGM_RSRC2:TGID_X_EN: 1
; COMPUTE_PGM_RSRC2:TGID_Y_EN: 0
; COMPUTE_PGM_RSRC2:TGID_Z_EN: 0
; COMPUTE_PGM_RSRC2:TIDIG_COMP_CNT: 0
; COMPUTE_PGM_RSRC3_GFX90A:ACCUM_OFFSET: 10
; COMPUTE_PGM_RSRC3_GFX90A:TG_SPLIT: 0
	.section	.text._ZL33csrmvn_symm_large_adaptive_kernelIli21rocsparse_complex_numIfES0_IdES2_S2_EvbT_PKS3_N9rocsparse24const_host_device_scalarIT4_EES5_PKT0_PKT1_PKT2_S9_PT3_21rocsparse_index_base_b,"axG",@progbits,_ZL33csrmvn_symm_large_adaptive_kernelIli21rocsparse_complex_numIfES0_IdES2_S2_EvbT_PKS3_N9rocsparse24const_host_device_scalarIT4_EES5_PKT0_PKT1_PKT2_S9_PT3_21rocsparse_index_base_b,comdat
	.globl	_ZL33csrmvn_symm_large_adaptive_kernelIli21rocsparse_complex_numIfES0_IdES2_S2_EvbT_PKS3_N9rocsparse24const_host_device_scalarIT4_EES5_PKT0_PKT1_PKT2_S9_PT3_21rocsparse_index_base_b ; -- Begin function _ZL33csrmvn_symm_large_adaptive_kernelIli21rocsparse_complex_numIfES0_IdES2_S2_EvbT_PKS3_N9rocsparse24const_host_device_scalarIT4_EES5_PKT0_PKT1_PKT2_S9_PT3_21rocsparse_index_base_b
	.p2align	8
	.type	_ZL33csrmvn_symm_large_adaptive_kernelIli21rocsparse_complex_numIfES0_IdES2_S2_EvbT_PKS3_N9rocsparse24const_host_device_scalarIT4_EES5_PKT0_PKT1_PKT2_S9_PT3_21rocsparse_index_base_b,@function
_ZL33csrmvn_symm_large_adaptive_kernelIli21rocsparse_complex_numIfES0_IdES2_S2_EvbT_PKS3_N9rocsparse24const_host_device_scalarIT4_EES5_PKT0_PKT1_PKT2_S9_PT3_21rocsparse_index_base_b: ; @_ZL33csrmvn_symm_large_adaptive_kernelIli21rocsparse_complex_numIfES0_IdES2_S2_EvbT_PKS3_N9rocsparse24const_host_device_scalarIT4_EES5_PKT0_PKT1_PKT2_S9_PT3_21rocsparse_index_base_b
; %bb.0:
	s_add_u32 flat_scratch_lo, s6, s9
	s_addc_u32 flat_scratch_hi, s7, 0
	s_load_dwordx2 s[28:29], s[4:5], 0x60
	s_load_dwordx4 s[16:19], s[4:5], 0x18
	s_load_dwordx4 s[12:15], s[4:5], 0x48
	s_add_u32 s0, s0, s9
	s_addc_u32 s1, s1, 0
	s_waitcnt lgkmcnt(0)
	s_bitcmp1_b32 s29, 0
	v_mov_b32_e32 v1, 0
	v_mov_b32_e32 v3, s16
	s_cselect_b64 s[6:7], -1, 0
	v_cndmask_b32_e64 v2, v3, v1, s[6:7]
	v_mov_b32_e32 v1, s17
	s_mov_b64 s[10:11], src_private_base
	s_and_b64 vcc, s[6:7], exec
	buffer_store_dword v1, off, s[0:3], 0 offset:4
	buffer_store_dword v3, off, s[0:3], 0
	v_mov_b32_e32 v1, s13
	s_cselect_b32 s9, s11, s17
	buffer_store_dword v1, off, s[0:3], 0 offset:12
	v_mov_b32_e32 v1, s12
	buffer_store_dword v1, off, s[0:3], 0 offset:8
	v_mov_b32_e32 v3, s9
	flat_load_dwordx2 v[8:9], v[2:3]
	s_xor_b64 s[20:21], s[6:7], -1
	v_pk_mov_b32 v[10:11], s[18:19], s[18:19] op_sel:[0,1]
	s_cbranch_vccnz .LBB114_2
; %bb.1:
	v_pk_mov_b32 v[2:3], s[16:17], s[16:17] op_sel:[0,1]
	flat_load_dwordx2 v[10:11], v[2:3] offset:8
.LBB114_2:
	s_and_b64 s[16:17], s[6:7], exec
	s_cselect_b32 s9, s11, s13
	v_mov_b32_e32 v1, 8
	v_mov_b32_e32 v2, s12
	v_cndmask_b32_e64 v2, v2, v1, s[6:7]
	v_mov_b32_e32 v3, s9
	flat_load_dwordx2 v[2:3], v[2:3]
	s_andn2_b64 vcc, exec, s[20:21]
	v_pk_mov_b32 v[4:5], s[14:15], s[14:15] op_sel:[0,1]
	s_cbranch_vccnz .LBB114_4
; %bb.3:
	v_pk_mov_b32 v[4:5], s[12:13], s[12:13] op_sel:[0,1]
	flat_load_dwordx2 v[4:5], v[4:5] offset:8
.LBB114_4:
	s_waitcnt vmcnt(0) lgkmcnt(0)
	v_cmp_eq_f64_e32 vcc, 0, v[8:9]
	v_cmp_eq_f64_e64 s[6:7], 0, v[10:11]
	s_and_b64 s[12:13], vcc, s[6:7]
	s_mov_b64 s[6:7], -1
	s_and_saveexec_b64 s[10:11], s[12:13]
; %bb.5:
	v_cmp_neq_f64_e32 vcc, 1.0, v[2:3]
	v_cmp_neq_f64_e64 s[6:7], 0, v[4:5]
	s_or_b64 s[6:7], vcc, s[6:7]
	s_orn2_b64 s[6:7], s[6:7], exec
; %bb.6:
	s_or_b64 exec, exec, s[10:11]
	s_and_saveexec_b64 s[10:11], s[6:7]
	s_cbranch_execz .LBB114_51
; %bb.7:
	s_load_dword s9, s[4:5], 0x0
	s_load_dwordx2 s[6:7], s[4:5], 0x10
	s_mov_b32 s12, 0
	s_mov_b32 s13, s12
	;; [unrolled: 1-line block ×3, first 2 shown]
	s_waitcnt lgkmcnt(0)
	s_bitcmp1_b32 s9, 0
	s_cselect_b64 s[30:31], -1, 0
	s_ashr_i32 s9, s8, 31
	s_lshl_b64 s[8:9], s[8:9], 3
	s_mov_b32 s15, s12
	v_pk_mov_b32 v[2:3], s[12:13], s[12:13] op_sel:[0,1]
	s_add_u32 s6, s6, s8
	v_lshlrev_b32_e32 v14, 4, v0
	v_pk_mov_b32 v[4:5], s[14:15], s[14:15] op_sel:[0,1]
	s_addc_u32 s7, s7, s9
	ds_write_b128 v14, v[2:5]
	ds_write_b128 v14, v[2:5] offset:4096
	ds_write_b128 v14, v[2:5] offset:8192
	;; [unrolled: 1-line block ×3, first 2 shown]
	s_waitcnt lgkmcnt(0)
	s_barrier
	s_load_dwordx4 s[24:27], s[6:7], 0x0
	s_load_dwordx2 s[34:35], s[4:5], 0x58
	s_load_dwordx8 s[16:23], s[4:5], 0x28
	v_subrev_co_u32_e64 v15, s[4:5], s28, v0
	s_waitcnt lgkmcnt(0)
	v_pk_mov_b32 v[2:3], s[26:27], s[26:27] op_sel:[0,1]
	v_cmp_lt_i64_e32 vcc, s[24:25], v[2:3]
	s_mov_b32 s29, s12
	v_subb_co_u32_e64 v16, s[4:5], 0, 0, s[4:5]
	s_cbranch_vccnz .LBB114_9
; %bb.8:
	s_lshl_b64 s[4:5], s[24:25], 3
	s_add_u32 s4, s16, s4
	s_addc_u32 s5, s17, s5
	s_load_dwordx2 s[36:37], s[4:5], 0x0
	s_cbranch_execz .LBB114_10
	s_branch .LBB114_39
.LBB114_9:
                                        ; implicit-def: $sgpr36_sgpr37
.LBB114_10:
	s_lshl_b64 s[14:15], s[24:25], 3
	s_add_u32 s14, s16, s14
	s_addc_u32 s15, s17, s15
	s_waitcnt lgkmcnt(0)
	s_load_dwordx2 s[36:37], s[14:15], 0x0
	s_add_u32 s48, s16, 8
	s_addc_u32 s49, s17, 0
	s_movk_i32 s33, 0x100
	s_add_u32 s50, s20, 4
	v_cmp_gt_u32_e64 s[4:5], s33, v0
	v_cmp_gt_u32_e64 s[6:7], 64, v0
	;; [unrolled: 1-line block ×4, first 2 shown]
	v_cmp_eq_u32_e64 s[12:13], 0, v0
	s_addc_u32 s51, s21, 0
	v_mov_b32_e32 v17, s23
	v_mov_b32_e32 v18, 0
	s_waitcnt lgkmcnt(0)
	s_mov_b64 s[40:41], s[36:37]
	s_mov_b64 s[38:39], s[24:25]
	s_branch .LBB114_12
.LBB114_11:                             ;   in Loop: Header=BB114_12 Depth=1
	s_or_b64 exec, exec, s[14:15]
	s_add_u32 s38, s38, 1
	s_addc_u32 s39, s39, 0
	v_pk_mov_b32 v[0:1], s[26:27], s[26:27] op_sel:[0,1]
	v_cmp_ge_i64_e32 vcc, s[38:39], v[0:1]
	s_cbranch_vccnz .LBB114_39
.LBB114_12:                             ; =>This Loop Header: Depth=1
                                        ;     Child Loop BB114_14 Depth 2
                                        ;     Child Loop BB114_28 Depth 2
	;; [unrolled: 1-line block ×5, first 2 shown]
	s_mov_b64 s[14:15], s[40:41]
	s_lshl_b64 s[40:41], s[38:39], 3
	s_add_u32 s40, s48, s40
	s_addc_u32 s41, s49, s41
	s_load_dwordx2 s[40:41], s[40:41], 0x0
	v_mov_b32_e32 v0, s15
	v_add_co_u32_e32 v4, vcc, s14, v15
	v_addc_co_u32_e32 v5, vcc, v0, v16, vcc
	s_waitcnt lgkmcnt(0)
	s_sub_u32 s42, s40, s28
	s_subb_u32 s43, s41, 0
	v_pk_mov_b32 v[2:3], 0, 0
	v_cmp_gt_i64_e32 vcc, s[42:43], v[4:5]
	v_pk_mov_b32 v[0:1], v[2:3], v[2:3] op_sel:[0,1]
	s_and_saveexec_b64 s[44:45], vcc
	s_cbranch_execz .LBB114_16
; %bb.13:                               ;   in Loop: Header=BB114_12 Depth=1
	v_lshlrev_b64 v[0:1], 2, v[4:5]
	v_mov_b32_e32 v2, s19
	v_add_co_u32_e32 v6, vcc, s18, v0
	v_addc_co_u32_e32 v7, vcc, v2, v1, vcc
	v_lshlrev_b64 v[0:1], 3, v[4:5]
	v_mov_b32_e32 v2, s51
	v_add_co_u32_e32 v12, vcc, s50, v0
	v_addc_co_u32_e32 v13, vcc, v2, v1, vcc
	v_pk_mov_b32 v[2:3], 0, 0
	s_mov_b64 s[46:47], 0
	v_pk_mov_b32 v[0:1], v[2:3], v[2:3] op_sel:[0,1]
.LBB114_14:                             ;   Parent Loop BB114_12 Depth=1
                                        ; =>  This Inner Loop Header: Depth=2
	global_load_dword v19, v[6:7], off
	global_load_dwordx2 v[24:25], v[12:13], off offset:-4
	s_waitcnt vmcnt(1)
	v_subrev_u32_e32 v20, s28, v19
	v_ashrrev_i32_e32 v21, 31, v20
	v_lshlrev_b64 v[20:21], 4, v[20:21]
	v_add_co_u32_e32 v20, vcc, s22, v20
	v_addc_co_u32_e32 v21, vcc, v17, v21, vcc
	global_load_dwordx4 v[20:23], v[20:21], off
	v_add_co_u32_e32 v4, vcc, s33, v4
	v_addc_co_u32_e32 v5, vcc, 0, v5, vcc
	v_add_co_u32_e32 v6, vcc, 0x400, v6
	s_waitcnt vmcnt(1)
	v_cndmask_b32_e64 v19, v25, -v25, s[30:31]
	v_addc_co_u32_e32 v7, vcc, 0, v7, vcc
	v_cvt_f64_f32_e32 v[24:25], v24
	v_cvt_f64_f32_e32 v[26:27], v19
	v_add_co_u32_e32 v12, vcc, 0x800, v12
	v_cmp_le_i64_e64 s[14:15], s[42:43], v[4:5]
	v_addc_co_u32_e32 v13, vcc, 0, v13, vcc
	s_or_b64 s[46:47], s[14:15], s[46:47]
	s_waitcnt vmcnt(0)
	v_fmac_f64_e32 v[0:1], v[24:25], v[20:21]
	v_fmac_f64_e32 v[2:3], v[26:27], v[20:21]
	v_fma_f64 v[0:1], -v[26:27], v[22:23], v[0:1]
	v_fmac_f64_e32 v[2:3], v[24:25], v[22:23]
	s_andn2_b64 exec, exec, s[46:47]
	s_cbranch_execnz .LBB114_14
; %bb.15:                               ;   in Loop: Header=BB114_12 Depth=1
	s_or_b64 exec, exec, s[46:47]
.LBB114_16:                             ;   in Loop: Header=BB114_12 Depth=1
	s_or_b64 exec, exec, s[44:45]
	ds_write_b128 v14, v[0:3]
	s_waitcnt lgkmcnt(0)
	s_barrier
	s_and_saveexec_b64 s[14:15], s[4:5]
	s_cbranch_execz .LBB114_18
; %bb.17:                               ;   in Loop: Header=BB114_12 Depth=1
	ds_read_b128 v[0:3], v14 offset:4096
	ds_read_b128 v[4:7], v14 offset:8192
	ds_read_b128 v[20:23], v14 offset:12288
	ds_read_b128 v[24:27], v14
	s_waitcnt lgkmcnt(2)
	v_add_f64 v[0:1], v[4:5], v[0:1]
	v_add_f64 v[2:3], v[6:7], v[2:3]
	s_waitcnt lgkmcnt(1)
	v_add_f64 v[0:1], v[0:1], v[20:21]
	v_add_f64 v[2:3], v[2:3], v[22:23]
	s_waitcnt lgkmcnt(0)
	v_add_f64 v[0:1], v[0:1], v[24:25]
	v_add_f64 v[2:3], v[2:3], v[26:27]
	ds_write_b128 v14, v[0:3]
.LBB114_18:                             ;   in Loop: Header=BB114_12 Depth=1
	s_or_b64 exec, exec, s[14:15]
	s_waitcnt lgkmcnt(0)
	s_barrier
	s_and_saveexec_b64 s[14:15], s[6:7]
	s_cbranch_execz .LBB114_20
; %bb.19:                               ;   in Loop: Header=BB114_12 Depth=1
	ds_read_b128 v[0:3], v14 offset:1024
	ds_read_b128 v[4:7], v14 offset:2048
	ds_read_b128 v[20:23], v14 offset:3072
	ds_read_b128 v[24:27], v14
	s_waitcnt lgkmcnt(2)
	v_add_f64 v[0:1], v[4:5], v[0:1]
	v_add_f64 v[2:3], v[6:7], v[2:3]
	s_waitcnt lgkmcnt(1)
	v_add_f64 v[0:1], v[0:1], v[20:21]
	v_add_f64 v[2:3], v[2:3], v[22:23]
	s_waitcnt lgkmcnt(0)
	v_add_f64 v[0:1], v[0:1], v[24:25]
	v_add_f64 v[2:3], v[2:3], v[26:27]
	ds_write_b128 v14, v[0:3]
.LBB114_20:                             ;   in Loop: Header=BB114_12 Depth=1
	s_or_b64 exec, exec, s[14:15]
	;; [unrolled: 21-line block ×5, first 2 shown]
	s_waitcnt lgkmcnt(0)
	s_barrier
	s_and_saveexec_b64 s[14:15], s[12:13]
	s_cbranch_execz .LBB114_11
; %bb.27:                               ;   in Loop: Header=BB114_12 Depth=1
	ds_read_b128 v[0:3], v18
	v_mov_b32_e32 v12, 0
	s_mov_b64 s[42:43], exec
	v_bfrev_b32_e32 v13, 1
	s_waitcnt lgkmcnt(0)
	v_mul_f64 v[4:5], v[2:3], -v[10:11]
	v_fmac_f64_e32 v[4:5], v[8:9], v[0:1]
.LBB114_28:                             ;   Parent Loop BB114_12 Depth=1
                                        ; =>  This Inner Loop Header: Depth=2
	s_ff1_i32_b64 s46, s[42:43]
	v_readlane_b32 s45, v5, s46
	v_readlane_b32 s44, v4, s46
	s_lshl_b64 s[46:47], 1, s46
	s_andn2_b64 s[42:43], s[42:43], s[46:47]
	s_cmp_lg_u64 s[42:43], 0
	v_add_f64 v[12:13], v[12:13], s[44:45]
	s_cbranch_scc1 .LBB114_28
; %bb.29:                               ;   in Loop: Header=BB114_12 Depth=1
	s_lshl_b64 s[42:43], s[38:39], 4
	v_mbcnt_lo_u32_b32 v4, exec_lo, 0
	s_add_u32 s42, s34, s42
	v_mbcnt_hi_u32_b32 v4, exec_hi, v4
	s_addc_u32 s43, s35, s43
	v_cmp_eq_u32_e32 vcc, 0, v4
	s_and_saveexec_b64 s[44:45], vcc
	s_xor_b64 s[44:45], exec, s[44:45]
	s_cbranch_execz .LBB114_33
; %bb.30:                               ;   in Loop: Header=BB114_12 Depth=1
	global_load_dwordx2 v[6:7], v18, s[42:43]
	s_mov_b64 s[46:47], 0
.LBB114_31:                             ;   Parent Loop BB114_12 Depth=1
                                        ; =>  This Inner Loop Header: Depth=2
	s_waitcnt vmcnt(0)
	v_add_f64 v[4:5], v[6:7], v[12:13]
	global_atomic_cmpswap_x2 v[4:5], v18, v[4:7], s[42:43] glc
	s_waitcnt vmcnt(0)
	v_cmp_eq_u64_e32 vcc, v[4:5], v[6:7]
	s_or_b64 s[46:47], vcc, s[46:47]
	v_pk_mov_b32 v[6:7], v[4:5], v[4:5] op_sel:[0,1]
	s_andn2_b64 exec, exec, s[46:47]
	s_cbranch_execnz .LBB114_31
; %bb.32:                               ;   in Loop: Header=BB114_12 Depth=1
	s_or_b64 exec, exec, s[46:47]
.LBB114_33:                             ;   in Loop: Header=BB114_12 Depth=1
	s_or_b64 exec, exec, s[44:45]
	v_mul_f64 v[2:3], v[8:9], v[2:3]
	v_mov_b32_e32 v4, 0
	s_mov_b64 s[44:45], exec
	v_fmac_f64_e32 v[2:3], v[10:11], v[0:1]
	v_bfrev_b32_e32 v5, 1
.LBB114_34:                             ;   Parent Loop BB114_12 Depth=1
                                        ; =>  This Inner Loop Header: Depth=2
	s_ff1_i32_b64 s52, s[44:45]
	v_readlane_b32 s47, v3, s52
	v_readlane_b32 s46, v2, s52
	s_lshl_b64 s[52:53], 1, s52
	s_andn2_b64 s[44:45], s[44:45], s[52:53]
	s_cmp_lg_u64 s[44:45], 0
	v_add_f64 v[4:5], v[4:5], s[46:47]
	s_cbranch_scc1 .LBB114_34
; %bb.35:                               ;   in Loop: Header=BB114_12 Depth=1
	v_mbcnt_lo_u32_b32 v0, exec_lo, 0
	v_mbcnt_hi_u32_b32 v0, exec_hi, v0
	v_cmp_eq_u32_e32 vcc, 0, v0
	s_and_saveexec_b64 s[44:45], vcc
	s_xor_b64 s[44:45], exec, s[44:45]
	s_cbranch_execz .LBB114_11
; %bb.36:                               ;   in Loop: Header=BB114_12 Depth=1
	global_load_dwordx2 v[2:3], v18, s[42:43] offset:8
	s_mov_b64 s[44:45], 0
.LBB114_37:                             ;   Parent Loop BB114_12 Depth=1
                                        ; =>  This Inner Loop Header: Depth=2
	s_waitcnt vmcnt(0)
	v_add_f64 v[0:1], v[2:3], v[4:5]
	global_atomic_cmpswap_x2 v[0:1], v18, v[0:3], s[42:43] offset:8 glc
	s_waitcnt vmcnt(0)
	v_cmp_eq_u64_e32 vcc, v[0:1], v[2:3]
	s_or_b64 s[44:45], vcc, s[44:45]
	v_pk_mov_b32 v[2:3], v[0:1], v[0:1] op_sel:[0,1]
	s_andn2_b64 exec, exec, s[44:45]
	s_cbranch_execnz .LBB114_37
; %bb.38:                               ;   in Loop: Header=BB114_12 Depth=1
	s_or_b64 exec, exec, s[44:45]
	s_branch .LBB114_11
.LBB114_39:
	s_lshl_b64 s[4:5], s[26:27], 3
	s_add_u32 s4, s16, s4
	s_addc_u32 s5, s17, s5
	s_load_dwordx2 s[4:5], s[4:5], 0x0
	s_waitcnt lgkmcnt(0)
	v_mov_b32_e32 v0, s37
	v_add_co_u32_e32 v12, vcc, s36, v15
	v_addc_co_u32_e32 v13, vcc, v0, v16, vcc
	s_sub_u32 s8, s4, s28
	s_subb_u32 s9, s5, 0
	v_cmp_gt_i64_e32 vcc, s[8:9], v[12:13]
	s_and_b64 exec, exec, vcc
	s_cbranch_execz .LBB114_51
; %bb.40:
	s_add_u32 s10, s26, -1
	s_addc_u32 s11, s27, -1
	s_add_u32 s4, s26, -2
	s_addc_u32 s5, s27, -1
	v_pk_mov_b32 v[0:1], s[24:25], s[24:25] op_sel:[0,1]
	s_cmp_lg_u64 s[4:5], s[24:25]
	v_cmp_gt_i64_e32 vcc, s[10:11], v[0:1]
	s_cselect_b64 s[4:5], -1, 0
	s_and_b64 s[4:5], vcc, s[4:5]
	v_cndmask_b32_e64 v0, 0, 1, s[4:5]
	s_mov_b64 s[12:13], 0
	v_cmp_ne_u32_e64 s[4:5], 1, v0
	v_mov_b32_e32 v22, s17
	v_mov_b32_e32 v23, s29
	;; [unrolled: 1-line block ×3, first 2 shown]
	s_branch .LBB114_42
.LBB114_41:                             ;   in Loop: Header=BB114_42 Depth=1
	s_or_b64 exec, exec, s[6:7]
	v_add_co_u32_e32 v12, vcc, 0x100, v12
	v_addc_co_u32_e32 v13, vcc, 0, v13, vcc
	v_cmp_le_i64_e32 vcc, s[8:9], v[12:13]
	s_or_b64 s[12:13], vcc, s[12:13]
	s_andn2_b64 exec, exec, s[12:13]
	s_cbranch_execz .LBB114_51
.LBB114_42:                             ; =>This Loop Header: Depth=1
                                        ;     Child Loop BB114_44 Depth 2
                                        ;     Child Loop BB114_48 Depth 2
	;; [unrolled: 1-line block ×3, first 2 shown]
	s_and_b64 vcc, exec, s[4:5]
	v_pk_mov_b32 v[0:1], s[24:25], s[24:25] op_sel:[0,1]
	v_pk_mov_b32 v[2:3], s[10:11], s[10:11] op_sel:[0,1]
	s_cbranch_vccnz .LBB114_46
; %bb.43:                               ;   in Loop: Header=BB114_42 Depth=1
	s_mov_b64 s[14:15], 0
	v_pk_mov_b32 v[0:1], s[24:25], s[24:25] op_sel:[0,1]
	v_pk_mov_b32 v[2:3], s[10:11], s[10:11] op_sel:[0,1]
.LBB114_44:                             ;   Parent Loop BB114_42 Depth=1
                                        ; =>  This Inner Loop Header: Depth=2
	v_add_co_u32_e32 v4, vcc, v2, v0
	v_addc_co_u32_e32 v5, vcc, v3, v1, vcc
	v_lshrrev_b32_e32 v6, 31, v5
	v_add_co_u32_e32 v4, vcc, v4, v6
	v_addc_co_u32_e32 v5, vcc, 0, v5, vcc
	v_ashrrev_i64 v[4:5], 1, v[4:5]
	v_lshlrev_b64 v[6:7], 3, v[4:5]
	v_mov_b32_e32 v14, s17
	v_add_co_u32_e32 v6, vcc, s16, v6
	v_addc_co_u32_e32 v7, vcc, v14, v7, vcc
	global_load_dwordx2 v[6:7], v[6:7], off
	v_mov_b32_e32 v14, s29
	s_waitcnt vmcnt(0)
	v_subrev_co_u32_e32 v6, vcc, s28, v6
	v_subb_co_u32_e32 v7, vcc, v7, v14, vcc
	v_cmp_gt_i64_e32 vcc, v[6:7], v[12:13]
	v_cndmask_b32_e32 v2, v2, v4, vcc
	v_cndmask_b32_e32 v3, v3, v5, vcc
	v_cndmask_b32_e32 v0, v4, v0, vcc
	v_add_co_u32_e64 v4, s[6:7], -1, v2
	v_cndmask_b32_e32 v1, v5, v1, vcc
	v_addc_co_u32_e64 v5, s[6:7], -1, v3, s[6:7]
	v_cmp_ge_i64_e32 vcc, v[0:1], v[2:3]
	v_cmp_eq_u64_e64 s[6:7], v[0:1], v[4:5]
	s_or_b64 s[6:7], vcc, s[6:7]
	s_and_b64 s[6:7], exec, s[6:7]
	s_or_b64 s[14:15], s[6:7], s[14:15]
	s_andn2_b64 exec, exec, s[14:15]
	s_cbranch_execnz .LBB114_44
; %bb.45:                               ;   in Loop: Header=BB114_42 Depth=1
	s_or_b64 exec, exec, s[14:15]
.LBB114_46:                             ;   in Loop: Header=BB114_42 Depth=1
	v_lshlrev_b64 v[4:5], 3, v[2:3]
	v_add_co_u32_e32 v4, vcc, s16, v4
	v_addc_co_u32_e32 v5, vcc, v22, v5, vcc
	v_lshlrev_b64 v[6:7], 2, v[12:13]
	global_load_dwordx2 v[4:5], v[4:5], off
	v_add_co_u32_e32 v6, vcc, s18, v6
	v_addc_co_u32_e32 v7, vcc, v24, v7, vcc
	global_load_dword v14, v[6:7], off
	s_waitcnt vmcnt(1)
	v_subrev_co_u32_e32 v6, vcc, s28, v4
	v_subb_co_u32_e32 v7, vcc, v5, v23, vcc
	v_cmp_gt_i64_e32 vcc, v[6:7], v[12:13]
	s_waitcnt vmcnt(0)
	v_subrev_u32_e32 v4, s28, v14
	v_cndmask_b32_e32 v1, v3, v1, vcc
	v_cndmask_b32_e32 v0, v2, v0, vcc
	v_ashrrev_i32_e32 v5, 31, v4
	v_cmp_ne_u64_e32 vcc, v[0:1], v[4:5]
	s_and_saveexec_b64 s[6:7], vcc
	s_cbranch_execz .LBB114_41
; %bb.47:                               ;   in Loop: Header=BB114_42 Depth=1
	v_lshlrev_b64 v[2:3], 3, v[12:13]
	v_mov_b32_e32 v7, s21
	v_add_co_u32_e32 v2, vcc, s20, v2
	v_addc_co_u32_e32 v3, vcc, v7, v3, vcc
	global_load_dwordx2 v[16:17], v[2:3], off
	v_lshlrev_b64 v[0:1], 4, v[0:1]
	v_mov_b32_e32 v2, s23
	v_add_co_u32_e32 v0, vcc, s22, v0
	v_lshlrev_b64 v[4:5], 4, v[4:5]
	v_addc_co_u32_e32 v1, vcc, v2, v1, vcc
	v_mov_b32_e32 v6, s35
	global_load_dwordx4 v[0:3], v[0:1], off
	v_add_co_u32_e32 v14, vcc, s34, v4
	v_addc_co_u32_e32 v15, vcc, v6, v5, vcc
	global_load_dwordx2 v[6:7], v[14:15], off
	s_mov_b64 s[14:15], 0
	s_waitcnt vmcnt(2)
	v_cndmask_b32_e64 v17, v17, -v17, s[30:31]
	v_cvt_f64_f32_e32 v[18:19], v17
	v_cvt_f64_f32_e32 v[4:5], v16
	v_mul_f64 v[16:17], -v[10:11], v[18:19]
	v_mul_f64 v[18:19], v[8:9], v[18:19]
	v_fmac_f64_e32 v[18:19], v[10:11], v[4:5]
	v_fmac_f64_e32 v[16:17], v[8:9], v[4:5]
	s_waitcnt vmcnt(1)
	v_mul_f64 v[20:21], v[2:3], -v[18:19]
	v_fmac_f64_e32 v[20:21], v[16:17], v[0:1]
.LBB114_48:                             ;   Parent Loop BB114_42 Depth=1
                                        ; =>  This Inner Loop Header: Depth=2
	s_waitcnt vmcnt(0)
	v_add_f64 v[4:5], v[6:7], v[20:21]
	global_atomic_cmpswap_x2 v[4:5], v[14:15], v[4:7], off glc
	s_waitcnt vmcnt(0)
	v_cmp_eq_u64_e32 vcc, v[4:5], v[6:7]
	s_or_b64 s[14:15], vcc, s[14:15]
	v_pk_mov_b32 v[6:7], v[4:5], v[4:5] op_sel:[0,1]
	s_andn2_b64 exec, exec, s[14:15]
	s_cbranch_execnz .LBB114_48
; %bb.49:                               ;   in Loop: Header=BB114_42 Depth=1
	s_or_b64 exec, exec, s[14:15]
	global_load_dwordx2 v[4:5], v[14:15], off offset:8
	v_mul_f64 v[6:7], v[2:3], v[16:17]
	v_fmac_f64_e32 v[6:7], v[18:19], v[0:1]
	s_mov_b64 s[14:15], 0
.LBB114_50:                             ;   Parent Loop BB114_42 Depth=1
                                        ; =>  This Inner Loop Header: Depth=2
	s_waitcnt vmcnt(0)
	v_add_f64 v[2:3], v[4:5], v[6:7]
	global_atomic_cmpswap_x2 v[0:1], v[14:15], v[2:5], off offset:8 glc
	s_waitcnt vmcnt(0)
	v_cmp_eq_u64_e32 vcc, v[0:1], v[4:5]
	s_or_b64 s[14:15], vcc, s[14:15]
	v_pk_mov_b32 v[4:5], v[0:1], v[0:1] op_sel:[0,1]
	s_andn2_b64 exec, exec, s[14:15]
	s_cbranch_execnz .LBB114_50
	s_branch .LBB114_41
.LBB114_51:
	s_endpgm
	.section	.rodata,"a",@progbits
	.p2align	6, 0x0
	.amdhsa_kernel _ZL33csrmvn_symm_large_adaptive_kernelIli21rocsparse_complex_numIfES0_IdES2_S2_EvbT_PKS3_N9rocsparse24const_host_device_scalarIT4_EES5_PKT0_PKT1_PKT2_S9_PT3_21rocsparse_index_base_b
		.amdhsa_group_segment_fixed_size 16384
		.amdhsa_private_segment_fixed_size 24
		.amdhsa_kernarg_size 104
		.amdhsa_user_sgpr_count 8
		.amdhsa_user_sgpr_private_segment_buffer 1
		.amdhsa_user_sgpr_dispatch_ptr 0
		.amdhsa_user_sgpr_queue_ptr 0
		.amdhsa_user_sgpr_kernarg_segment_ptr 1
		.amdhsa_user_sgpr_dispatch_id 0
		.amdhsa_user_sgpr_flat_scratch_init 1
		.amdhsa_user_sgpr_kernarg_preload_length 0
		.amdhsa_user_sgpr_kernarg_preload_offset 0
		.amdhsa_user_sgpr_private_segment_size 0
		.amdhsa_uses_dynamic_stack 0
		.amdhsa_system_sgpr_private_segment_wavefront_offset 1
		.amdhsa_system_sgpr_workgroup_id_x 1
		.amdhsa_system_sgpr_workgroup_id_y 0
		.amdhsa_system_sgpr_workgroup_id_z 0
		.amdhsa_system_sgpr_workgroup_info 0
		.amdhsa_system_vgpr_workitem_id 0
		.amdhsa_next_free_vgpr 28
		.amdhsa_next_free_sgpr 54
		.amdhsa_accum_offset 28
		.amdhsa_reserve_vcc 1
		.amdhsa_reserve_flat_scratch 1
		.amdhsa_float_round_mode_32 0
		.amdhsa_float_round_mode_16_64 0
		.amdhsa_float_denorm_mode_32 3
		.amdhsa_float_denorm_mode_16_64 3
		.amdhsa_dx10_clamp 1
		.amdhsa_ieee_mode 1
		.amdhsa_fp16_overflow 0
		.amdhsa_tg_split 0
		.amdhsa_exception_fp_ieee_invalid_op 0
		.amdhsa_exception_fp_denorm_src 0
		.amdhsa_exception_fp_ieee_div_zero 0
		.amdhsa_exception_fp_ieee_overflow 0
		.amdhsa_exception_fp_ieee_underflow 0
		.amdhsa_exception_fp_ieee_inexact 0
		.amdhsa_exception_int_div_zero 0
	.end_amdhsa_kernel
	.section	.text._ZL33csrmvn_symm_large_adaptive_kernelIli21rocsparse_complex_numIfES0_IdES2_S2_EvbT_PKS3_N9rocsparse24const_host_device_scalarIT4_EES5_PKT0_PKT1_PKT2_S9_PT3_21rocsparse_index_base_b,"axG",@progbits,_ZL33csrmvn_symm_large_adaptive_kernelIli21rocsparse_complex_numIfES0_IdES2_S2_EvbT_PKS3_N9rocsparse24const_host_device_scalarIT4_EES5_PKT0_PKT1_PKT2_S9_PT3_21rocsparse_index_base_b,comdat
.Lfunc_end114:
	.size	_ZL33csrmvn_symm_large_adaptive_kernelIli21rocsparse_complex_numIfES0_IdES2_S2_EvbT_PKS3_N9rocsparse24const_host_device_scalarIT4_EES5_PKT0_PKT1_PKT2_S9_PT3_21rocsparse_index_base_b, .Lfunc_end114-_ZL33csrmvn_symm_large_adaptive_kernelIli21rocsparse_complex_numIfES0_IdES2_S2_EvbT_PKS3_N9rocsparse24const_host_device_scalarIT4_EES5_PKT0_PKT1_PKT2_S9_PT3_21rocsparse_index_base_b
                                        ; -- End function
	.section	.AMDGPU.csdata,"",@progbits
; Kernel info:
; codeLenInByte = 2648
; NumSgprs: 60
; NumVgprs: 28
; NumAgprs: 0
; TotalNumVgprs: 28
; ScratchSize: 24
; MemoryBound: 0
; FloatMode: 240
; IeeeMode: 1
; LDSByteSize: 16384 bytes/workgroup (compile time only)
; SGPRBlocks: 7
; VGPRBlocks: 3
; NumSGPRsForWavesPerEU: 60
; NumVGPRsForWavesPerEU: 28
; AccumOffset: 28
; Occupancy: 4
; WaveLimiterHint : 1
; COMPUTE_PGM_RSRC2:SCRATCH_EN: 1
; COMPUTE_PGM_RSRC2:USER_SGPR: 8
; COMPUTE_PGM_RSRC2:TRAP_HANDLER: 0
; COMPUTE_PGM_RSRC2:TGID_X_EN: 1
; COMPUTE_PGM_RSRC2:TGID_Y_EN: 0
; COMPUTE_PGM_RSRC2:TGID_Z_EN: 0
; COMPUTE_PGM_RSRC2:TIDIG_COMP_CNT: 0
; COMPUTE_PGM_RSRC3_GFX90A:ACCUM_OFFSET: 6
; COMPUTE_PGM_RSRC3_GFX90A:TG_SPLIT: 0
	.section	.text._ZN9rocsparseL22csrmvn_adaptive_kernelIll21rocsparse_complex_numIfES1_IdES3_S3_EEvbT_PKS4_PjPKT0_NS_24const_host_device_scalarIT4_EES6_SA_PKT1_PKT2_SD_PT3_21rocsparse_index_base_b,"axG",@progbits,_ZN9rocsparseL22csrmvn_adaptive_kernelIll21rocsparse_complex_numIfES1_IdES3_S3_EEvbT_PKS4_PjPKT0_NS_24const_host_device_scalarIT4_EES6_SA_PKT1_PKT2_SD_PT3_21rocsparse_index_base_b,comdat
	.globl	_ZN9rocsparseL22csrmvn_adaptive_kernelIll21rocsparse_complex_numIfES1_IdES3_S3_EEvbT_PKS4_PjPKT0_NS_24const_host_device_scalarIT4_EES6_SA_PKT1_PKT2_SD_PT3_21rocsparse_index_base_b ; -- Begin function _ZN9rocsparseL22csrmvn_adaptive_kernelIll21rocsparse_complex_numIfES1_IdES3_S3_EEvbT_PKS4_PjPKT0_NS_24const_host_device_scalarIT4_EES6_SA_PKT1_PKT2_SD_PT3_21rocsparse_index_base_b
	.p2align	8
	.type	_ZN9rocsparseL22csrmvn_adaptive_kernelIll21rocsparse_complex_numIfES1_IdES3_S3_EEvbT_PKS4_PjPKT0_NS_24const_host_device_scalarIT4_EES6_SA_PKT1_PKT2_SD_PT3_21rocsparse_index_base_b,@function
_ZN9rocsparseL22csrmvn_adaptive_kernelIll21rocsparse_complex_numIfES1_IdES3_S3_EEvbT_PKS4_PjPKT0_NS_24const_host_device_scalarIT4_EES6_SA_PKT1_PKT2_SD_PT3_21rocsparse_index_base_b: ; @_ZN9rocsparseL22csrmvn_adaptive_kernelIll21rocsparse_complex_numIfES1_IdES3_S3_EEvbT_PKS4_PjPKT0_NS_24const_host_device_scalarIT4_EES6_SA_PKT1_PKT2_SD_PT3_21rocsparse_index_base_b
; %bb.0:
	s_add_u32 flat_scratch_lo, s6, s9
	s_load_dwordx2 s[48:49], s[4:5], 0x70
	s_load_dwordx4 s[16:19], s[4:5], 0x28
	s_addc_u32 flat_scratch_hi, s7, 0
	s_add_u32 s0, s0, s9
	s_load_dwordx4 s[12:15], s[4:5], 0x58
	s_addc_u32 s1, s1, 0
	s_waitcnt lgkmcnt(0)
	s_bitcmp1_b32 s49, 0
	v_mov_b32_e32 v1, 0
	v_mov_b32_e32 v3, s16
	s_cselect_b64 s[6:7], -1, 0
	v_cndmask_b32_e64 v2, v3, v1, s[6:7]
	v_mov_b32_e32 v1, s17
	s_mov_b64 s[10:11], src_private_base
	s_and_b64 vcc, s[6:7], exec
	buffer_store_dword v1, off, s[0:3], 0 offset:4
	buffer_store_dword v3, off, s[0:3], 0
	v_mov_b32_e32 v1, s13
	s_cselect_b32 s9, s11, s17
	buffer_store_dword v1, off, s[0:3], 0 offset:12
	v_mov_b32_e32 v1, s12
	buffer_store_dword v1, off, s[0:3], 0 offset:8
	v_mov_b32_e32 v3, s9
	flat_load_dwordx2 v[14:15], v[2:3]
	s_xor_b64 s[20:21], s[6:7], -1
	v_pk_mov_b32 v[16:17], s[18:19], s[18:19] op_sel:[0,1]
	s_cbranch_vccnz .LBB115_2
; %bb.1:
	v_pk_mov_b32 v[2:3], s[16:17], s[16:17] op_sel:[0,1]
	flat_load_dwordx2 v[16:17], v[2:3] offset:8
.LBB115_2:
	s_and_b64 s[16:17], s[6:7], exec
	s_cselect_b32 s9, s11, s13
	v_mov_b32_e32 v1, 8
	v_mov_b32_e32 v2, s12
	v_cndmask_b32_e64 v2, v2, v1, s[6:7]
	v_mov_b32_e32 v3, s9
	flat_load_dwordx2 v[10:11], v[2:3]
	s_andn2_b64 vcc, exec, s[20:21]
	v_pk_mov_b32 v[12:13], s[14:15], s[14:15] op_sel:[0,1]
	s_cbranch_vccnz .LBB115_4
; %bb.3:
	v_pk_mov_b32 v[2:3], s[12:13], s[12:13] op_sel:[0,1]
	flat_load_dwordx2 v[12:13], v[2:3] offset:8
.LBB115_4:
	s_waitcnt vmcnt(0) lgkmcnt(0)
	v_cmp_eq_f64_e32 vcc, 0, v[14:15]
	v_cmp_eq_f64_e64 s[6:7], 0, v[16:17]
	s_and_b64 s[12:13], vcc, s[6:7]
	s_mov_b64 s[6:7], -1
	s_and_saveexec_b64 s[10:11], s[12:13]
; %bb.5:
	v_cmp_neq_f64_e32 vcc, 1.0, v[10:11]
	v_cmp_neq_f64_e64 s[6:7], 0, v[12:13]
	s_or_b64 s[6:7], vcc, s[6:7]
	s_orn2_b64 s[6:7], s[6:7], exec
; %bb.6:
	s_or_b64 exec, exec, s[10:11]
	s_and_saveexec_b64 s[10:11], s[6:7]
	s_cbranch_execz .LBB115_121
; %bb.7:
	s_load_dwordx2 s[10:11], s[4:5], 0x20
	s_load_dword s9, s[4:5], 0x0
	s_load_dwordx2 s[6:7], s[4:5], 0x10
	s_waitcnt lgkmcnt(0)
	s_bitcmp1_b32 s9, 0
	s_cselect_b64 s[50:51], -1, 0
	s_ashr_i32 s9, s8, 31
	s_lshl_b64 s[12:13], s[8:9], 3
	s_add_u32 s6, s6, s12
	s_addc_u32 s7, s7, s13
	s_load_dwordx4 s[28:31], s[6:7], 0x0
	s_load_dwordx2 s[26:27], s[4:5], 0x68
	s_load_dwordx8 s[36:43], s[4:5], 0x38
	s_waitcnt lgkmcnt(0)
	s_sub_u32 s6, s30, s28
	s_subb_u32 s7, s31, s29
	s_add_u32 s10, s10, s12
	s_addc_u32 s11, s11, s13
	s_lshl_b64 s[12:13], s[28:29], 3
	s_add_u32 s46, s36, s12
	s_addc_u32 s47, s37, s13
	s_load_dwordx2 s[34:35], s[10:11], 0x0
	s_load_dwordx2 s[44:45], s[46:47], 0x0
	v_cmp_lt_i64_e64 s[12:13], s[6:7], 2
	s_mov_b64 s[10:11], -1
	s_and_b64 vcc, exec, s[12:13]
	s_cbranch_vccz .LBB115_77
; %bb.8:
	s_cmp_lg_u64 s[6:7], 1
	s_cselect_b64 s[6:7], -1, 0
	s_waitcnt lgkmcnt(0)
	s_cmp_lg_u64 s[34:35], 0
	s_cselect_b64 s[10:11], -1, 0
	s_or_b64 s[10:11], s[6:7], s[10:11]
	s_mov_b64 s[6:7], -1
	s_and_b64 vcc, exec, s[10:11]
	s_cbranch_vccnz .LBB115_37
; %bb.9:
	v_pk_mov_b32 v[2:3], s[28:29], s[28:29] op_sel:[0,1]
	v_cmp_le_i64_e32 vcc, s[30:31], v[2:3]
	s_cbranch_vccnz .LBB115_36
; %bb.10:
	v_subrev_co_u32_e32 v1, vcc, s48, v0
	v_subb_co_u32_e64 v20, s[6:7], 0, 0, vcc
	v_cmp_neq_f64_e32 vcc, 0, v[10:11]
	v_cmp_neq_f64_e64 s[24:25], 0, v[12:13]
	s_or_b64 s[52:53], vcc, s[24:25]
	s_add_u32 s33, s36, 8
	s_addc_u32 s49, s37, 0
	s_mov_b32 s54, 0
	s_movk_i32 s6, 0x80
	s_add_u32 s64, s40, 4
	v_lshlrev_b32_e32 v21, 4, v0
	v_cmp_gt_u32_e64 s[6:7], s6, v0
	v_cmp_gt_u32_e64 s[10:11], 64, v0
	v_cmp_gt_u32_e64 s[12:13], 32, v0
	v_cmp_gt_u32_e64 s[14:15], 16, v0
	v_cmp_gt_u32_e64 s[16:17], 8, v0
	v_cmp_gt_u32_e64 s[18:19], 4, v0
	v_cmp_gt_u32_e64 s[20:21], 2, v0
	v_cmp_eq_u32_e64 s[22:23], 0, v0
	s_addc_u32 s65, s41, 0
	v_mov_b32_e32 v22, s54
	v_mov_b32_e32 v23, s43
	s_movk_i32 s66, 0x100
	v_mov_b32_e32 v24, 0
	s_mov_b64 s[56:57], s[44:45]
	s_mov_b64 s[54:55], s[28:29]
	s_branch .LBB115_13
.LBB115_11:                             ;   in Loop: Header=BB115_13 Depth=1
	s_or_b64 exec, exec, s[58:59]
	s_lshl_b64 s[58:59], s[54:55], 4
	s_add_u32 s58, s26, s58
	s_addc_u32 s59, s27, s59
	s_waitcnt lgkmcnt(0)
	global_store_dwordx4 v24, v[2:5], s[58:59]
.LBB115_12:                             ;   in Loop: Header=BB115_13 Depth=1
	s_or_b64 exec, exec, s[24:25]
	s_add_u32 s54, s54, 1
	s_addc_u32 s55, s55, 0
	v_pk_mov_b32 v[2:3], s[30:31], s[30:31] op_sel:[0,1]
	v_cmp_ge_i64_e32 vcc, s[54:55], v[2:3]
	s_cbranch_vccnz .LBB115_36
.LBB115_13:                             ; =>This Loop Header: Depth=1
                                        ;     Child Loop BB115_15 Depth 2
	s_mov_b64 s[24:25], s[56:57]
	s_lshl_b64 s[56:57], s[54:55], 3
	s_add_u32 s56, s33, s56
	s_addc_u32 s57, s49, s57
	s_load_dwordx2 s[56:57], s[56:57], 0x0
	v_mov_b32_e32 v2, s25
	v_add_co_u32_e32 v6, vcc, s24, v1
	v_addc_co_u32_e32 v7, vcc, v2, v20, vcc
	s_waitcnt lgkmcnt(0)
	s_sub_u32 s58, s56, s48
	s_subb_u32 s59, s57, 0
	v_pk_mov_b32 v[4:5], 0, 0
	v_cmp_gt_i64_e32 vcc, s[58:59], v[6:7]
	v_pk_mov_b32 v[2:3], v[4:5], v[4:5] op_sel:[0,1]
	s_and_saveexec_b64 s[60:61], vcc
	s_cbranch_execz .LBB115_17
; %bb.14:                               ;   in Loop: Header=BB115_13 Depth=1
	v_lshlrev_b64 v[2:3], 3, v[6:7]
	v_mov_b32_e32 v4, s65
	v_add_co_u32_e32 v8, vcc, s64, v2
	v_addc_co_u32_e32 v9, vcc, v4, v3, vcc
	v_mov_b32_e32 v4, s39
	v_add_co_u32_e32 v18, vcc, s38, v2
	v_addc_co_u32_e32 v19, vcc, v4, v3, vcc
	v_pk_mov_b32 v[4:5], 0, 0
	s_mov_b64 s[62:63], 0
	v_pk_mov_b32 v[2:3], v[4:5], v[4:5] op_sel:[0,1]
.LBB115_15:                             ;   Parent Loop BB115_13 Depth=1
                                        ; =>  This Inner Loop Header: Depth=2
	global_load_dwordx2 v[26:27], v[18:19], off
	global_load_dwordx2 v[30:31], v[8:9], off offset:-4
	s_waitcnt vmcnt(1)
	v_subrev_co_u32_e32 v26, vcc, s48, v26
	v_subb_co_u32_e32 v27, vcc, v27, v22, vcc
	v_lshlrev_b64 v[26:27], 4, v[26:27]
	v_add_co_u32_e32 v26, vcc, s42, v26
	v_addc_co_u32_e32 v27, vcc, v23, v27, vcc
	global_load_dwordx4 v[26:29], v[26:27], off
	v_add_co_u32_e32 v6, vcc, s66, v6
	s_waitcnt vmcnt(1)
	v_cndmask_b32_e64 v25, v31, -v31, s[50:51]
	v_addc_co_u32_e32 v7, vcc, 0, v7, vcc
	v_cvt_f64_f32_e32 v[32:33], v25
	v_add_co_u32_e32 v8, vcc, 0x800, v8
	v_cvt_f64_f32_e32 v[30:31], v30
	v_mul_f64 v[34:35], -v[16:17], v[32:33]
	v_mul_f64 v[32:33], v[14:15], v[32:33]
	v_addc_co_u32_e32 v9, vcc, 0, v9, vcc
	v_fmac_f64_e32 v[34:35], v[14:15], v[30:31]
	v_fmac_f64_e32 v[32:33], v[16:17], v[30:31]
	v_add_co_u32_e32 v18, vcc, 0x800, v18
	v_cmp_le_i64_e64 s[24:25], s[58:59], v[6:7]
	v_addc_co_u32_e32 v19, vcc, 0, v19, vcc
	s_or_b64 s[62:63], s[24:25], s[62:63]
	s_waitcnt vmcnt(0)
	v_fmac_f64_e32 v[2:3], v[34:35], v[26:27]
	v_fmac_f64_e32 v[4:5], v[32:33], v[26:27]
	v_fma_f64 v[2:3], -v[32:33], v[28:29], v[2:3]
	v_fmac_f64_e32 v[4:5], v[34:35], v[28:29]
	s_andn2_b64 exec, exec, s[62:63]
	s_cbranch_execnz .LBB115_15
; %bb.16:                               ;   in Loop: Header=BB115_13 Depth=1
	s_or_b64 exec, exec, s[62:63]
.LBB115_17:                             ;   in Loop: Header=BB115_13 Depth=1
	s_or_b64 exec, exec, s[60:61]
	ds_write_b128 v21, v[2:5]
	s_waitcnt lgkmcnt(0)
	s_barrier
	s_and_saveexec_b64 s[24:25], s[6:7]
	s_cbranch_execz .LBB115_19
; %bb.18:                               ;   in Loop: Header=BB115_13 Depth=1
	ds_read_b128 v[2:5], v21 offset:2048
	ds_read_b128 v[6:9], v21
	s_waitcnt lgkmcnt(0)
	v_add_f64 v[2:3], v[2:3], v[6:7]
	v_add_f64 v[4:5], v[4:5], v[8:9]
	ds_write_b128 v21, v[2:5]
.LBB115_19:                             ;   in Loop: Header=BB115_13 Depth=1
	s_or_b64 exec, exec, s[24:25]
	s_waitcnt lgkmcnt(0)
	s_barrier
	s_and_saveexec_b64 s[24:25], s[10:11]
	s_cbranch_execz .LBB115_21
; %bb.20:                               ;   in Loop: Header=BB115_13 Depth=1
	ds_read_b128 v[2:5], v21 offset:1024
	ds_read_b128 v[6:9], v21
	s_waitcnt lgkmcnt(0)
	v_add_f64 v[2:3], v[2:3], v[6:7]
	v_add_f64 v[4:5], v[4:5], v[8:9]
	ds_write_b128 v21, v[2:5]
.LBB115_21:                             ;   in Loop: Header=BB115_13 Depth=1
	s_or_b64 exec, exec, s[24:25]
	;; [unrolled: 13-line block ×6, first 2 shown]
	s_waitcnt lgkmcnt(0)
	s_barrier
	s_and_saveexec_b64 s[24:25], s[20:21]
	s_cbranch_execz .LBB115_31
; %bb.30:                               ;   in Loop: Header=BB115_13 Depth=1
	ds_read_b128 v[2:5], v21
	ds_read_b128 v[6:9], v21 offset:32
	s_waitcnt lgkmcnt(0)
	v_add_f64 v[2:3], v[6:7], v[2:3]
	v_add_f64 v[4:5], v[8:9], v[4:5]
	ds_write_b128 v21, v[2:5]
.LBB115_31:                             ;   in Loop: Header=BB115_13 Depth=1
	s_or_b64 exec, exec, s[24:25]
	s_waitcnt lgkmcnt(0)
	s_barrier
	s_and_saveexec_b64 s[24:25], s[22:23]
	s_cbranch_execz .LBB115_33
; %bb.32:                               ;   in Loop: Header=BB115_13 Depth=1
	ds_read_b128 v[2:5], v24
	ds_read_b128 v[6:9], v24 offset:16
	s_waitcnt lgkmcnt(0)
	v_add_f64 v[2:3], v[6:7], v[2:3]
	v_add_f64 v[4:5], v[8:9], v[4:5]
	ds_write_b128 v24, v[2:5]
.LBB115_33:                             ;   in Loop: Header=BB115_13 Depth=1
	s_or_b64 exec, exec, s[24:25]
	s_waitcnt lgkmcnt(0)
	s_barrier
	s_and_saveexec_b64 s[24:25], s[22:23]
	s_cbranch_execz .LBB115_12
; %bb.34:                               ;   in Loop: Header=BB115_13 Depth=1
	ds_read_b128 v[2:5], v24
	s_and_saveexec_b64 s[58:59], s[52:53]
	s_cbranch_execz .LBB115_11
; %bb.35:                               ;   in Loop: Header=BB115_13 Depth=1
	s_lshl_b64 s[60:61], s[54:55], 4
	s_add_u32 s60, s26, s60
	s_addc_u32 s61, s27, s61
	global_load_dwordx4 v[6:9], v24, s[60:61]
	s_waitcnt vmcnt(0) lgkmcnt(0)
	v_fmac_f64_e32 v[2:3], v[10:11], v[6:7]
	v_fmac_f64_e32 v[4:5], v[12:13], v[6:7]
	v_fma_f64 v[2:3], -v[12:13], v[8:9], v[2:3]
	v_fmac_f64_e32 v[4:5], v[10:11], v[8:9]
	s_branch .LBB115_11
.LBB115_36:
	s_mov_b64 s[6:7], 0
.LBB115_37:
	s_andn2_b64 vcc, exec, s[6:7]
	s_cbranch_vccnz .LBB115_76
; %bb.38:
	s_load_dwordx2 s[12:13], s[4:5], 0x18
	s_sub_u32 s14, s8, s34
	s_subb_u32 s15, s9, s35
	s_lshl_b64 s[6:7], s[8:9], 2
	v_pk_mov_b32 v[2:3], 0, 0
	s_waitcnt lgkmcnt(0)
	s_add_u32 s10, s12, s6
	s_addc_u32 s11, s13, s7
	s_load_dword s24, s[10:11], 0x0
	s_cmp_eq_u64 s[34:35], 0
	s_cselect_b64 s[8:9], -1, 0
	s_cmp_lg_u64 s[34:35], 0
	v_cmp_eq_u32_e64 s[6:7], 0, v0
	s_cselect_b64 s[16:17], -1, 0
	s_mov_b32 s25, 0
	s_and_b64 s[18:19], s[6:7], s[8:9]
	v_pk_mov_b32 v[4:5], v[2:3], v[2:3] op_sel:[0,1]
	s_and_saveexec_b64 s[8:9], s[18:19]
	s_cbranch_execz .LBB115_42
; %bb.39:
	s_lshl_b64 s[20:21], s[28:29], 4
	s_add_u32 s20, s26, s20
	s_addc_u32 s21, s27, s21
	v_mov_b32_e32 v1, 0
	global_load_dwordx4 v[6:9], v1, s[20:21]
	s_mov_b64 s[18:19], exec
	v_mbcnt_lo_u32_b32 v2, s18, 0
	v_add_f64 v[18:19], v[10:11], -1.0
	v_mbcnt_hi_u32_b32 v20, s19, v2
	v_cmp_eq_u32_e32 vcc, 0, v20
	s_waitcnt vmcnt(0) expcnt(0) lgkmcnt(0)
	v_mul_f64 v[2:3], v[8:9], -v[12:13]
	v_mul_f64 v[4:5], v[18:19], v[8:9]
	s_and_saveexec_b64 s[20:21], vcc
	s_cbranch_execz .LBB115_41
; %bb.40:
	s_lshl_b64 s[22:23], s[14:15], 2
	s_add_u32 s22, s12, s22
	s_addc_u32 s23, s13, s23
	s_bcnt1_i32_b64 s18, s[18:19]
	s_and_b32 s18, s18, 1
	v_mov_b32_e32 v8, s18
	global_atomic_xor v1, v8, s[22:23]
.LBB115_41:
	s_or_b64 exec, exec, s[20:21]
	v_fmac_f64_e32 v[2:3], v[18:19], v[6:7]
	v_fmac_f64_e32 v[4:5], v[12:13], v[6:7]
.LBB115_42:
	s_or_b64 exec, exec, s[8:9]
	s_mul_i32 s8, s35, 0xc00
	s_mul_hi_u32 s9, s34, 0xc00
	s_add_i32 s18, s9, s8
	s_load_dwordx2 s[8:9], s[46:47], 0x8
	s_sub_u32 s20, s44, s48
	s_mul_i32 s19, s34, 0xc00
	s_subb_u32 s21, s45, 0
	s_add_u32 s20, s20, s19
	s_addc_u32 s21, s21, s18
	s_waitcnt lgkmcnt(0)
	s_sub_u32 s8, s8, s48
	v_mov_b32_e32 v1, s21
	v_add_co_u32_e32 v6, vcc, s20, v0
	s_subb_u32 s9, s9, 0
	v_addc_co_u32_e32 v7, vcc, 0, v1, vcc
	v_cmp_gt_i64_e32 vcc, s[8:9], v[6:7]
	s_and_saveexec_b64 s[18:19], vcc
	s_cbranch_execz .LBB115_46
; %bb.43:
	s_add_u32 s20, s20, 0xc00
	s_addc_u32 s21, s21, 0
	v_pk_mov_b32 v[8:9], s[8:9], s[8:9] op_sel:[0,1]
	v_cmp_lt_i64_e32 vcc, s[20:21], v[8:9]
	v_lshlrev_b64 v[18:19], 3, v[6:7]
	s_and_b64 s[22:23], vcc, exec
	v_mov_b32_e32 v1, s41
	v_add_co_u32_e32 v8, vcc, s40, v18
	v_addc_co_u32_e32 v1, vcc, v19, v1, vcc
	v_add_co_u32_e32 v8, vcc, 4, v8
	v_addc_co_u32_e32 v9, vcc, 0, v1, vcc
	v_mov_b32_e32 v1, s39
	v_add_co_u32_e32 v18, vcc, s38, v18
	s_cselect_b32 s21, s21, s9
	s_cselect_b32 s20, s20, s8
	v_addc_co_u32_e32 v19, vcc, v1, v19, vcc
	s_mov_b64 s[22:23], 0
	v_mov_b32_e32 v1, s25
	v_mov_b32_e32 v20, s43
	s_movk_i32 s25, 0x100
.LBB115_44:                             ; =>This Inner Loop Header: Depth=1
	global_load_dwordx2 v[22:23], v[18:19], off
	global_load_dwordx2 v[26:27], v[8:9], off offset:-4
	s_waitcnt vmcnt(1)
	v_subrev_co_u32_e32 v22, vcc, s48, v22
	v_subb_co_u32_e32 v23, vcc, v23, v1, vcc
	v_lshlrev_b64 v[22:23], 4, v[22:23]
	v_add_co_u32_e32 v22, vcc, s42, v22
	v_addc_co_u32_e32 v23, vcc, v20, v23, vcc
	global_load_dwordx4 v[22:25], v[22:23], off
	v_add_co_u32_e32 v6, vcc, s25, v6
	s_waitcnt vmcnt(1)
	v_cndmask_b32_e64 v21, v27, -v27, s[50:51]
	v_addc_co_u32_e32 v7, vcc, 0, v7, vcc
	v_cvt_f64_f32_e32 v[28:29], v21
	v_add_co_u32_e32 v8, vcc, 0x800, v8
	v_cvt_f64_f32_e32 v[26:27], v26
	v_mul_f64 v[30:31], -v[16:17], v[28:29]
	v_mul_f64 v[28:29], v[14:15], v[28:29]
	v_addc_co_u32_e32 v9, vcc, 0, v9, vcc
	v_fmac_f64_e32 v[30:31], v[14:15], v[26:27]
	v_fmac_f64_e32 v[28:29], v[16:17], v[26:27]
	v_add_co_u32_e32 v18, vcc, 0x800, v18
	v_cmp_le_i64_e64 s[8:9], s[20:21], v[6:7]
	v_addc_co_u32_e32 v19, vcc, 0, v19, vcc
	s_or_b64 s[22:23], s[8:9], s[22:23]
	s_waitcnt vmcnt(0)
	v_fmac_f64_e32 v[2:3], v[30:31], v[22:23]
	v_fmac_f64_e32 v[4:5], v[28:29], v[22:23]
	v_fma_f64 v[2:3], -v[28:29], v[24:25], v[2:3]
	v_fmac_f64_e32 v[4:5], v[30:31], v[24:25]
	s_andn2_b64 exec, exec, s[22:23]
	s_cbranch_execnz .LBB115_44
; %bb.45:
	s_or_b64 exec, exec, s[22:23]
.LBB115_46:
	s_or_b64 exec, exec, s[18:19]
	s_movk_i32 s8, 0x80
	v_lshlrev_b32_e32 v1, 4, v0
	v_cmp_gt_u32_e32 vcc, s8, v0
	ds_write_b128 v1, v[2:5]
	s_waitcnt lgkmcnt(0)
	s_barrier
	s_and_saveexec_b64 s[8:9], vcc
	s_cbranch_execz .LBB115_48
; %bb.47:
	ds_read_b128 v[2:5], v1 offset:2048
	ds_read_b128 v[6:9], v1
	s_waitcnt lgkmcnt(0)
	v_add_f64 v[2:3], v[2:3], v[6:7]
	v_add_f64 v[4:5], v[4:5], v[8:9]
	ds_write_b128 v1, v[2:5]
.LBB115_48:
	s_or_b64 exec, exec, s[8:9]
	v_cmp_gt_u32_e32 vcc, 64, v0
	s_waitcnt lgkmcnt(0)
	s_barrier
	s_and_saveexec_b64 s[8:9], vcc
	s_cbranch_execz .LBB115_50
; %bb.49:
	ds_read_b128 v[2:5], v1 offset:1024
	ds_read_b128 v[6:9], v1
	s_waitcnt lgkmcnt(0)
	v_add_f64 v[2:3], v[2:3], v[6:7]
	v_add_f64 v[4:5], v[4:5], v[8:9]
	ds_write_b128 v1, v[2:5]
.LBB115_50:
	s_or_b64 exec, exec, s[8:9]
	v_cmp_gt_u32_e32 vcc, 32, v0
	;; [unrolled: 14-line block ×6, first 2 shown]
	s_waitcnt lgkmcnt(0)
	s_barrier
	s_and_saveexec_b64 s[8:9], vcc
	s_cbranch_execz .LBB115_60
; %bb.59:
	ds_read_b128 v[2:5], v1
	ds_read_b128 v[6:9], v1 offset:32
	s_waitcnt lgkmcnt(0)
	v_add_f64 v[2:3], v[6:7], v[2:3]
	v_add_f64 v[4:5], v[8:9], v[4:5]
	ds_write_b128 v1, v[2:5]
.LBB115_60:
	s_or_b64 exec, exec, s[8:9]
	s_waitcnt lgkmcnt(0)
	s_barrier
	s_and_saveexec_b64 s[8:9], s[6:7]
	s_cbranch_execz .LBB115_62
; %bb.61:
	v_mov_b32_e32 v1, 0
	ds_read_b128 v[2:5], v1
	ds_read_b128 v[6:9], v1 offset:16
	s_waitcnt lgkmcnt(0)
	v_add_f64 v[2:3], v[6:7], v[2:3]
	v_add_f64 v[4:5], v[8:9], v[4:5]
	ds_write_b128 v1, v[2:5]
.LBB115_62:
	s_or_b64 exec, exec, s[8:9]
	s_waitcnt lgkmcnt(0)
	s_barrier
	s_and_saveexec_b64 s[8:9], s[6:7]
	s_cbranch_execz .LBB115_75
; %bb.63:
	s_andn2_b64 vcc, exec, s[16:17]
	s_cbranch_vccnz .LBB115_69
; %bb.64:
	s_lshl_b64 s[6:7], s[14:15], 2
	s_add_u32 s6, s12, s6
	s_addc_u32 s7, s13, s7
	v_mov_b32_e32 v1, 0
	s_branch .LBB115_66
.LBB115_65:                             ;   in Loop: Header=BB115_66 Depth=1
	s_or_b64 exec, exec, s[12:13]
	s_waitcnt vmcnt(0)
	v_readfirstlane_b32 s12, v2
	s_cmp_eq_u32 s12, s24
	s_cbranch_scc0 .LBB115_68
.LBB115_66:                             ; =>This Inner Loop Header: Depth=1
	v_mbcnt_lo_u32_b32 v2, exec_lo, 0
	v_mbcnt_hi_u32_b32 v2, exec_hi, v2
	v_cmp_eq_u32_e32 vcc, 0, v2
                                        ; implicit-def: $vgpr2
	s_and_saveexec_b64 s[12:13], vcc
	s_cbranch_execz .LBB115_65
; %bb.67:                               ;   in Loop: Header=BB115_66 Depth=1
	global_load_dword v2, v1, s[6:7] glc
	s_branch .LBB115_65
.LBB115_68:
	v_mov_b32_e32 v1, 0
	global_load_dword v2, v1, s[10:11]
	s_waitcnt vmcnt(0)
	v_xor_b32_e32 v2, 1, v2
	global_store_dword v1, v2, s[10:11]
.LBB115_69:
	v_mov_b32_e32 v1, 0
	ds_read_b128 v[2:5], v1
	s_mov_b64 s[12:13], exec
	s_lshl_b64 s[6:7], s[28:29], 4
	v_mbcnt_lo_u32_b32 v6, s12, 0
	s_add_u32 s6, s26, s6
	v_mbcnt_hi_u32_b32 v6, s13, v6
	s_addc_u32 s7, s27, s7
	v_cmp_eq_u32_e32 vcc, 0, v6
	s_and_saveexec_b64 s[10:11], vcc
	s_cbranch_execz .LBB115_72
; %bb.70:
	global_load_dwordx2 v[8:9], v1, s[6:7]
	s_bcnt1_i32_b64 s12, s[12:13]
	v_cvt_f64_u32_e32 v[6:7], s12
	s_waitcnt lgkmcnt(0)
	v_mul_f64 v[2:3], v[2:3], v[6:7]
	s_mov_b64 s[12:13], 0
.LBB115_71:                             ; =>This Inner Loop Header: Depth=1
	s_waitcnt vmcnt(0)
	v_add_f64 v[6:7], v[8:9], v[2:3]
	global_atomic_cmpswap_x2 v[6:7], v1, v[6:9], s[6:7] glc
	s_waitcnt vmcnt(0)
	v_cmp_eq_u64_e32 vcc, v[6:7], v[8:9]
	s_or_b64 s[12:13], vcc, s[12:13]
	v_pk_mov_b32 v[8:9], v[6:7], v[6:7] op_sel:[0,1]
	s_andn2_b64 exec, exec, s[12:13]
	s_cbranch_execnz .LBB115_71
.LBB115_72:
	s_or_b64 exec, exec, s[10:11]
	s_mov_b64 s[10:11], exec
	v_mbcnt_lo_u32_b32 v1, s10, 0
	v_mbcnt_hi_u32_b32 v1, s11, v1
	v_cmp_eq_u32_e32 vcc, 0, v1
	s_and_b64 s[12:13], exec, vcc
	s_mov_b64 exec, s[12:13]
	s_cbranch_execz .LBB115_75
; %bb.73:
	v_mov_b32_e32 v1, 0
	global_load_dwordx2 v[6:7], v1, s[6:7] offset:8
	s_bcnt1_i32_b64 s10, s[10:11]
	s_waitcnt lgkmcnt(0)
	v_cvt_f64_u32_e32 v[2:3], s10
	v_mul_f64 v[2:3], v[4:5], v[2:3]
	s_mov_b64 s[10:11], 0
.LBB115_74:                             ; =>This Inner Loop Header: Depth=1
	s_waitcnt vmcnt(0)
	v_add_f64 v[4:5], v[6:7], v[2:3]
	global_atomic_cmpswap_x2 v[4:5], v1, v[4:7], s[6:7] offset:8 glc
	s_waitcnt vmcnt(0)
	v_cmp_eq_u64_e32 vcc, v[4:5], v[6:7]
	s_or_b64 s[10:11], vcc, s[10:11]
	v_pk_mov_b32 v[6:7], v[4:5], v[4:5] op_sel:[0,1]
	s_andn2_b64 exec, exec, s[10:11]
	s_cbranch_execnz .LBB115_74
.LBB115_75:
	s_or_b64 exec, exec, s[8:9]
.LBB115_76:
	s_mov_b64 s[10:11], 0
.LBB115_77:
	s_andn2_b64 vcc, exec, s[10:11]
	s_cbranch_vccnz .LBB115_121
; %bb.78:
	s_load_dwordx2 s[4:5], s[4:5], 0x8
	v_subrev_co_u32_e32 v1, vcc, s48, v0
	s_waitcnt lgkmcnt(0)
	v_subb_co_u32_e64 v3, s[6:7], 0, 0, vcc
	v_mov_b32_e32 v4, s45
	v_add_co_u32_e32 v2, vcc, s44, v1
	v_addc_co_u32_e32 v3, vcc, v4, v3, vcc
	v_add_co_u32_e32 v4, vcc, 0x300, v2
	v_addc_co_u32_e32 v5, vcc, 0, v3, vcc
	s_mov_b32 s14, 0
	v_cmp_le_i64_e32 vcc, s[4:5], v[4:5]
	s_and_saveexec_b64 s[4:5], vcc
	s_xor_b64 s[6:7], exec, s[4:5]
	s_cbranch_execz .LBB115_83
; %bb.79:
	s_lshl_b64 s[4:5], s[30:31], 3
	s_add_u32 s4, s36, s4
	s_addc_u32 s5, s37, s5
	s_load_dwordx2 s[4:5], s[4:5], 0x0
	s_waitcnt lgkmcnt(0)
	s_sub_u32 s8, s4, s48
	s_subb_u32 s9, s5, 0
	v_cmp_gt_i64_e32 vcc, s[8:9], v[2:3]
	s_and_saveexec_b64 s[10:11], vcc
	s_cbranch_execz .LBB115_82
; %bb.80:
	v_lshlrev_b64 v[6:7], 3, v[2:3]
	v_mov_b32_e32 v5, s39
	v_add_co_u32_e32 v4, vcc, s38, v6
	v_addc_co_u32_e32 v5, vcc, v5, v7, vcc
	v_mov_b32_e32 v8, s41
	v_add_co_u32_e32 v6, vcc, s40, v6
	v_addc_co_u32_e32 v7, vcc, v7, v8, vcc
	v_add_co_u32_e32 v6, vcc, 4, v6
	v_lshlrev_b32_e32 v1, 4, v0
	v_addc_co_u32_e32 v7, vcc, 0, v7, vcc
	s_mov_b64 s[12:13], 0
	v_mov_b32_e32 v8, s14
	v_mov_b32_e32 v9, s43
	s_movk_i32 s15, 0x100
.LBB115_81:                             ; =>This Inner Loop Header: Depth=1
	global_load_dwordx2 v[18:19], v[4:5], off
	global_load_dwordx2 v[22:23], v[6:7], off offset:-4
	s_waitcnt vmcnt(1)
	v_subrev_co_u32_e32 v18, vcc, s48, v18
	v_subb_co_u32_e32 v19, vcc, v19, v8, vcc
	v_lshlrev_b64 v[18:19], 4, v[18:19]
	v_add_co_u32_e32 v18, vcc, s42, v18
	v_addc_co_u32_e32 v19, vcc, v9, v19, vcc
	global_load_dwordx4 v[18:21], v[18:19], off
	s_waitcnt vmcnt(1)
	v_cndmask_b32_e64 v24, v23, -v23, s[50:51]
	v_add_co_u32_e32 v2, vcc, s15, v2
	v_cvt_f64_f32_e32 v[24:25], v24
	v_addc_co_u32_e32 v3, vcc, 0, v3, vcc
	v_cvt_f64_f32_e32 v[22:23], v22
	v_mul_f64 v[26:27], -v[16:17], v[24:25]
	v_mul_f64 v[28:29], v[14:15], v[24:25]
	v_add_co_u32_e32 v4, vcc, 0x800, v4
	v_fmac_f64_e32 v[26:27], v[14:15], v[22:23]
	v_fmac_f64_e32 v[28:29], v[16:17], v[22:23]
	v_addc_co_u32_e32 v5, vcc, 0, v5, vcc
	v_add_co_u32_e32 v6, vcc, 0x800, v6
	v_cmp_le_i64_e64 s[4:5], s[8:9], v[2:3]
	v_addc_co_u32_e32 v7, vcc, 0, v7, vcc
	s_or_b64 s[12:13], s[4:5], s[12:13]
	s_waitcnt vmcnt(0)
	v_mul_f64 v[22:23], v[20:21], -v[28:29]
	v_mul_f64 v[24:25], v[20:21], v[26:27]
	v_fmac_f64_e32 v[22:23], v[26:27], v[18:19]
	v_fmac_f64_e32 v[24:25], v[28:29], v[18:19]
	ds_write_b128 v1, v[22:25]
	v_add_u32_e32 v1, 0x1000, v1
	s_andn2_b64 exec, exec, s[12:13]
	s_cbranch_execnz .LBB115_81
.LBB115_82:
	s_or_b64 exec, exec, s[10:11]
                                        ; implicit-def: $vgpr2_vgpr3
                                        ; implicit-def: $vgpr16_vgpr17
                                        ; implicit-def: $vgpr14_vgpr15
.LBB115_83:
	s_or_saveexec_b64 s[4:5], s[6:7]
	v_lshlrev_b32_e32 v18, 4, v0
	s_xor_b64 exec, exec, s[4:5]
	s_cbranch_execz .LBB115_85
; %bb.84:
	v_lshlrev_b64 v[2:3], 3, v[2:3]
	v_mov_b32_e32 v1, s39
	v_add_co_u32_e32 v4, vcc, s38, v2
	v_addc_co_u32_e32 v5, vcc, v1, v3, vcc
	global_load_dwordx2 v[6:7], v[4:5], off
	global_load_dwordx2 v[8:9], v[4:5], off offset:2048
	s_movk_i32 s6, 0x1000
	v_add_co_u32_e32 v4, vcc, s6, v4
	v_addc_co_u32_e32 v5, vcc, 0, v5, vcc
	global_load_dwordx2 v[20:21], v[4:5], off
	global_load_dwordx2 v[22:23], v[4:5], off offset:2048
	v_mov_b32_e32 v1, s41
	v_add_co_u32_e32 v2, vcc, s40, v2
	v_addc_co_u32_e32 v3, vcc, v1, v3, vcc
	global_load_dwordx2 v[28:29], v[2:3], off
	global_load_dwordx2 v[30:31], v[2:3], off offset:2048
	v_add_co_u32_e32 v2, vcc, s6, v2
	v_addc_co_u32_e32 v3, vcc, 0, v3, vcc
	v_mov_b32_e32 v19, s14
	global_load_dwordx2 v[32:33], v[2:3], off
	global_load_dwordx2 v[34:35], v[2:3], off offset:2048
	v_mov_b32_e32 v36, s43
	s_waitcnt vmcnt(7)
	v_subrev_co_u32_e32 v2, vcc, s48, v6
	v_subb_co_u32_e32 v3, vcc, v7, v19, vcc
	s_waitcnt vmcnt(6)
	v_subrev_co_u32_e32 v4, vcc, s48, v8
	v_subb_co_u32_e32 v5, vcc, v9, v19, vcc
	;; [unrolled: 3-line block ×3, first 2 shown]
	s_waitcnt vmcnt(4)
	v_subrev_co_u32_e32 v8, vcc, s48, v22
	v_lshlrev_b64 v[2:3], 4, v[2:3]
	v_subb_co_u32_e32 v9, vcc, v23, v19, vcc
	v_add_co_u32_e32 v20, vcc, s42, v2
	v_lshlrev_b64 v[4:5], 4, v[4:5]
	v_addc_co_u32_e32 v21, vcc, v36, v3, vcc
	v_add_co_u32_e32 v22, vcc, s42, v4
	v_addc_co_u32_e32 v23, vcc, v36, v5, vcc
	v_lshlrev_b64 v[24:25], 4, v[6:7]
	v_lshlrev_b64 v[26:27], 4, v[8:9]
	global_load_dwordx4 v[2:5], v[20:21], off
	global_load_dwordx4 v[6:9], v[22:23], off
	v_add_co_u32_e32 v20, vcc, s42, v24
	v_addc_co_u32_e32 v21, vcc, v36, v25, vcc
	v_add_co_u32_e32 v24, vcc, s42, v26
	global_load_dwordx4 v[20:23], v[20:21], off
	v_addc_co_u32_e32 v25, vcc, v36, v27, vcc
	global_load_dwordx4 v[24:27], v[24:25], off
	s_waitcnt vmcnt(7)
	v_cndmask_b32_e64 v1, v29, -v29, s[50:51]
	s_waitcnt vmcnt(6)
	v_cndmask_b32_e64 v19, v31, -v31, s[50:51]
	v_cvt_f64_f32_e32 v[36:37], v1
	v_cvt_f64_f32_e32 v[38:39], v19
	s_waitcnt vmcnt(5)
	v_cndmask_b32_e64 v1, v33, -v33, s[50:51]
	s_waitcnt vmcnt(4)
	v_cndmask_b32_e64 v19, v35, -v35, s[50:51]
	v_cvt_f64_f32_e32 v[28:29], v28
	v_mul_f64 v[40:41], -v[16:17], v[36:37]
	v_mul_f64 v[36:37], v[14:15], v[36:37]
	v_cvt_f64_f32_e32 v[44:45], v1
	v_cvt_f64_f32_e32 v[46:47], v19
	;; [unrolled: 1-line block ×5, first 2 shown]
	v_mul_f64 v[42:43], -v[16:17], v[38:39]
	v_mul_f64 v[38:39], v[14:15], v[38:39]
	v_fmac_f64_e32 v[40:41], v[14:15], v[28:29]
	v_fmac_f64_e32 v[36:37], v[16:17], v[28:29]
	v_mul_f64 v[48:49], -v[16:17], v[44:45]
	v_mul_f64 v[44:45], v[14:15], v[44:45]
	v_mul_f64 v[50:51], -v[16:17], v[46:47]
	v_mul_f64 v[46:47], v[14:15], v[46:47]
	v_fmac_f64_e32 v[42:43], v[14:15], v[30:31]
	v_fmac_f64_e32 v[38:39], v[16:17], v[30:31]
	;; [unrolled: 1-line block ×6, first 2 shown]
	s_waitcnt vmcnt(3)
	v_mul_f64 v[14:15], v[4:5], -v[36:37]
	v_mul_f64 v[16:17], v[4:5], v[40:41]
	s_waitcnt vmcnt(2)
	v_mul_f64 v[28:29], v[8:9], -v[38:39]
	v_mul_f64 v[30:31], v[8:9], v[42:43]
	v_fmac_f64_e32 v[14:15], v[40:41], v[2:3]
	v_fmac_f64_e32 v[16:17], v[36:37], v[2:3]
	;; [unrolled: 1-line block ×4, first 2 shown]
	s_waitcnt vmcnt(1)
	v_mul_f64 v[2:3], v[22:23], -v[44:45]
	v_mul_f64 v[4:5], v[22:23], v[48:49]
	v_fmac_f64_e32 v[2:3], v[48:49], v[20:21]
	s_waitcnt vmcnt(0)
	v_mul_f64 v[6:7], v[26:27], -v[46:47]
	v_mul_f64 v[8:9], v[26:27], v[50:51]
	v_fmac_f64_e32 v[4:5], v[44:45], v[20:21]
	ds_write_b128 v18, v[14:17]
	ds_write_b128 v18, v[28:31] offset:4096
	v_fmac_f64_e32 v[6:7], v[50:51], v[24:25]
	v_fmac_f64_e32 v[8:9], v[46:47], v[24:25]
	ds_write_b128 v18, v[2:5] offset:8192
	ds_write_b128 v18, v[6:9] offset:12288
.LBB115_85:
	s_or_b64 exec, exec, s[4:5]
	v_cmp_lt_i64_e64 s[6:7], s[34:35], 2
	s_mov_b64 s[4:5], -1
	s_and_b64 vcc, exec, s[6:7]
	s_waitcnt lgkmcnt(0)
	s_barrier
	s_cbranch_vccz .LBB115_96
; %bb.86:
	v_mov_b32_e32 v1, s29
	v_add_co_u32_e32 v14, vcc, s28, v0
	v_addc_co_u32_e32 v15, vcc, 0, v1, vcc
	v_cmp_gt_i64_e32 vcc, s[30:31], v[14:15]
	s_and_saveexec_b64 s[6:7], vcc
	s_cbranch_execz .LBB115_95
; %bb.87:
	v_cmp_neq_f64_e32 vcc, 0, v[10:11]
	v_cmp_neq_f64_e64 s[4:5], 0, v[12:13]
	s_lshl_b32 s10, s44, 4
	s_mov_b64 s[8:9], 0
	s_or_b64 s[4:5], vcc, s[4:5]
	s_sub_i32 s14, 0, s10
	v_mov_b32_e32 v1, s37
	v_mov_b32_e32 v19, s27
	s_branch .LBB115_89
.LBB115_88:                             ;   in Loop: Header=BB115_89 Depth=1
	s_or_b64 exec, exec, s[10:11]
	v_add_co_u32_e32 v6, vcc, s26, v6
	v_addc_co_u32_e32 v7, vcc, v19, v7, vcc
	v_add_co_u32_e32 v14, vcc, 0x100, v14
	v_addc_co_u32_e32 v15, vcc, 0, v15, vcc
	v_cmp_le_i64_e32 vcc, s[30:31], v[14:15]
	s_or_b64 s[8:9], vcc, s[8:9]
	global_store_dwordx4 v[6:7], v[2:5], off
	s_andn2_b64 exec, exec, s[8:9]
	s_cbranch_execz .LBB115_95
.LBB115_89:                             ; =>This Loop Header: Depth=1
                                        ;     Child Loop BB115_91 Depth 2
	v_lshlrev_b64 v[2:3], 3, v[14:15]
	v_add_co_u32_e32 v2, vcc, s36, v2
	v_addc_co_u32_e32 v3, vcc, v1, v3, vcc
	global_load_dwordx4 v[6:9], v[2:3], off
	v_pk_mov_b32 v[4:5], 0, 0
	v_pk_mov_b32 v[2:3], v[4:5], v[4:5] op_sel:[0,1]
	s_waitcnt vmcnt(0)
	v_cmp_lt_i64_e32 vcc, v[6:7], v[8:9]
	s_and_saveexec_b64 s[10:11], vcc
	s_cbranch_execz .LBB115_93
; %bb.90:                               ;   in Loop: Header=BB115_89 Depth=1
	v_mov_b32_e32 v2, s45
	v_subrev_co_u32_e32 v8, vcc, s44, v8
	v_subb_co_u32_e32 v9, vcc, v9, v2, vcc
	v_subrev_co_u32_e32 v16, vcc, s44, v6
	v_pk_mov_b32 v[4:5], 0, 0
	v_subb_co_u32_e32 v17, vcc, v7, v2, vcc
	v_lshl_add_u32 v6, v6, 4, s14
	s_mov_b64 s[12:13], 0
	v_pk_mov_b32 v[2:3], v[4:5], v[4:5] op_sel:[0,1]
.LBB115_91:                             ;   Parent Loop BB115_89 Depth=1
                                        ; =>  This Inner Loop Header: Depth=2
	ds_read_b128 v[20:23], v6
	v_add_co_u32_e32 v16, vcc, 1, v16
	v_addc_co_u32_e32 v17, vcc, 0, v17, vcc
	v_cmp_ge_i64_e32 vcc, v[16:17], v[8:9]
	v_add_u32_e32 v6, 16, v6
	s_or_b64 s[12:13], vcc, s[12:13]
	s_waitcnt lgkmcnt(0)
	v_add_f64 v[2:3], v[2:3], v[20:21]
	v_add_f64 v[4:5], v[4:5], v[22:23]
	s_andn2_b64 exec, exec, s[12:13]
	s_cbranch_execnz .LBB115_91
; %bb.92:                               ;   in Loop: Header=BB115_89 Depth=1
	s_or_b64 exec, exec, s[12:13]
.LBB115_93:                             ;   in Loop: Header=BB115_89 Depth=1
	s_or_b64 exec, exec, s[10:11]
	v_lshlrev_b64 v[6:7], 4, v[14:15]
	s_and_saveexec_b64 s[10:11], s[4:5]
	s_cbranch_execz .LBB115_88
; %bb.94:                               ;   in Loop: Header=BB115_89 Depth=1
	v_mov_b32_e32 v9, s27
	v_add_co_u32_e32 v8, vcc, s26, v6
	v_addc_co_u32_e32 v9, vcc, v9, v7, vcc
	global_load_dwordx4 v[20:23], v[8:9], off
	s_waitcnt vmcnt(0)
	v_fmac_f64_e32 v[2:3], v[10:11], v[20:21]
	v_fmac_f64_e32 v[4:5], v[12:13], v[20:21]
	v_fma_f64 v[2:3], -v[12:13], v[22:23], v[2:3]
	v_fmac_f64_e32 v[4:5], v[10:11], v[22:23]
	s_branch .LBB115_88
.LBB115_95:
	s_or_b64 exec, exec, s[6:7]
	s_mov_b64 s[4:5], 0
.LBB115_96:
	s_andn2_b64 vcc, exec, s[4:5]
	s_cbranch_vccnz .LBB115_121
; %bb.97:
	s_flbit_i32_b32 s4, s34
	s_min_u32 s4, s4, 32
	s_sub_i32 s4, 31, s4
	v_lshrrev_b32_e32 v8, s4, v0
	v_mov_b32_e32 v1, s29
	v_add_co_u32_e32 v4, vcc, s28, v8
	s_add_i32 s4, s34, -1
	v_addc_co_u32_e32 v5, vcc, 0, v1, vcc
	v_and_b32_e32 v6, s4, v0
	v_pk_mov_b32 v[0:1], 0, 0
	v_and_b32_e64 v7, s4, 0
	v_cmp_le_i64_e64 s[4:5], s[30:31], v[4:5]
	v_cmp_gt_i64_e32 vcc, s[30:31], v[4:5]
	v_pk_mov_b32 v[2:3], v[0:1], v[0:1] op_sel:[0,1]
	s_and_saveexec_b64 s[6:7], vcc
	s_cbranch_execz .LBB115_103
; %bb.98:
	v_lshlrev_b32_e32 v0, 3, v8
	global_load_dwordx4 v[14:17], v0, s[46:47]
	v_mov_b32_e32 v0, s45
	v_subrev_co_u32_e32 v1, vcc, s44, v6
	v_subb_co_u32_e32 v19, vcc, v7, v0, vcc
	v_pk_mov_b32 v[2:3], 0, 0
	s_waitcnt vmcnt(0)
	v_subrev_co_u32_e32 v8, vcc, s44, v16
	v_subb_co_u32_e32 v9, vcc, v17, v0, vcc
	v_add_co_u32_e32 v14, vcc, v14, v1
	v_addc_co_u32_e32 v15, vcc, v15, v19, vcc
	v_cmp_lt_i64_e32 vcc, v[14:15], v[8:9]
	v_pk_mov_b32 v[0:1], v[2:3], v[2:3] op_sel:[0,1]
	s_and_saveexec_b64 s[8:9], vcc
	s_cbranch_execz .LBB115_102
; %bb.99:
	v_pk_mov_b32 v[2:3], 0, 0
	v_lshlrev_b32_e32 v16, 4, v14
	s_lshl_b32 s12, s34, 4
	s_mov_b64 s[10:11], 0
	v_mov_b32_e32 v17, s35
	v_pk_mov_b32 v[0:1], v[2:3], v[2:3] op_sel:[0,1]
.LBB115_100:                            ; =>This Inner Loop Header: Depth=1
	ds_read_b128 v[20:23], v16
	v_add_co_u32_e32 v14, vcc, s34, v14
	v_addc_co_u32_e32 v15, vcc, v15, v17, vcc
	v_cmp_ge_i64_e32 vcc, v[14:15], v[8:9]
	v_add_u32_e32 v16, s12, v16
	s_or_b64 s[10:11], vcc, s[10:11]
	s_waitcnt lgkmcnt(0)
	v_add_f64 v[0:1], v[0:1], v[20:21]
	v_add_f64 v[2:3], v[2:3], v[22:23]
	s_andn2_b64 exec, exec, s[10:11]
	s_cbranch_execnz .LBB115_100
; %bb.101:
	s_or_b64 exec, exec, s[10:11]
.LBB115_102:
	s_or_b64 exec, exec, s[8:9]
.LBB115_103:
	s_or_b64 exec, exec, s[6:7]
	v_mov_b32_e32 v8, 0x81
	v_mov_b32_e32 v9, 0
	v_cmp_lt_i64_e32 vcc, s[34:35], v[8:9]
	s_and_b64 vcc, exec, vcc
	s_barrier
	ds_write_b128 v18, v[0:3]
	s_waitcnt lgkmcnt(0)
	s_barrier
	s_cbranch_vccnz .LBB115_105
; %bb.104:
	ds_read_b128 v[14:17], v18 offset:2048
	s_waitcnt lgkmcnt(0)
	s_barrier
	v_add_f64 v[0:1], v[0:1], v[14:15]
	v_add_f64 v[2:3], v[2:3], v[16:17]
	ds_write_b128 v18, v[0:3]
.LBB115_105:
	v_mov_b32_e32 v8, 0x41
	v_mov_b32_e32 v9, 0
	v_cmp_lt_i64_e32 vcc, s[34:35], v[8:9]
	s_waitcnt lgkmcnt(0)
	s_barrier
	s_cbranch_vccnz .LBB115_107
; %bb.106:
	ds_read_b128 v[14:17], v18 offset:1024
	s_waitcnt lgkmcnt(0)
	s_barrier
	v_add_f64 v[0:1], v[0:1], v[14:15]
	v_add_f64 v[2:3], v[2:3], v[16:17]
	ds_write_b128 v18, v[0:3]
.LBB115_107:
	v_cmp_lt_i64_e64 s[6:7], s[34:35], 33
	s_and_b64 vcc, exec, s[6:7]
	s_waitcnt lgkmcnt(0)
	s_barrier
	s_cbranch_vccnz .LBB115_109
; %bb.108:
	ds_read_b128 v[14:17], v18 offset:512
	s_waitcnt lgkmcnt(0)
	s_barrier
	v_add_f64 v[0:1], v[0:1], v[14:15]
	v_add_f64 v[2:3], v[2:3], v[16:17]
	ds_write_b128 v18, v[0:3]
.LBB115_109:
	v_cmp_lt_i64_e64 s[6:7], s[34:35], 17
	s_and_b64 vcc, exec, s[6:7]
	;; [unrolled: 13-line block ×4, first 2 shown]
	s_waitcnt lgkmcnt(0)
	s_barrier
	s_cbranch_vccnz .LBB115_115
; %bb.114:
	ds_read_b128 v[14:17], v18 offset:64
	s_waitcnt lgkmcnt(0)
	s_barrier
	v_add_f64 v[0:1], v[0:1], v[14:15]
	v_add_f64 v[2:3], v[2:3], v[16:17]
	ds_write_b128 v18, v[0:3]
.LBB115_115:
	s_cmp_eq_u64 s[34:35], 2
	s_waitcnt lgkmcnt(0)
	s_barrier
	s_cbranch_scc1 .LBB115_117
; %bb.116:
	ds_read_b128 v[14:17], v18 offset:32
	s_waitcnt lgkmcnt(0)
	s_barrier
	v_add_f64 v[0:1], v[0:1], v[14:15]
	v_add_f64 v[2:3], v[2:3], v[16:17]
	ds_write_b128 v18, v[0:3]
.LBB115_117:
	s_waitcnt lgkmcnt(0)
	s_barrier
	ds_read_b128 v[14:17], v18 offset:16
	v_cmp_eq_u64_e32 vcc, 0, v[6:7]
	s_xor_b64 s[4:5], s[4:5], -1
	s_and_b64 s[4:5], vcc, s[4:5]
	s_waitcnt lgkmcnt(0)
	v_add_f64 v[0:1], v[0:1], v[14:15]
	v_add_f64 v[2:3], v[2:3], v[16:17]
	s_barrier
	ds_write_b128 v18, v[0:3]
	s_and_b64 exec, exec, s[4:5]
	s_cbranch_execz .LBB115_121
; %bb.118:
	v_cmp_neq_f64_e32 vcc, 0, v[10:11]
	v_cmp_neq_f64_e64 s[4:5], 0, v[12:13]
	s_or_b64 s[6:7], vcc, s[4:5]
	v_lshlrev_b64 v[4:5], 4, v[4:5]
	s_and_saveexec_b64 s[4:5], s[6:7]
	s_cbranch_execz .LBB115_120
; %bb.119:
	v_mov_b32_e32 v7, s27
	v_add_co_u32_e32 v6, vcc, s26, v4
	v_addc_co_u32_e32 v7, vcc, v7, v5, vcc
	global_load_dwordx4 v[6:9], v[6:7], off
	s_waitcnt vmcnt(0)
	v_fmac_f64_e32 v[0:1], v[10:11], v[6:7]
	v_fmac_f64_e32 v[2:3], v[12:13], v[6:7]
	v_fma_f64 v[0:1], -v[12:13], v[8:9], v[0:1]
	v_fmac_f64_e32 v[2:3], v[10:11], v[8:9]
.LBB115_120:
	s_or_b64 exec, exec, s[4:5]
	v_mov_b32_e32 v6, s27
	v_add_co_u32_e32 v4, vcc, s26, v4
	v_addc_co_u32_e32 v5, vcc, v6, v5, vcc
	global_store_dwordx4 v[4:5], v[0:3], off
.LBB115_121:
	s_endpgm
	.section	.rodata,"a",@progbits
	.p2align	6, 0x0
	.amdhsa_kernel _ZN9rocsparseL22csrmvn_adaptive_kernelIll21rocsparse_complex_numIfES1_IdES3_S3_EEvbT_PKS4_PjPKT0_NS_24const_host_device_scalarIT4_EES6_SA_PKT1_PKT2_SD_PT3_21rocsparse_index_base_b
		.amdhsa_group_segment_fixed_size 16384
		.amdhsa_private_segment_fixed_size 24
		.amdhsa_kernarg_size 120
		.amdhsa_user_sgpr_count 8
		.amdhsa_user_sgpr_private_segment_buffer 1
		.amdhsa_user_sgpr_dispatch_ptr 0
		.amdhsa_user_sgpr_queue_ptr 0
		.amdhsa_user_sgpr_kernarg_segment_ptr 1
		.amdhsa_user_sgpr_dispatch_id 0
		.amdhsa_user_sgpr_flat_scratch_init 1
		.amdhsa_user_sgpr_kernarg_preload_length 0
		.amdhsa_user_sgpr_kernarg_preload_offset 0
		.amdhsa_user_sgpr_private_segment_size 0
		.amdhsa_uses_dynamic_stack 0
		.amdhsa_system_sgpr_private_segment_wavefront_offset 1
		.amdhsa_system_sgpr_workgroup_id_x 1
		.amdhsa_system_sgpr_workgroup_id_y 0
		.amdhsa_system_sgpr_workgroup_id_z 0
		.amdhsa_system_sgpr_workgroup_info 0
		.amdhsa_system_vgpr_workitem_id 0
		.amdhsa_next_free_vgpr 52
		.amdhsa_next_free_sgpr 67
		.amdhsa_accum_offset 52
		.amdhsa_reserve_vcc 1
		.amdhsa_reserve_flat_scratch 1
		.amdhsa_float_round_mode_32 0
		.amdhsa_float_round_mode_16_64 0
		.amdhsa_float_denorm_mode_32 3
		.amdhsa_float_denorm_mode_16_64 3
		.amdhsa_dx10_clamp 1
		.amdhsa_ieee_mode 1
		.amdhsa_fp16_overflow 0
		.amdhsa_tg_split 0
		.amdhsa_exception_fp_ieee_invalid_op 0
		.amdhsa_exception_fp_denorm_src 0
		.amdhsa_exception_fp_ieee_div_zero 0
		.amdhsa_exception_fp_ieee_overflow 0
		.amdhsa_exception_fp_ieee_underflow 0
		.amdhsa_exception_fp_ieee_inexact 0
		.amdhsa_exception_int_div_zero 0
	.end_amdhsa_kernel
	.section	.text._ZN9rocsparseL22csrmvn_adaptive_kernelIll21rocsparse_complex_numIfES1_IdES3_S3_EEvbT_PKS4_PjPKT0_NS_24const_host_device_scalarIT4_EES6_SA_PKT1_PKT2_SD_PT3_21rocsparse_index_base_b,"axG",@progbits,_ZN9rocsparseL22csrmvn_adaptive_kernelIll21rocsparse_complex_numIfES1_IdES3_S3_EEvbT_PKS4_PjPKT0_NS_24const_host_device_scalarIT4_EES6_SA_PKT1_PKT2_SD_PT3_21rocsparse_index_base_b,comdat
.Lfunc_end115:
	.size	_ZN9rocsparseL22csrmvn_adaptive_kernelIll21rocsparse_complex_numIfES1_IdES3_S3_EEvbT_PKS4_PjPKT0_NS_24const_host_device_scalarIT4_EES6_SA_PKT1_PKT2_SD_PT3_21rocsparse_index_base_b, .Lfunc_end115-_ZN9rocsparseL22csrmvn_adaptive_kernelIll21rocsparse_complex_numIfES1_IdES3_S3_EEvbT_PKS4_PjPKT0_NS_24const_host_device_scalarIT4_EES6_SA_PKT1_PKT2_SD_PT3_21rocsparse_index_base_b
                                        ; -- End function
	.section	.AMDGPU.csdata,"",@progbits
; Kernel info:
; codeLenInByte = 5424
; NumSgprs: 73
; NumVgprs: 52
; NumAgprs: 0
; TotalNumVgprs: 52
; ScratchSize: 24
; MemoryBound: 0
; FloatMode: 240
; IeeeMode: 1
; LDSByteSize: 16384 bytes/workgroup (compile time only)
; SGPRBlocks: 9
; VGPRBlocks: 6
; NumSGPRsForWavesPerEU: 73
; NumVGPRsForWavesPerEU: 52
; AccumOffset: 52
; Occupancy: 4
; WaveLimiterHint : 1
; COMPUTE_PGM_RSRC2:SCRATCH_EN: 1
; COMPUTE_PGM_RSRC2:USER_SGPR: 8
; COMPUTE_PGM_RSRC2:TRAP_HANDLER: 0
; COMPUTE_PGM_RSRC2:TGID_X_EN: 1
; COMPUTE_PGM_RSRC2:TGID_Y_EN: 0
; COMPUTE_PGM_RSRC2:TGID_Z_EN: 0
; COMPUTE_PGM_RSRC2:TIDIG_COMP_CNT: 0
; COMPUTE_PGM_RSRC3_GFX90A:ACCUM_OFFSET: 12
; COMPUTE_PGM_RSRC3_GFX90A:TG_SPLIT: 0
	.section	.text._ZN9rocsparseL27csrmvn_symm_adaptive_kernelIll21rocsparse_complex_numIfES1_IdES3_S3_EEvbT_S4_PKS4_NS_24const_host_device_scalarIT4_EES6_PKT0_PKT1_PKT2_S9_PT3_21rocsparse_index_base_b,"axG",@progbits,_ZN9rocsparseL27csrmvn_symm_adaptive_kernelIll21rocsparse_complex_numIfES1_IdES3_S3_EEvbT_S4_PKS4_NS_24const_host_device_scalarIT4_EES6_PKT0_PKT1_PKT2_S9_PT3_21rocsparse_index_base_b,comdat
	.globl	_ZN9rocsparseL27csrmvn_symm_adaptive_kernelIll21rocsparse_complex_numIfES1_IdES3_S3_EEvbT_S4_PKS4_NS_24const_host_device_scalarIT4_EES6_PKT0_PKT1_PKT2_S9_PT3_21rocsparse_index_base_b ; -- Begin function _ZN9rocsparseL27csrmvn_symm_adaptive_kernelIll21rocsparse_complex_numIfES1_IdES3_S3_EEvbT_S4_PKS4_NS_24const_host_device_scalarIT4_EES6_PKT0_PKT1_PKT2_S9_PT3_21rocsparse_index_base_b
	.p2align	8
	.type	_ZN9rocsparseL27csrmvn_symm_adaptive_kernelIll21rocsparse_complex_numIfES1_IdES3_S3_EEvbT_S4_PKS4_NS_24const_host_device_scalarIT4_EES6_PKT0_PKT1_PKT2_S9_PT3_21rocsparse_index_base_b,@function
_ZN9rocsparseL27csrmvn_symm_adaptive_kernelIll21rocsparse_complex_numIfES1_IdES3_S3_EEvbT_S4_PKS4_NS_24const_host_device_scalarIT4_EES6_PKT0_PKT1_PKT2_S9_PT3_21rocsparse_index_base_b: ; @_ZN9rocsparseL27csrmvn_symm_adaptive_kernelIll21rocsparse_complex_numIfES1_IdES3_S3_EEvbT_S4_PKS4_NS_24const_host_device_scalarIT4_EES6_PKT0_PKT1_PKT2_S9_PT3_21rocsparse_index_base_b
; %bb.0:
	s_add_u32 flat_scratch_lo, s6, s9
	s_addc_u32 flat_scratch_hi, s7, 0
	s_load_dwordx2 s[36:37], s[4:5], 0x68
	s_load_dwordx4 s[16:19], s[4:5], 0x20
	s_load_dwordx4 s[12:15], s[4:5], 0x50
	s_add_u32 s0, s0, s9
	s_addc_u32 s1, s1, 0
	s_waitcnt lgkmcnt(0)
	s_bitcmp1_b32 s37, 0
	v_mov_b32_e32 v1, 0
	v_mov_b32_e32 v3, s16
	s_cselect_b64 s[6:7], -1, 0
	v_cndmask_b32_e64 v2, v3, v1, s[6:7]
	v_mov_b32_e32 v1, s17
	s_mov_b64 s[10:11], src_private_base
	s_and_b64 vcc, s[6:7], exec
	buffer_store_dword v1, off, s[0:3], 0 offset:4
	buffer_store_dword v3, off, s[0:3], 0
	v_mov_b32_e32 v1, s13
	s_cselect_b32 s9, s11, s17
	buffer_store_dword v1, off, s[0:3], 0 offset:12
	v_mov_b32_e32 v1, s12
	buffer_store_dword v1, off, s[0:3], 0 offset:8
	v_mov_b32_e32 v3, s9
	flat_load_dwordx2 v[10:11], v[2:3]
	s_xor_b64 s[20:21], s[6:7], -1
	v_pk_mov_b32 v[12:13], s[18:19], s[18:19] op_sel:[0,1]
	s_cbranch_vccnz .LBB116_2
; %bb.1:
	v_pk_mov_b32 v[2:3], s[16:17], s[16:17] op_sel:[0,1]
	flat_load_dwordx2 v[12:13], v[2:3] offset:8
.LBB116_2:
	s_and_b64 s[16:17], s[6:7], exec
	s_cselect_b32 s9, s11, s13
	v_mov_b32_e32 v1, 8
	v_mov_b32_e32 v2, s12
	v_cndmask_b32_e64 v2, v2, v1, s[6:7]
	v_mov_b32_e32 v3, s9
	flat_load_dwordx2 v[2:3], v[2:3]
	s_andn2_b64 vcc, exec, s[20:21]
	v_pk_mov_b32 v[4:5], s[14:15], s[14:15] op_sel:[0,1]
	s_cbranch_vccnz .LBB116_4
; %bb.3:
	v_pk_mov_b32 v[4:5], s[12:13], s[12:13] op_sel:[0,1]
	flat_load_dwordx2 v[4:5], v[4:5] offset:8
.LBB116_4:
	s_waitcnt vmcnt(0) lgkmcnt(0)
	v_cmp_eq_f64_e32 vcc, 0, v[10:11]
	v_cmp_eq_f64_e64 s[6:7], 0, v[12:13]
	s_and_b64 s[12:13], vcc, s[6:7]
	s_mov_b64 s[6:7], -1
	s_and_saveexec_b64 s[10:11], s[12:13]
; %bb.5:
	v_cmp_neq_f64_e32 vcc, 1.0, v[2:3]
	v_cmp_neq_f64_e64 s[6:7], 0, v[4:5]
	s_or_b64 s[6:7], vcc, s[6:7]
	s_orn2_b64 s[6:7], s[6:7], exec
; %bb.6:
	s_or_b64 exec, exec, s[10:11]
	s_and_saveexec_b64 s[10:11], s[6:7]
	s_cbranch_execz .LBB116_196
; %bb.7:
	s_load_dword s9, s[4:5], 0x0
	s_load_dwordx2 s[6:7], s[4:5], 0x18
	s_mov_b32 s33, 0
	s_mov_b32 s12, s33
	;; [unrolled: 1-line block ×3, first 2 shown]
	s_waitcnt lgkmcnt(0)
	s_bitcmp1_b32 s9, 0
	s_cselect_b64 s[40:41], -1, 0
	s_ashr_i32 s9, s8, 31
	s_lshl_b64 s[8:9], s[8:9], 3
	s_mov_b32 s14, s33
	s_mov_b32 s15, s33
	v_pk_mov_b32 v[2:3], s[12:13], s[12:13] op_sel:[0,1]
	s_add_u32 s6, s6, s8
	v_lshlrev_b32_e32 v26, 4, v0
	v_pk_mov_b32 v[4:5], s[14:15], s[14:15] op_sel:[0,1]
	s_addc_u32 s7, s7, s9
	ds_write_b128 v26, v[2:5]
	ds_write_b128 v26, v[2:5] offset:4096
	ds_write_b128 v26, v[2:5] offset:8192
	;; [unrolled: 1-line block ×3, first 2 shown]
	s_waitcnt lgkmcnt(0)
	s_barrier
	s_load_dwordx4 s[28:31], s[6:7], 0x0
	s_load_dwordx2 s[18:19], s[4:5], 0x60
	s_load_dwordx8 s[20:27], s[4:5], 0x30
	s_mov_b64 s[6:7], -1
	s_waitcnt lgkmcnt(0)
	s_sub_u32 s34, s30, s28
	s_subb_u32 s35, s31, s29
	v_cmp_gt_i64_e64 s[8:9], s[34:35], 2
	s_and_b64 vcc, exec, s[8:9]
	s_cbranch_vccnz .LBB116_53
; %bb.8:
	v_pk_mov_b32 v[2:3], s[28:29], s[28:29] op_sel:[0,1]
	v_cmp_gt_i64_e32 vcc, s[30:31], v[2:3]
	v_subrev_co_u32_e64 v1, s[6:7], s36, v0
	v_subb_co_u32_e64 v16, s[6:7], 0, 0, s[6:7]
	s_cbranch_vccnz .LBB116_10
; %bb.9:
	s_lshl_b64 s[6:7], s[28:29], 3
	s_add_u32 s6, s20, s6
	s_addc_u32 s7, s21, s7
	s_load_dwordx2 s[38:39], s[6:7], 0x0
	s_cbranch_execz .LBB116_11
	s_branch .LBB116_40
.LBB116_10:
                                        ; implicit-def: $sgpr38_sgpr39
.LBB116_11:
	s_lshl_b64 s[16:17], s[28:29], 3
	s_add_u32 s16, s20, s16
	s_addc_u32 s17, s21, s17
	s_waitcnt lgkmcnt(0)
	s_load_dwordx2 s[38:39], s[16:17], 0x0
	s_add_u32 s52, s20, 8
	s_addc_u32 s53, s21, 0
	s_movk_i32 s37, 0x100
	s_add_u32 s54, s24, 4
	v_cmp_gt_u32_e64 s[6:7], s37, v0
	v_cmp_gt_u32_e64 s[8:9], 64, v0
	;; [unrolled: 1-line block ×4, first 2 shown]
	v_cmp_eq_u32_e64 s[14:15], 0, v0
	s_addc_u32 s55, s25, 0
	v_mov_b32_e32 v17, s33
	v_mov_b32_e32 v18, s27
	;; [unrolled: 1-line block ×3, first 2 shown]
	s_waitcnt lgkmcnt(0)
	s_mov_b64 s[44:45], s[38:39]
	s_mov_b64 s[42:43], s[28:29]
	s_branch .LBB116_13
.LBB116_12:                             ;   in Loop: Header=BB116_13 Depth=1
	s_or_b64 exec, exec, s[16:17]
	s_add_u32 s42, s42, 1
	s_addc_u32 s43, s43, 0
	v_pk_mov_b32 v[2:3], s[30:31], s[30:31] op_sel:[0,1]
	v_cmp_ge_i64_e32 vcc, s[42:43], v[2:3]
	s_cbranch_vccnz .LBB116_40
.LBB116_13:                             ; =>This Loop Header: Depth=1
                                        ;     Child Loop BB116_15 Depth 2
                                        ;     Child Loop BB116_29 Depth 2
	;; [unrolled: 1-line block ×5, first 2 shown]
	s_mov_b64 s[16:17], s[44:45]
	s_lshl_b64 s[44:45], s[42:43], 3
	s_add_u32 s44, s52, s44
	s_addc_u32 s45, s53, s45
	s_load_dwordx2 s[44:45], s[44:45], 0x0
	v_mov_b32_e32 v2, s17
	v_add_co_u32_e32 v6, vcc, s16, v1
	v_addc_co_u32_e32 v7, vcc, v2, v16, vcc
	s_waitcnt lgkmcnt(0)
	s_sub_u32 s46, s44, s36
	s_subb_u32 s47, s45, 0
	v_pk_mov_b32 v[4:5], 0, 0
	v_cmp_gt_i64_e32 vcc, s[46:47], v[6:7]
	v_pk_mov_b32 v[2:3], v[4:5], v[4:5] op_sel:[0,1]
	s_and_saveexec_b64 s[48:49], vcc
	s_cbranch_execz .LBB116_17
; %bb.14:                               ;   in Loop: Header=BB116_13 Depth=1
	v_lshlrev_b64 v[2:3], 3, v[6:7]
	v_mov_b32_e32 v4, s23
	v_add_co_u32_e32 v8, vcc, s22, v2
	v_addc_co_u32_e32 v9, vcc, v4, v3, vcc
	v_mov_b32_e32 v4, s55
	v_add_co_u32_e32 v14, vcc, s54, v2
	v_addc_co_u32_e32 v15, vcc, v4, v3, vcc
	v_pk_mov_b32 v[4:5], 0, 0
	s_mov_b64 s[50:51], 0
	v_pk_mov_b32 v[2:3], v[4:5], v[4:5] op_sel:[0,1]
.LBB116_15:                             ;   Parent Loop BB116_13 Depth=1
                                        ; =>  This Inner Loop Header: Depth=2
	global_load_dwordx2 v[20:21], v[8:9], off
	global_load_dwordx2 v[24:25], v[14:15], off offset:-4
	s_waitcnt vmcnt(1)
	v_subrev_co_u32_e32 v20, vcc, s36, v20
	v_subb_co_u32_e32 v21, vcc, v21, v17, vcc
	v_lshlrev_b64 v[20:21], 4, v[20:21]
	v_add_co_u32_e32 v20, vcc, s26, v20
	v_addc_co_u32_e32 v21, vcc, v18, v21, vcc
	global_load_dwordx4 v[20:23], v[20:21], off
	v_add_co_u32_e32 v6, vcc, s37, v6
	v_addc_co_u32_e32 v7, vcc, 0, v7, vcc
	v_add_co_u32_e32 v8, vcc, 0x800, v8
	s_waitcnt vmcnt(1)
	v_cndmask_b32_e64 v27, v25, -v25, s[40:41]
	v_addc_co_u32_e32 v9, vcc, 0, v9, vcc
	v_cvt_f64_f32_e32 v[24:25], v24
	v_cvt_f64_f32_e32 v[28:29], v27
	v_add_co_u32_e32 v14, vcc, 0x800, v14
	v_cmp_le_i64_e64 s[16:17], s[46:47], v[6:7]
	v_addc_co_u32_e32 v15, vcc, 0, v15, vcc
	s_or_b64 s[50:51], s[16:17], s[50:51]
	s_waitcnt vmcnt(0)
	v_fmac_f64_e32 v[2:3], v[24:25], v[20:21]
	v_fmac_f64_e32 v[4:5], v[28:29], v[20:21]
	v_fma_f64 v[2:3], -v[28:29], v[22:23], v[2:3]
	v_fmac_f64_e32 v[4:5], v[24:25], v[22:23]
	s_andn2_b64 exec, exec, s[50:51]
	s_cbranch_execnz .LBB116_15
; %bb.16:                               ;   in Loop: Header=BB116_13 Depth=1
	s_or_b64 exec, exec, s[50:51]
.LBB116_17:                             ;   in Loop: Header=BB116_13 Depth=1
	s_or_b64 exec, exec, s[48:49]
	ds_write_b128 v26, v[2:5]
	s_waitcnt lgkmcnt(0)
	s_barrier
	s_and_saveexec_b64 s[16:17], s[6:7]
	s_cbranch_execz .LBB116_19
; %bb.18:                               ;   in Loop: Header=BB116_13 Depth=1
	ds_read_b128 v[2:5], v26 offset:4096
	ds_read_b128 v[6:9], v26 offset:8192
	ds_read_b128 v[20:23], v26 offset:12288
	ds_read_b128 v[28:31], v26
	s_waitcnt lgkmcnt(2)
	v_add_f64 v[2:3], v[6:7], v[2:3]
	v_add_f64 v[4:5], v[8:9], v[4:5]
	s_waitcnt lgkmcnt(1)
	v_add_f64 v[2:3], v[2:3], v[20:21]
	v_add_f64 v[4:5], v[4:5], v[22:23]
	s_waitcnt lgkmcnt(0)
	v_add_f64 v[2:3], v[2:3], v[28:29]
	v_add_f64 v[4:5], v[4:5], v[30:31]
	ds_write_b128 v26, v[2:5]
.LBB116_19:                             ;   in Loop: Header=BB116_13 Depth=1
	s_or_b64 exec, exec, s[16:17]
	s_waitcnt lgkmcnt(0)
	s_barrier
	s_and_saveexec_b64 s[16:17], s[8:9]
	s_cbranch_execz .LBB116_21
; %bb.20:                               ;   in Loop: Header=BB116_13 Depth=1
	ds_read_b128 v[2:5], v26 offset:1024
	ds_read_b128 v[6:9], v26 offset:2048
	ds_read_b128 v[20:23], v26 offset:3072
	ds_read_b128 v[28:31], v26
	s_waitcnt lgkmcnt(2)
	v_add_f64 v[2:3], v[6:7], v[2:3]
	v_add_f64 v[4:5], v[8:9], v[4:5]
	s_waitcnt lgkmcnt(1)
	v_add_f64 v[2:3], v[2:3], v[20:21]
	v_add_f64 v[4:5], v[4:5], v[22:23]
	s_waitcnt lgkmcnt(0)
	v_add_f64 v[2:3], v[2:3], v[28:29]
	v_add_f64 v[4:5], v[4:5], v[30:31]
	ds_write_b128 v26, v[2:5]
.LBB116_21:                             ;   in Loop: Header=BB116_13 Depth=1
	s_or_b64 exec, exec, s[16:17]
	;; [unrolled: 21-line block ×5, first 2 shown]
	s_waitcnt lgkmcnt(0)
	s_barrier
	s_and_saveexec_b64 s[16:17], s[14:15]
	s_cbranch_execz .LBB116_12
; %bb.28:                               ;   in Loop: Header=BB116_13 Depth=1
	ds_read_b128 v[2:5], v19
	v_mov_b32_e32 v14, 0
	s_mov_b64 s[46:47], exec
	v_bfrev_b32_e32 v15, 1
	s_waitcnt lgkmcnt(0)
	v_mul_f64 v[6:7], v[4:5], -v[12:13]
	v_fmac_f64_e32 v[6:7], v[10:11], v[2:3]
.LBB116_29:                             ;   Parent Loop BB116_13 Depth=1
                                        ; =>  This Inner Loop Header: Depth=2
	s_ff1_i32_b64 s50, s[46:47]
	v_readlane_b32 s49, v7, s50
	v_readlane_b32 s48, v6, s50
	s_lshl_b64 s[50:51], 1, s50
	s_andn2_b64 s[46:47], s[46:47], s[50:51]
	s_cmp_lg_u64 s[46:47], 0
	v_add_f64 v[14:15], v[14:15], s[48:49]
	s_cbranch_scc1 .LBB116_29
; %bb.30:                               ;   in Loop: Header=BB116_13 Depth=1
	s_lshl_b64 s[46:47], s[42:43], 4
	v_mbcnt_lo_u32_b32 v6, exec_lo, 0
	s_add_u32 s46, s18, s46
	v_mbcnt_hi_u32_b32 v6, exec_hi, v6
	s_addc_u32 s47, s19, s47
	v_cmp_eq_u32_e32 vcc, 0, v6
	s_and_saveexec_b64 s[48:49], vcc
	s_xor_b64 s[48:49], exec, s[48:49]
	s_cbranch_execz .LBB116_34
; %bb.31:                               ;   in Loop: Header=BB116_13 Depth=1
	global_load_dwordx2 v[8:9], v19, s[46:47]
	s_mov_b64 s[50:51], 0
.LBB116_32:                             ;   Parent Loop BB116_13 Depth=1
                                        ; =>  This Inner Loop Header: Depth=2
	s_waitcnt vmcnt(0)
	v_add_f64 v[6:7], v[8:9], v[14:15]
	global_atomic_cmpswap_x2 v[6:7], v19, v[6:9], s[46:47] glc
	s_waitcnt vmcnt(0)
	v_cmp_eq_u64_e32 vcc, v[6:7], v[8:9]
	s_or_b64 s[50:51], vcc, s[50:51]
	v_pk_mov_b32 v[8:9], v[6:7], v[6:7] op_sel:[0,1]
	s_andn2_b64 exec, exec, s[50:51]
	s_cbranch_execnz .LBB116_32
; %bb.33:                               ;   in Loop: Header=BB116_13 Depth=1
	s_or_b64 exec, exec, s[50:51]
.LBB116_34:                             ;   in Loop: Header=BB116_13 Depth=1
	s_or_b64 exec, exec, s[48:49]
	v_mul_f64 v[4:5], v[10:11], v[4:5]
	v_mov_b32_e32 v6, 0
	s_mov_b64 s[48:49], exec
	v_fmac_f64_e32 v[4:5], v[12:13], v[2:3]
	v_bfrev_b32_e32 v7, 1
.LBB116_35:                             ;   Parent Loop BB116_13 Depth=1
                                        ; =>  This Inner Loop Header: Depth=2
	s_ff1_i32_b64 s56, s[48:49]
	v_readlane_b32 s51, v5, s56
	v_readlane_b32 s50, v4, s56
	s_lshl_b64 s[56:57], 1, s56
	s_andn2_b64 s[48:49], s[48:49], s[56:57]
	s_cmp_lg_u64 s[48:49], 0
	v_add_f64 v[6:7], v[6:7], s[50:51]
	s_cbranch_scc1 .LBB116_35
; %bb.36:                               ;   in Loop: Header=BB116_13 Depth=1
	v_mbcnt_lo_u32_b32 v2, exec_lo, 0
	v_mbcnt_hi_u32_b32 v2, exec_hi, v2
	v_cmp_eq_u32_e32 vcc, 0, v2
	s_and_saveexec_b64 s[48:49], vcc
	s_xor_b64 s[48:49], exec, s[48:49]
	s_cbranch_execz .LBB116_12
; %bb.37:                               ;   in Loop: Header=BB116_13 Depth=1
	global_load_dwordx2 v[4:5], v19, s[46:47] offset:8
	s_mov_b64 s[48:49], 0
.LBB116_38:                             ;   Parent Loop BB116_13 Depth=1
                                        ; =>  This Inner Loop Header: Depth=2
	s_waitcnt vmcnt(0)
	v_add_f64 v[2:3], v[4:5], v[6:7]
	global_atomic_cmpswap_x2 v[2:3], v19, v[2:5], s[46:47] offset:8 glc
	s_waitcnt vmcnt(0)
	v_cmp_eq_u64_e32 vcc, v[2:3], v[4:5]
	s_or_b64 s[48:49], vcc, s[48:49]
	v_pk_mov_b32 v[4:5], v[2:3], v[2:3] op_sel:[0,1]
	s_andn2_b64 exec, exec, s[48:49]
	s_cbranch_execnz .LBB116_38
; %bb.39:                               ;   in Loop: Header=BB116_13 Depth=1
	s_or_b64 exec, exec, s[48:49]
	s_branch .LBB116_12
.LBB116_40:
	s_lshl_b64 s[6:7], s[30:31], 3
	s_add_u32 s6, s20, s6
	s_addc_u32 s7, s21, s7
	s_load_dwordx2 s[6:7], s[6:7], 0x0
	s_waitcnt lgkmcnt(0)
	v_mov_b32_e32 v2, s39
	v_add_co_u32_e32 v14, vcc, s38, v1
	v_addc_co_u32_e32 v15, vcc, v2, v16, vcc
	s_sub_u32 s10, s6, s36
	s_subb_u32 s11, s7, 0
	v_cmp_gt_i64_e32 vcc, s[10:11], v[14:15]
	s_and_saveexec_b64 s[12:13], vcc
	s_cbranch_execz .LBB116_52
; %bb.41:
	s_add_u32 s14, s30, -1
	s_addc_u32 s15, s31, -1
	s_add_u32 s6, s30, -2
	s_addc_u32 s7, s31, -1
	v_pk_mov_b32 v[2:3], s[28:29], s[28:29] op_sel:[0,1]
	s_cmp_lg_u64 s[6:7], s[28:29]
	v_cmp_gt_i64_e32 vcc, s[14:15], v[2:3]
	s_cselect_b64 s[6:7], -1, 0
	s_and_b64 s[6:7], vcc, s[6:7]
	v_cndmask_b32_e64 v1, 0, 1, s[6:7]
	s_mov_b64 s[16:17], 0
	v_cmp_ne_u32_e64 s[6:7], 1, v1
	v_mov_b32_e32 v1, s21
	v_mov_b32_e32 v24, s33
	;; [unrolled: 1-line block ×3, first 2 shown]
	s_branch .LBB116_43
.LBB116_42:                             ;   in Loop: Header=BB116_43 Depth=1
	s_or_b64 exec, exec, s[8:9]
	v_add_co_u32_e32 v14, vcc, 0x100, v14
	v_addc_co_u32_e32 v15, vcc, 0, v15, vcc
	v_cmp_le_i64_e32 vcc, s[10:11], v[14:15]
	s_or_b64 s[16:17], vcc, s[16:17]
	s_andn2_b64 exec, exec, s[16:17]
	s_cbranch_execz .LBB116_52
.LBB116_43:                             ; =>This Loop Header: Depth=1
                                        ;     Child Loop BB116_45 Depth 2
                                        ;     Child Loop BB116_49 Depth 2
	;; [unrolled: 1-line block ×3, first 2 shown]
	s_and_b64 vcc, exec, s[6:7]
	v_pk_mov_b32 v[2:3], s[28:29], s[28:29] op_sel:[0,1]
	v_pk_mov_b32 v[4:5], s[14:15], s[14:15] op_sel:[0,1]
	s_cbranch_vccnz .LBB116_47
; %bb.44:                               ;   in Loop: Header=BB116_43 Depth=1
	s_mov_b64 s[38:39], 0
	v_pk_mov_b32 v[2:3], s[28:29], s[28:29] op_sel:[0,1]
	v_pk_mov_b32 v[4:5], s[14:15], s[14:15] op_sel:[0,1]
.LBB116_45:                             ;   Parent Loop BB116_43 Depth=1
                                        ; =>  This Inner Loop Header: Depth=2
	v_add_co_u32_e32 v6, vcc, v4, v2
	v_addc_co_u32_e32 v7, vcc, v5, v3, vcc
	v_lshrrev_b32_e32 v8, 31, v7
	v_add_co_u32_e32 v6, vcc, v6, v8
	v_addc_co_u32_e32 v7, vcc, 0, v7, vcc
	v_ashrrev_i64 v[6:7], 1, v[6:7]
	v_lshlrev_b64 v[8:9], 3, v[6:7]
	v_mov_b32_e32 v16, s21
	v_add_co_u32_e32 v8, vcc, s20, v8
	v_addc_co_u32_e32 v9, vcc, v16, v9, vcc
	global_load_dwordx2 v[8:9], v[8:9], off
	v_mov_b32_e32 v16, s33
	s_waitcnt vmcnt(0)
	v_subrev_co_u32_e32 v8, vcc, s36, v8
	v_subb_co_u32_e32 v9, vcc, v9, v16, vcc
	v_cmp_gt_i64_e32 vcc, v[8:9], v[14:15]
	v_cndmask_b32_e32 v4, v4, v6, vcc
	v_cndmask_b32_e32 v5, v5, v7, vcc
	;; [unrolled: 1-line block ×3, first 2 shown]
	v_add_co_u32_e64 v6, s[8:9], -1, v4
	v_cndmask_b32_e32 v3, v7, v3, vcc
	v_addc_co_u32_e64 v7, s[8:9], -1, v5, s[8:9]
	v_cmp_ge_i64_e32 vcc, v[2:3], v[4:5]
	v_cmp_eq_u64_e64 s[8:9], v[2:3], v[6:7]
	s_or_b64 s[8:9], vcc, s[8:9]
	s_and_b64 s[8:9], exec, s[8:9]
	s_or_b64 s[38:39], s[8:9], s[38:39]
	s_andn2_b64 exec, exec, s[38:39]
	s_cbranch_execnz .LBB116_45
; %bb.46:                               ;   in Loop: Header=BB116_43 Depth=1
	s_or_b64 exec, exec, s[38:39]
.LBB116_47:                             ;   in Loop: Header=BB116_43 Depth=1
	v_lshlrev_b64 v[6:7], 3, v[4:5]
	v_add_co_u32_e32 v6, vcc, s20, v6
	v_addc_co_u32_e32 v7, vcc, v1, v7, vcc
	global_load_dwordx2 v[8:9], v[6:7], off
	v_lshlrev_b64 v[6:7], 3, v[14:15]
	v_add_co_u32_e32 v16, vcc, s22, v6
	v_addc_co_u32_e32 v17, vcc, v25, v7, vcc
	global_load_dwordx2 v[16:17], v[16:17], off
	s_waitcnt vmcnt(1)
	v_subrev_co_u32_e32 v8, vcc, s36, v8
	v_subb_co_u32_e32 v9, vcc, v9, v24, vcc
	v_cmp_gt_i64_e32 vcc, v[8:9], v[14:15]
	v_cndmask_b32_e32 v3, v5, v3, vcc
	v_cndmask_b32_e32 v2, v4, v2, vcc
	s_waitcnt vmcnt(0)
	v_subrev_co_u32_e32 v4, vcc, s36, v16
	v_subb_co_u32_e32 v5, vcc, v17, v24, vcc
	v_cmp_ne_u64_e32 vcc, v[4:5], v[2:3]
	s_and_saveexec_b64 s[8:9], vcc
	s_cbranch_execz .LBB116_42
; %bb.48:                               ;   in Loop: Header=BB116_43 Depth=1
	v_lshlrev_b64 v[8:9], 4, v[4:5]
	v_mov_b32_e32 v5, s25
	v_add_co_u32_e32 v4, vcc, s24, v6
	v_addc_co_u32_e32 v5, vcc, v5, v7, vcc
	global_load_dwordx2 v[6:7], v[4:5], off
	v_lshlrev_b64 v[2:3], 4, v[2:3]
	v_mov_b32_e32 v4, s27
	v_add_co_u32_e32 v2, vcc, s26, v2
	v_addc_co_u32_e32 v3, vcc, v4, v3, vcc
	v_mov_b32_e32 v17, s19
	global_load_dwordx4 v[2:5], v[2:3], off
	v_add_co_u32_e32 v16, vcc, s18, v8
	v_addc_co_u32_e32 v17, vcc, v17, v9, vcc
	global_load_dwordx2 v[8:9], v[16:17], off
	s_mov_b64 s[38:39], 0
	s_waitcnt vmcnt(2)
	v_cndmask_b32_e64 v18, v7, -v7, s[40:41]
	v_cvt_f64_f32_e32 v[20:21], v18
	v_cvt_f64_f32_e32 v[6:7], v6
	v_mul_f64 v[18:19], -v[12:13], v[20:21]
	v_mul_f64 v[20:21], v[10:11], v[20:21]
	v_fmac_f64_e32 v[20:21], v[12:13], v[6:7]
	v_fmac_f64_e32 v[18:19], v[10:11], v[6:7]
	s_waitcnt vmcnt(1)
	v_mul_f64 v[22:23], v[4:5], -v[20:21]
	v_fmac_f64_e32 v[22:23], v[18:19], v[2:3]
.LBB116_49:                             ;   Parent Loop BB116_43 Depth=1
                                        ; =>  This Inner Loop Header: Depth=2
	s_waitcnt vmcnt(0)
	v_add_f64 v[6:7], v[8:9], v[22:23]
	global_atomic_cmpswap_x2 v[6:7], v[16:17], v[6:9], off glc
	s_waitcnt vmcnt(0)
	v_cmp_eq_u64_e32 vcc, v[6:7], v[8:9]
	s_or_b64 s[38:39], vcc, s[38:39]
	v_pk_mov_b32 v[8:9], v[6:7], v[6:7] op_sel:[0,1]
	s_andn2_b64 exec, exec, s[38:39]
	s_cbranch_execnz .LBB116_49
; %bb.50:                               ;   in Loop: Header=BB116_43 Depth=1
	s_or_b64 exec, exec, s[38:39]
	global_load_dwordx2 v[6:7], v[16:17], off offset:8
	v_mul_f64 v[8:9], v[4:5], v[18:19]
	v_fmac_f64_e32 v[8:9], v[20:21], v[2:3]
	s_mov_b64 s[38:39], 0
.LBB116_51:                             ;   Parent Loop BB116_43 Depth=1
                                        ; =>  This Inner Loop Header: Depth=2
	s_waitcnt vmcnt(0)
	v_add_f64 v[4:5], v[6:7], v[8:9]
	global_atomic_cmpswap_x2 v[2:3], v[16:17], v[4:7], off offset:8 glc
	s_waitcnt vmcnt(0)
	v_cmp_eq_u64_e32 vcc, v[2:3], v[6:7]
	s_or_b64 s[38:39], vcc, s[38:39]
	v_pk_mov_b32 v[6:7], v[2:3], v[2:3] op_sel:[0,1]
	s_andn2_b64 exec, exec, s[38:39]
	s_cbranch_execnz .LBB116_51
	s_branch .LBB116_42
.LBB116_52:
	s_or_b64 exec, exec, s[12:13]
	s_mov_b64 s[6:7], 0
.LBB116_53:
	s_and_b64 vcc, exec, s[6:7]
	s_cbranch_vccz .LBB116_196
; %bb.54:
	s_load_dword s6, s[4:5], 0x7c
	s_mov_b32 s33, 0
	v_pk_mov_b32 v[2:3], s[34:35], s[34:35] op_sel:[0,1]
	s_mov_b32 s17, s33
	s_mov_b64 s[38:39], 0
	s_waitcnt lgkmcnt(0)
	s_and_b32 s16, s6, 0xffff
	v_cmp_lt_u64_e32 vcc, s[16:17], v[2:3]
	s_cbranch_vccnz .LBB116_56
; %bb.55:
	v_cvt_f32_u32_e32 v1, s34
	s_sub_i32 s6, 0, s34
	v_rcp_iflag_f32_e32 v1, v1
	v_mul_f32_e32 v1, 0x4f7ffffe, v1
	v_cvt_u32_f32_e32 v1, v1
	v_readfirstlane_b32 s7, v1
	s_mul_i32 s6, s6, s7
	s_mul_hi_u32 s6, s7, s6
	s_add_i32 s7, s7, s6
	s_mul_hi_u32 s6, s16, s7
	s_mul_i32 s8, s6, s34
	s_sub_i32 s8, s16, s8
	s_add_i32 s7, s6, 1
	s_sub_i32 s9, s8, s34
	s_cmp_ge_u32 s8, s34
	s_cselect_b32 s6, s7, s6
	s_cselect_b32 s8, s9, s8
	s_add_i32 s7, s6, 1
	s_cmp_ge_u32 s8, s34
	s_cselect_b32 s38, s7, s6
.LBB116_56:
	s_load_dwordx4 s[8:11], s[4:5], 0x8
	s_lshl_b64 s[4:5], s[28:29], 3
	s_add_u32 s14, s20, s4
	s_addc_u32 s15, s21, s5
	s_load_dwordx2 s[12:13], s[14:15], 0x0
	v_subrev_co_u32_e32 v2, vcc, s36, v0
	v_subb_co_u32_e64 v3, s[4:5], 0, 0, vcc
	s_waitcnt lgkmcnt(0)
	v_mov_b32_e32 v4, s13
	v_add_co_u32_e32 v14, vcc, s12, v2
	v_addc_co_u32_e32 v15, vcc, v4, v3, vcc
	v_add_co_u32_e32 v16, vcc, 0x300, v14
	v_addc_co_u32_e32 v17, vcc, 0, v15, vcc
	v_mov_b32_e32 v1, 0
	v_cmp_le_i64_e64 s[4:5], s[8:9], v[16:17]
	s_and_saveexec_b64 s[6:7], s[4:5]
	s_xor_b64 s[6:7], exec, s[6:7]
	s_cbranch_execnz .LBB116_59
; %bb.57:
	s_or_saveexec_b64 s[6:7], s[6:7]
	v_lshlrev_b64 v[2:3], 3, v[14:15]
	s_xor_b64 exec, exec, s[6:7]
	s_cbranch_execnz .LBB116_63
.LBB116_58:
	s_or_b64 exec, exec, s[6:7]
	v_cmp_gt_i64_e32 vcc, s[10:11], v[0:1]
	s_and_saveexec_b64 s[6:7], vcc
	s_cbranch_execnz .LBB116_64
	s_branch .LBB116_66
.LBB116_59:
	s_lshl_b64 s[8:9], s[30:31], 3
	s_add_u32 s8, s20, s8
	s_addc_u32 s9, s21, s9
	s_load_dwordx2 s[8:9], s[8:9], 0x0
	s_waitcnt lgkmcnt(0)
	s_sub_u32 s8, s8, s12
	s_subb_u32 s9, s9, s13
	v_cmp_gt_i64_e32 vcc, s[8:9], v[0:1]
	s_and_saveexec_b64 s[42:43], vcc
	s_cbranch_execz .LBB116_62
; %bb.60:
	v_lshlrev_b64 v[2:3], 3, v[14:15]
	v_mov_b32_e32 v4, s25
	v_add_co_u32_e32 v2, vcc, s24, v2
	v_addc_co_u32_e32 v3, vcc, v3, v4, vcc
	v_add_co_u32_e32 v2, vcc, 4, v2
	v_addc_co_u32_e32 v3, vcc, 0, v3, vcc
	s_mov_b64 s[44:45], 0
	v_mov_b32_e32 v6, v26
	v_pk_mov_b32 v[4:5], v[0:1], v[0:1] op_sel:[0,1]
.LBB116_61:                             ; =>This Inner Loop Header: Depth=1
	global_load_dwordx2 v[8:9], v[2:3], off offset:-4
	v_add_co_u32_e32 v2, vcc, 0x800, v2
	v_addc_co_u32_e32 v3, vcc, 0, v3, vcc
	v_add_co_u32_e32 v4, vcc, 0x100, v4
	v_addc_co_u32_e32 v5, vcc, 0, v5, vcc
	v_cmp_le_i64_e32 vcc, s[8:9], v[4:5]
	s_or_b64 s[44:45], vcc, s[44:45]
	s_waitcnt vmcnt(0)
	v_cndmask_b32_e64 v7, v9, -v9, s[40:41]
	v_cvt_f64_f32_e32 v[20:21], v7
	v_cvt_f64_f32_e32 v[8:9], v8
	v_mul_f64 v[18:19], -v[12:13], v[20:21]
	v_mul_f64 v[20:21], v[10:11], v[20:21]
	v_fmac_f64_e32 v[18:19], v[10:11], v[8:9]
	v_fmac_f64_e32 v[20:21], v[12:13], v[8:9]
	ds_write_b128 v6, v[18:21]
	v_add_u32_e32 v6, 0x1000, v6
	s_andn2_b64 exec, exec, s[44:45]
	s_cbranch_execnz .LBB116_61
.LBB116_62:
	s_or_b64 exec, exec, s[42:43]
                                        ; implicit-def: $vgpr12_vgpr13
                                        ; implicit-def: $vgpr10_vgpr11
	s_or_saveexec_b64 s[6:7], s[6:7]
	v_lshlrev_b64 v[2:3], 3, v[14:15]
	s_xor_b64 exec, exec, s[6:7]
	s_cbranch_execz .LBB116_58
.LBB116_63:
	v_mov_b32_e32 v5, s25
	v_add_co_u32_e32 v4, vcc, s24, v2
	v_addc_co_u32_e32 v5, vcc, v5, v3, vcc
	s_movk_i32 s8, 0x1000
	global_load_dwordx2 v[6:7], v[4:5], off
	global_load_dwordx2 v[8:9], v[4:5], off offset:2048
	v_add_co_u32_e32 v4, vcc, s8, v4
	v_addc_co_u32_e32 v5, vcc, 0, v5, vcc
	global_load_dwordx2 v[18:19], v[4:5], off
	global_load_dwordx2 v[20:21], v[4:5], off offset:2048
	s_waitcnt vmcnt(3)
	v_cndmask_b32_e64 v4, v7, -v7, s[40:41]
	s_waitcnt vmcnt(2)
	v_cndmask_b32_e64 v5, v9, -v9, s[40:41]
	v_cvt_f64_f32_e32 v[22:23], v6
	v_cvt_f64_f32_e32 v[6:7], v4
	;; [unrolled: 1-line block ×3, first 2 shown]
	s_waitcnt vmcnt(1)
	v_cndmask_b32_e64 v27, v19, -v19, s[40:41]
	v_cvt_f64_f32_e32 v[32:33], v18
	s_waitcnt vmcnt(0)
	v_cndmask_b32_e64 v28, v21, -v21, s[40:41]
	v_cvt_f64_f32_e32 v[34:35], v20
	v_mul_f64 v[4:5], -v[12:13], v[6:7]
	v_mul_f64 v[6:7], v[10:11], v[6:7]
	v_mul_f64 v[18:19], -v[12:13], v[24:25]
	v_mul_f64 v[20:21], v[10:11], v[24:25]
	v_cvt_f64_f32_e32 v[24:25], v27
	v_cvt_f64_f32_e32 v[30:31], v28
	v_fmac_f64_e32 v[4:5], v[10:11], v[22:23]
	v_fmac_f64_e32 v[6:7], v[12:13], v[22:23]
	v_mul_f64 v[22:23], -v[12:13], v[24:25]
	v_mul_f64 v[24:25], v[10:11], v[24:25]
	v_cvt_f64_f32_e32 v[8:9], v8
	v_mul_f64 v[28:29], -v[12:13], v[30:31]
	v_mul_f64 v[30:31], v[10:11], v[30:31]
	v_fmac_f64_e32 v[22:23], v[10:11], v[32:33]
	v_fmac_f64_e32 v[24:25], v[12:13], v[32:33]
	;; [unrolled: 1-line block ×4, first 2 shown]
	ds_write_b128 v26, v[4:7]
	ds_write_b128 v26, v[18:21] offset:4096
	v_fmac_f64_e32 v[28:29], v[10:11], v[34:35]
	v_fmac_f64_e32 v[30:31], v[12:13], v[34:35]
	ds_write_b128 v26, v[22:25] offset:8192
	ds_write_b128 v26, v[28:31] offset:12288
	s_or_b64 exec, exec, s[6:7]
	v_cmp_gt_i64_e32 vcc, s[10:11], v[0:1]
	s_and_saveexec_b64 s[6:7], vcc
	s_cbranch_execz .LBB116_66
.LBB116_64:
	s_mov_b32 s24, 0
	v_mov_b32_e32 v4, 0x4000
	s_mov_b32 s25, s24
	s_mov_b32 s40, s24
	;; [unrolled: 1-line block ×3, first 2 shown]
	v_lshl_add_u32 v10, v0, 4, v4
	s_mov_b64 s[8:9], 0
	v_pk_mov_b32 v[4:5], s[24:25], s[24:25] op_sel:[0,1]
	v_pk_mov_b32 v[6:7], s[40:41], s[40:41] op_sel:[0,1]
	v_pk_mov_b32 v[8:9], v[0:1], v[0:1] op_sel:[0,1]
.LBB116_65:                             ; =>This Inner Loop Header: Depth=1
	v_add_co_u32_e32 v8, vcc, 0x100, v8
	v_addc_co_u32_e32 v9, vcc, 0, v9, vcc
	v_cmp_le_i64_e32 vcc, s[10:11], v[8:9]
	ds_write2_b64 v10, v[4:5], v[6:7] offset1:1
	s_or_b64 s[8:9], vcc, s[8:9]
	v_add_u32_e32 v10, 0x1000, v10
	s_andn2_b64 exec, exec, s[8:9]
	s_cbranch_execnz .LBB116_65
.LBB116_66:
	s_or_b64 exec, exec, s[6:7]
	s_sub_u32 s8, s30, s10
	v_pk_mov_b32 v[4:5], s[10:11], s[10:11] op_sel:[0,1]
	s_subb_u32 s9, s31, s11
	v_cmp_ge_i64_e32 vcc, s[30:31], v[4:5]
	s_and_b64 s[6:7], vcc, exec
	s_cselect_b32 s9, s9, 0
	s_cselect_b32 s8, s8, 0
	s_waitcnt lgkmcnt(0)
	s_barrier
	s_and_saveexec_b64 s[6:7], s[4:5]
	s_xor_b64 s[24:25], exec, s[6:7]
	s_cbranch_execz .LBB116_87
; %bb.67:
	s_lshl_b64 s[4:5], s[30:31], 3
	s_add_u32 s4, s20, s4
	s_addc_u32 s5, s21, s5
	s_load_dwordx2 s[4:5], s[4:5], 0x0
	s_waitcnt lgkmcnt(0)
	s_sub_u32 s40, s4, s12
	s_subb_u32 s41, s5, s13
	v_cmp_gt_i64_e32 vcc, s[40:41], v[0:1]
	s_and_saveexec_b64 s[42:43], vcc
	s_cbranch_execz .LBB116_86
; %bb.68:
	s_add_u32 s44, s30, -1
	s_addc_u32 s45, s31, -1
	s_add_u32 s6, s30, -2
	s_addc_u32 s7, s31, -1
	v_pk_mov_b32 v[2:3], s[28:29], s[28:29] op_sel:[0,1]
	s_cmp_lg_u64 s[6:7], s[28:29]
	v_cmp_gt_i64_e32 vcc, s[44:45], v[2:3]
	s_cselect_b64 s[6:7], -1, 0
	s_and_b64 s[6:7], vcc, s[6:7]
	s_sub_u32 s46, s4, s36
	v_cndmask_b32_e64 v2, 0, 1, s[6:7]
	s_subb_u32 s47, s5, 0
	s_mov_b64 s[48:49], 0
	v_cmp_ne_u32_e64 s[4:5], 1, v2
	v_mov_b32_e32 v24, s21
	v_mov_b32_e32 v25, s33
	;; [unrolled: 1-line block ×4, first 2 shown]
	s_mov_b64 s[50:51], 0
	s_branch .LBB116_71
.LBB116_69:                             ;   in Loop: Header=BB116_71 Depth=1
	s_or_b64 exec, exec, s[6:7]
.LBB116_70:                             ;   in Loop: Header=BB116_71 Depth=1
	s_or_b64 exec, exec, s[52:53]
	v_lshlrev_b64 v[6:7], 4, v[16:17]
	v_mov_b32_e32 v8, s27
	v_add_co_u32_e32 v6, vcc, s26, v6
	v_addc_co_u32_e32 v7, vcc, v8, v7, vcc
	global_load_dwordx4 v[6:9], v[6:7], off
	s_add_u32 s50, s50, 0x100
	s_addc_u32 s51, s51, 0
	v_mov_b32_e32 v11, s51
	v_add_co_u32_e32 v10, vcc, s50, v0
	v_addc_co_u32_e32 v11, vcc, 0, v11, vcc
	v_cmp_le_i64_e32 vcc, s[40:41], v[10:11]
	v_lshlrev_b32_e32 v16, 4, v29
	s_or_b64 s[48:49], vcc, s[48:49]
	s_waitcnt vmcnt(0)
	v_mul_f64 v[10:11], v[8:9], v[18:19]
	v_mul_f64 v[12:13], v[8:9], v[2:3]
	v_fmac_f64_e32 v[10:11], v[2:3], v[6:7]
	v_fmac_f64_e32 v[12:13], v[4:5], v[6:7]
	ds_write_b128 v16, v[10:13]
	s_andn2_b64 exec, exec, s[48:49]
	s_cbranch_execz .LBB116_86
.LBB116_71:                             ; =>This Loop Header: Depth=1
                                        ;     Child Loop BB116_73 Depth 2
                                        ;     Child Loop BB116_80 Depth 2
	;; [unrolled: 1-line block ×3, first 2 shown]
	v_mov_b32_e32 v3, s51
	v_add_co_u32_e32 v2, vcc, s50, v14
	v_addc_co_u32_e32 v3, vcc, v3, v15, vcc
	s_and_b64 vcc, exec, s[4:5]
	v_pk_mov_b32 v[4:5], s[28:29], s[28:29] op_sel:[0,1]
	v_pk_mov_b32 v[6:7], s[44:45], s[44:45] op_sel:[0,1]
	s_cbranch_vccnz .LBB116_75
; %bb.72:                               ;   in Loop: Header=BB116_71 Depth=1
	s_mov_b64 s[52:53], 0
	v_pk_mov_b32 v[4:5], s[28:29], s[28:29] op_sel:[0,1]
	v_pk_mov_b32 v[6:7], s[44:45], s[44:45] op_sel:[0,1]
.LBB116_73:                             ;   Parent Loop BB116_71 Depth=1
                                        ; =>  This Inner Loop Header: Depth=2
	v_add_co_u32_e32 v8, vcc, v6, v4
	v_addc_co_u32_e32 v9, vcc, v7, v5, vcc
	v_lshrrev_b32_e32 v10, 31, v9
	v_add_co_u32_e32 v8, vcc, v8, v10
	v_addc_co_u32_e32 v9, vcc, 0, v9, vcc
	v_ashrrev_i64 v[8:9], 1, v[8:9]
	v_lshlrev_b64 v[10:11], 3, v[8:9]
	v_mov_b32_e32 v12, s21
	v_add_co_u32_e32 v10, vcc, s20, v10
	v_addc_co_u32_e32 v11, vcc, v12, v11, vcc
	global_load_dwordx2 v[10:11], v[10:11], off
	v_mov_b32_e32 v12, s33
	s_waitcnt vmcnt(0)
	v_subrev_co_u32_e32 v10, vcc, s36, v10
	v_subb_co_u32_e32 v11, vcc, v11, v12, vcc
	v_cmp_gt_i64_e32 vcc, v[10:11], v[2:3]
	v_cndmask_b32_e32 v6, v6, v8, vcc
	v_cndmask_b32_e32 v7, v7, v9, vcc
	;; [unrolled: 1-line block ×3, first 2 shown]
	v_add_co_u32_e64 v8, s[6:7], -1, v6
	v_cndmask_b32_e32 v5, v9, v5, vcc
	v_addc_co_u32_e64 v9, s[6:7], -1, v7, s[6:7]
	v_cmp_ge_i64_e32 vcc, v[4:5], v[6:7]
	v_cmp_eq_u64_e64 s[6:7], v[4:5], v[8:9]
	s_or_b64 s[6:7], vcc, s[6:7]
	s_and_b64 s[6:7], exec, s[6:7]
	s_or_b64 s[52:53], s[6:7], s[52:53]
	s_andn2_b64 exec, exec, s[52:53]
	s_cbranch_execnz .LBB116_73
; %bb.74:                               ;   in Loop: Header=BB116_71 Depth=1
	s_or_b64 exec, exec, s[52:53]
.LBB116_75:                             ;   in Loop: Header=BB116_71 Depth=1
	v_lshlrev_b64 v[8:9], 3, v[6:7]
	v_add_co_u32_e32 v8, vcc, s20, v8
	v_addc_co_u32_e32 v9, vcc, v24, v9, vcc
	v_lshlrev_b64 v[10:11], 3, v[2:3]
	global_load_dwordx2 v[8:9], v[8:9], off
	v_add_co_u32_e32 v10, vcc, s22, v10
	v_addc_co_u32_e32 v11, vcc, v27, v11, vcc
	global_load_dwordx2 v[10:11], v[10:11], off
	v_add_co_u32_e32 v29, vcc, s50, v0
	v_cmp_le_i64_e32 vcc, s[46:47], v[2:3]
                                        ; implicit-def: $vgpr18_vgpr19
	s_waitcnt vmcnt(1)
	v_subrev_co_u32_e64 v8, s[6:7], s36, v8
	v_subb_co_u32_e64 v9, s[6:7], v9, v25, s[6:7]
	s_waitcnt vmcnt(0)
	v_subrev_co_u32_e64 v16, s[6:7], s36, v10
	v_subb_co_u32_e64 v17, s[6:7], v11, v25, s[6:7]
	v_cmp_gt_i64_e64 s[6:7], v[8:9], v[2:3]
	v_cndmask_b32_e64 v7, v7, v5, s[6:7]
	v_cndmask_b32_e64 v6, v6, v4, s[6:7]
	v_cmp_eq_u64_e64 s[6:7], v[16:17], v[6:7]
	s_or_b64 s[6:7], s[6:7], vcc
	v_lshlrev_b32_e32 v10, 4, v29
                                        ; implicit-def: $vgpr2_vgpr3
	s_and_saveexec_b64 s[52:53], s[6:7]
	s_xor_b64 s[6:7], exec, s[52:53]
	s_cbranch_execz .LBB116_77
; %bb.76:                               ;   in Loop: Header=BB116_71 Depth=1
	ds_read_b128 v[2:5], v10
                                        ; implicit-def: $vgpr10
                                        ; implicit-def: $vgpr6_vgpr7
	s_waitcnt lgkmcnt(0)
	v_xor_b32_e32 v19, 0x80000000, v5
	v_mov_b32_e32 v18, v4
.LBB116_77:                             ;   in Loop: Header=BB116_71 Depth=1
	s_andn2_saveexec_b64 s[52:53], s[6:7]
	s_cbranch_execz .LBB116_70
; %bb.78:                               ;   in Loop: Header=BB116_71 Depth=1
	v_cmp_gt_i64_e32 vcc, s[8:9], v[16:17]
	v_cmp_le_i64_e64 s[6:7], s[30:31], v[16:17]
	s_or_b64 s[6:7], vcc, s[6:7]
	v_lshlrev_b64 v[6:7], 4, v[6:7]
                                        ; implicit-def: $vgpr2_vgpr3
                                        ; implicit-def: $vgpr18_vgpr19
	s_and_saveexec_b64 s[54:55], s[6:7]
	s_xor_b64 s[6:7], exec, s[54:55]
	s_cbranch_execz .LBB116_84
; %bb.79:                               ;   in Loop: Header=BB116_71 Depth=1
	v_mov_b32_e32 v5, s27
	v_add_co_u32_e32 v4, vcc, s26, v6
	v_lshlrev_b64 v[2:3], 4, v[16:17]
	v_addc_co_u32_e32 v5, vcc, v5, v7, vcc
	v_mov_b32_e32 v11, s19
	global_load_dwordx4 v[6:9], v[4:5], off
	v_add_co_u32_e32 v20, vcc, s18, v2
	v_addc_co_u32_e32 v21, vcc, v11, v3, vcc
	global_load_dwordx2 v[12:13], v[20:21], off
	ds_read_b128 v[2:5], v10
	s_mov_b64 s[54:55], 0
	s_waitcnt lgkmcnt(0)
	v_xor_b32_e32 v19, 0x80000000, v5
	v_mov_b32_e32 v18, v4
	s_waitcnt vmcnt(1)
	v_mul_f64 v[22:23], v[8:9], -v[4:5]
	v_fmac_f64_e32 v[22:23], v[2:3], v[6:7]
.LBB116_80:                             ;   Parent Loop BB116_71 Depth=1
                                        ; =>  This Inner Loop Header: Depth=2
	s_waitcnt vmcnt(0)
	v_add_f64 v[10:11], v[12:13], v[22:23]
	global_atomic_cmpswap_x2 v[10:11], v[20:21], v[10:13], off glc
	s_waitcnt vmcnt(0)
	v_cmp_eq_u64_e32 vcc, v[10:11], v[12:13]
	s_or_b64 s[54:55], vcc, s[54:55]
	v_pk_mov_b32 v[12:13], v[10:11], v[10:11] op_sel:[0,1]
	s_andn2_b64 exec, exec, s[54:55]
	s_cbranch_execnz .LBB116_80
; %bb.81:                               ;   in Loop: Header=BB116_71 Depth=1
	s_or_b64 exec, exec, s[54:55]
	global_load_dwordx2 v[10:11], v[20:21], off offset:8
	v_mul_f64 v[12:13], v[8:9], v[2:3]
	v_fmac_f64_e32 v[12:13], v[4:5], v[6:7]
	s_mov_b64 s[54:55], 0
.LBB116_82:                             ;   Parent Loop BB116_71 Depth=1
                                        ; =>  This Inner Loop Header: Depth=2
	s_waitcnt vmcnt(0)
	v_add_f64 v[8:9], v[10:11], v[12:13]
	global_atomic_cmpswap_x2 v[6:7], v[20:21], v[8:11], off offset:8 glc
	s_waitcnt vmcnt(0)
	v_cmp_eq_u64_e32 vcc, v[6:7], v[10:11]
	s_or_b64 s[54:55], vcc, s[54:55]
	v_pk_mov_b32 v[10:11], v[6:7], v[6:7] op_sel:[0,1]
	s_andn2_b64 exec, exec, s[54:55]
	s_cbranch_execnz .LBB116_82
; %bb.83:                               ;   in Loop: Header=BB116_71 Depth=1
	s_or_b64 exec, exec, s[54:55]
                                        ; implicit-def: $vgpr6_vgpr7
                                        ; implicit-def: $vgpr10
.LBB116_84:                             ;   in Loop: Header=BB116_71 Depth=1
	s_andn2_saveexec_b64 s[6:7], s[6:7]
	s_cbranch_execz .LBB116_69
; %bb.85:                               ;   in Loop: Header=BB116_71 Depth=1
	v_mov_b32_e32 v3, s27
	v_add_co_u32_e32 v2, vcc, s26, v6
	v_addc_co_u32_e32 v3, vcc, v3, v7, vcc
	global_load_dwordx4 v[6:9], v[2:3], off
	ds_read_b128 v[2:5], v10
	v_subrev_u32_e32 v10, s8, v16
	v_lshl_add_u32 v12, v10, 4, v28
	s_waitcnt lgkmcnt(0)
	v_xor_b32_e32 v19, 0x80000000, v5
	v_mov_b32_e32 v18, v4
	s_waitcnt vmcnt(0)
	v_mul_f64 v[10:11], v[8:9], -v[4:5]
	v_mul_f64 v[8:9], v[8:9], v[2:3]
	v_fmac_f64_e32 v[10:11], v[2:3], v[6:7]
	v_fmac_f64_e32 v[8:9], v[4:5], v[6:7]
	ds_add_f64 v12, v[10:11]
	ds_add_f64 v12, v[8:9] offset:8
	s_branch .LBB116_69
.LBB116_86:
	s_or_b64 exec, exec, s[42:43]
                                        ; implicit-def: $vgpr16_vgpr17
                                        ; implicit-def: $vgpr14
                                        ; implicit-def: $vgpr2_vgpr3
.LBB116_87:
	s_andn2_saveexec_b64 s[24:25], s[24:25]
	s_cbranch_execz .LBB116_145
; %bb.88:
	s_add_u32 s40, s30, -1
	s_addc_u32 s41, s31, -1
	s_add_u32 s4, s30, -2
	s_addc_u32 s5, s31, -1
	v_pk_mov_b32 v[4:5], s[28:29], s[28:29] op_sel:[0,1]
	s_cmp_eq_u64 s[4:5], s[28:29]
	v_cmp_le_i64_e32 vcc, s[40:41], v[4:5]
	s_cselect_b64 s[4:5], -1, 0
	s_or_b64 s[6:7], vcc, s[4:5]
	s_and_b64 vcc, exec, s[6:7]
	v_pk_mov_b32 v[6:7], s[40:41], s[40:41] op_sel:[0,1]
	s_cbranch_vccnz .LBB116_92
; %bb.89:
	s_mov_b64 s[42:43], 0
	v_pk_mov_b32 v[4:5], s[28:29], s[28:29] op_sel:[0,1]
	v_pk_mov_b32 v[6:7], s[40:41], s[40:41] op_sel:[0,1]
	v_mov_b32_e32 v8, s21
	v_mov_b32_e32 v9, s33
.LBB116_90:                             ; =>This Inner Loop Header: Depth=1
	v_add_co_u32_e32 v10, vcc, v6, v4
	v_addc_co_u32_e32 v11, vcc, v7, v5, vcc
	v_lshrrev_b32_e32 v12, 31, v11
	v_add_co_u32_e32 v10, vcc, v10, v12
	v_addc_co_u32_e32 v11, vcc, 0, v11, vcc
	v_ashrrev_i64 v[10:11], 1, v[10:11]
	v_lshlrev_b64 v[12:13], 3, v[10:11]
	v_add_co_u32_e32 v12, vcc, s20, v12
	v_addc_co_u32_e32 v13, vcc, v8, v13, vcc
	global_load_dwordx2 v[12:13], v[12:13], off
	s_waitcnt vmcnt(0)
	v_subrev_co_u32_e32 v12, vcc, s36, v12
	v_subb_co_u32_e32 v13, vcc, v13, v9, vcc
	v_cmp_gt_i64_e32 vcc, v[12:13], v[14:15]
	v_cndmask_b32_e32 v6, v6, v10, vcc
	v_cndmask_b32_e32 v7, v7, v11, vcc
	;; [unrolled: 1-line block ×3, first 2 shown]
	v_add_co_u32_e64 v10, s[4:5], -1, v6
	v_cndmask_b32_e32 v5, v11, v5, vcc
	v_addc_co_u32_e64 v11, s[4:5], -1, v7, s[4:5]
	v_cmp_ge_i64_e32 vcc, v[4:5], v[6:7]
	v_cmp_eq_u64_e64 s[4:5], v[4:5], v[10:11]
	s_or_b64 s[4:5], vcc, s[4:5]
	s_and_b64 s[4:5], exec, s[4:5]
	s_or_b64 s[42:43], s[4:5], s[42:43]
	s_andn2_b64 exec, exec, s[42:43]
	s_cbranch_execnz .LBB116_90
; %bb.91:
	s_or_b64 exec, exec, s[42:43]
.LBB116_92:
	v_lshlrev_b64 v[8:9], 3, v[6:7]
	v_mov_b32_e32 v10, s21
	v_add_co_u32_e32 v8, vcc, s20, v8
	v_addc_co_u32_e32 v9, vcc, v10, v9, vcc
	global_load_dwordx2 v[8:9], v[8:9], off
	v_mov_b32_e32 v10, s23
	v_add_co_u32_e32 v18, vcc, s22, v2
	v_addc_co_u32_e32 v19, vcc, v10, v3, vcc
	global_load_dwordx2 v[10:11], v[18:19], off
	v_mov_b32_e32 v12, s33
	s_xor_b64 s[6:7], s[6:7], -1
	s_lshl_b64 s[4:5], s[30:31], 3
	s_add_u32 s22, s20, s4
	s_addc_u32 s23, s21, s5
	s_waitcnt vmcnt(1)
	v_subrev_co_u32_e32 v2, vcc, s36, v8
	v_subb_co_u32_e32 v3, vcc, v9, v12, vcc
	v_cmp_gt_i64_e32 vcc, v[2:3], v[14:15]
	v_cndmask_b32_e32 v3, v7, v5, vcc
	v_cndmask_b32_e32 v2, v6, v4, vcc
	s_waitcnt vmcnt(0)
	v_subrev_co_u32_e32 v20, vcc, s36, v10
	v_subb_co_u32_e32 v21, vcc, v11, v12, vcc
	v_cmp_ne_u64_e32 vcc, v[20:21], v[2:3]
	s_and_saveexec_b64 s[42:43], vcc
	s_cbranch_execz .LBB116_102
; %bb.93:
	s_load_dwordx2 s[4:5], s[22:23], 0x0
	s_waitcnt lgkmcnt(0)
	s_sub_u32 s4, s4, s36
	s_subb_u32 s5, s5, 0
	v_cmp_gt_i64_e32 vcc, s[4:5], v[14:15]
	s_and_b64 exec, exec, vcc
	s_cbranch_execz .LBB116_102
; %bb.94:
	v_cmp_gt_i64_e32 vcc, s[8:9], v[20:21]
	v_cmp_le_i64_e64 s[4:5], s[30:31], v[20:21]
	s_or_b64 s[4:5], vcc, s[4:5]
	v_lshlrev_b64 v[2:3], 4, v[2:3]
	s_and_saveexec_b64 s[44:45], s[4:5]
	s_xor_b64 s[4:5], exec, s[44:45]
	s_cbranch_execz .LBB116_100
; %bb.95:
	v_mov_b32_e32 v4, s27
	v_add_co_u32_e32 v2, vcc, s26, v2
	v_lshlrev_b64 v[6:7], 4, v[20:21]
	v_addc_co_u32_e32 v3, vcc, v4, v3, vcc
	v_mov_b32_e32 v8, s19
	global_load_dwordx4 v[2:5], v[2:3], off
	v_add_co_u32_e32 v22, vcc, s18, v6
	v_addc_co_u32_e32 v23, vcc, v8, v7, vcc
	global_load_dwordx2 v[12:13], v[22:23], off
	ds_read_b128 v[6:9], v26
	s_mov_b64 s[44:45], 0
	s_waitcnt vmcnt(1) lgkmcnt(0)
	v_mul_f64 v[24:25], v[4:5], -v[8:9]
	v_fmac_f64_e32 v[24:25], v[6:7], v[2:3]
.LBB116_96:                             ; =>This Inner Loop Header: Depth=1
	s_waitcnt vmcnt(0)
	v_add_f64 v[10:11], v[12:13], v[24:25]
	global_atomic_cmpswap_x2 v[10:11], v[22:23], v[10:13], off glc
	s_waitcnt vmcnt(0)
	v_cmp_eq_u64_e32 vcc, v[10:11], v[12:13]
	s_or_b64 s[44:45], vcc, s[44:45]
	v_pk_mov_b32 v[12:13], v[10:11], v[10:11] op_sel:[0,1]
	s_andn2_b64 exec, exec, s[44:45]
	s_cbranch_execnz .LBB116_96
; %bb.97:
	s_or_b64 exec, exec, s[44:45]
	global_load_dwordx2 v[10:11], v[22:23], off offset:8
	v_mul_f64 v[4:5], v[4:5], v[6:7]
	v_fmac_f64_e32 v[4:5], v[8:9], v[2:3]
	s_mov_b64 s[44:45], 0
.LBB116_98:                             ; =>This Inner Loop Header: Depth=1
	s_waitcnt vmcnt(0)
	v_add_f64 v[8:9], v[10:11], v[4:5]
	global_atomic_cmpswap_x2 v[2:3], v[22:23], v[8:11], off offset:8 glc
	s_waitcnt vmcnt(0)
	v_cmp_eq_u64_e32 vcc, v[2:3], v[10:11]
	s_or_b64 s[44:45], vcc, s[44:45]
	v_pk_mov_b32 v[10:11], v[2:3], v[2:3] op_sel:[0,1]
	s_andn2_b64 exec, exec, s[44:45]
	s_cbranch_execnz .LBB116_98
; %bb.99:
	s_or_b64 exec, exec, s[44:45]
                                        ; implicit-def: $vgpr2_vgpr3
.LBB116_100:
	s_andn2_saveexec_b64 s[4:5], s[4:5]
	s_cbranch_execz .LBB116_102
; %bb.101:
	v_mov_b32_e32 v4, s27
	v_add_co_u32_e32 v2, vcc, s26, v2
	v_addc_co_u32_e32 v3, vcc, v4, v3, vcc
	global_load_dwordx4 v[2:5], v[2:3], off
	ds_read_b128 v[6:9], v26
	v_subrev_u32_e32 v10, s8, v20
	v_mov_b32_e32 v11, 0x4000
	v_lshl_add_u32 v12, v10, 4, v11
	s_waitcnt vmcnt(0) lgkmcnt(0)
	v_mul_f64 v[10:11], v[4:5], -v[8:9]
	v_mul_f64 v[4:5], v[4:5], v[6:7]
	v_fmac_f64_e32 v[10:11], v[6:7], v[2:3]
	v_fmac_f64_e32 v[4:5], v[8:9], v[2:3]
	ds_add_f64 v12, v[10:11]
	ds_add_f64 v12, v[4:5] offset:8
.LBB116_102:
	s_or_b64 exec, exec, s[42:43]
	v_lshlrev_b64 v[2:3], 4, v[20:21]
	v_mov_b32_e32 v4, s27
	v_add_co_u32_e32 v2, vcc, s26, v2
	v_addc_co_u32_e32 v3, vcc, v4, v3, vcc
	global_load_dwordx4 v[6:9], v[2:3], off
	ds_read_b128 v[10:13], v26
	v_add_co_u32_e32 v2, vcc, 0x100, v14
	v_cndmask_b32_e64 v20, 0, 1, s[6:7]
	v_addc_co_u32_e32 v3, vcc, 0, v15, vcc
	v_cmp_ne_u32_e64 s[4:5], 1, v20
	v_pk_mov_b32 v[4:5], s[28:29], s[28:29] op_sel:[0,1]
	s_andn2_b64 vcc, exec, s[6:7]
	s_waitcnt vmcnt(0) lgkmcnt(0)
	v_mul_f64 v[20:21], v[8:9], -v[12:13]
	v_mul_f64 v[22:23], v[8:9], v[10:11]
	v_fmac_f64_e32 v[20:21], v[10:11], v[6:7]
	v_fmac_f64_e32 v[22:23], v[12:13], v[6:7]
	v_pk_mov_b32 v[6:7], s[40:41], s[40:41] op_sel:[0,1]
	ds_write_b128 v26, v[20:23]
	s_cbranch_vccnz .LBB116_106
; %bb.103:
	s_mov_b64 s[42:43], 0
	v_pk_mov_b32 v[4:5], s[28:29], s[28:29] op_sel:[0,1]
	v_pk_mov_b32 v[6:7], s[40:41], s[40:41] op_sel:[0,1]
	v_mov_b32_e32 v8, s21
	v_mov_b32_e32 v9, s33
.LBB116_104:                            ; =>This Inner Loop Header: Depth=1
	v_add_co_u32_e32 v10, vcc, v6, v4
	v_addc_co_u32_e32 v11, vcc, v7, v5, vcc
	v_lshrrev_b32_e32 v12, 31, v11
	v_add_co_u32_e32 v10, vcc, v10, v12
	v_addc_co_u32_e32 v11, vcc, 0, v11, vcc
	v_ashrrev_i64 v[10:11], 1, v[10:11]
	v_lshlrev_b64 v[12:13], 3, v[10:11]
	v_add_co_u32_e32 v12, vcc, s20, v12
	v_addc_co_u32_e32 v13, vcc, v8, v13, vcc
	global_load_dwordx2 v[12:13], v[12:13], off
	s_waitcnt vmcnt(0)
	v_subrev_co_u32_e32 v12, vcc, s36, v12
	v_subb_co_u32_e32 v13, vcc, v13, v9, vcc
	v_cmp_gt_i64_e32 vcc, v[12:13], v[2:3]
	v_cndmask_b32_e32 v6, v6, v10, vcc
	v_cndmask_b32_e32 v7, v7, v11, vcc
	;; [unrolled: 1-line block ×3, first 2 shown]
	v_add_co_u32_e64 v10, s[6:7], -1, v6
	v_cndmask_b32_e32 v5, v11, v5, vcc
	v_addc_co_u32_e64 v11, s[6:7], -1, v7, s[6:7]
	v_cmp_ge_i64_e32 vcc, v[4:5], v[6:7]
	v_cmp_eq_u64_e64 s[6:7], v[4:5], v[10:11]
	s_or_b64 s[6:7], vcc, s[6:7]
	s_and_b64 s[6:7], exec, s[6:7]
	s_or_b64 s[42:43], s[6:7], s[42:43]
	s_andn2_b64 exec, exec, s[42:43]
	s_cbranch_execnz .LBB116_104
; %bb.105:
	s_or_b64 exec, exec, s[42:43]
.LBB116_106:
	v_lshlrev_b64 v[8:9], 3, v[6:7]
	v_mov_b32_e32 v10, s21
	v_add_co_u32_e32 v8, vcc, s20, v8
	v_addc_co_u32_e32 v9, vcc, v10, v9, vcc
	global_load_dwordx2 v[10:11], v[8:9], off
	global_load_dwordx2 v[12:13], v[18:19], off offset:2048
	v_mov_b32_e32 v21, s33
	s_waitcnt vmcnt(1)
	v_subrev_co_u32_e32 v8, vcc, s36, v10
	v_subb_co_u32_e32 v9, vcc, v11, v21, vcc
	v_cmp_gt_i64_e32 vcc, v[8:9], v[2:3]
	v_cndmask_b32_e32 v5, v7, v5, vcc
	v_cndmask_b32_e32 v4, v6, v4, vcc
	s_waitcnt vmcnt(0)
	v_subrev_co_u32_e32 v20, vcc, s36, v12
	v_subb_co_u32_e32 v21, vcc, v13, v21, vcc
	v_cmp_ne_u64_e32 vcc, v[20:21], v[4:5]
	s_and_saveexec_b64 s[42:43], vcc
	s_cbranch_execz .LBB116_116
; %bb.107:
	s_load_dwordx2 s[6:7], s[22:23], 0x0
	s_waitcnt lgkmcnt(0)
	s_sub_u32 s6, s6, s36
	s_subb_u32 s7, s7, 0
	v_cmp_gt_i64_e32 vcc, s[6:7], v[2:3]
	s_and_b64 exec, exec, vcc
	s_cbranch_execz .LBB116_116
; %bb.108:
	v_cmp_gt_i64_e32 vcc, s[8:9], v[20:21]
	v_cmp_le_i64_e64 s[6:7], s[30:31], v[20:21]
	s_or_b64 s[6:7], vcc, s[6:7]
	v_lshlrev_b64 v[2:3], 4, v[4:5]
	s_and_saveexec_b64 s[44:45], s[6:7]
	s_xor_b64 s[6:7], exec, s[44:45]
	s_cbranch_execz .LBB116_114
; %bb.109:
	v_mov_b32_e32 v4, s27
	v_add_co_u32_e32 v2, vcc, s26, v2
	v_lshlrev_b64 v[6:7], 4, v[20:21]
	v_addc_co_u32_e32 v3, vcc, v4, v3, vcc
	v_mov_b32_e32 v8, s19
	global_load_dwordx4 v[2:5], v[2:3], off
	v_add_co_u32_e32 v22, vcc, s18, v6
	v_addc_co_u32_e32 v23, vcc, v8, v7, vcc
	global_load_dwordx2 v[12:13], v[22:23], off
	ds_read_b128 v[6:9], v26 offset:4096
	s_mov_b64 s[44:45], 0
	s_waitcnt vmcnt(1) lgkmcnt(0)
	v_mul_f64 v[24:25], v[4:5], -v[8:9]
	v_fmac_f64_e32 v[24:25], v[6:7], v[2:3]
.LBB116_110:                            ; =>This Inner Loop Header: Depth=1
	s_waitcnt vmcnt(0)
	v_add_f64 v[10:11], v[12:13], v[24:25]
	global_atomic_cmpswap_x2 v[10:11], v[22:23], v[10:13], off glc
	s_waitcnt vmcnt(0)
	v_cmp_eq_u64_e32 vcc, v[10:11], v[12:13]
	s_or_b64 s[44:45], vcc, s[44:45]
	v_pk_mov_b32 v[12:13], v[10:11], v[10:11] op_sel:[0,1]
	s_andn2_b64 exec, exec, s[44:45]
	s_cbranch_execnz .LBB116_110
; %bb.111:
	s_or_b64 exec, exec, s[44:45]
	global_load_dwordx2 v[10:11], v[22:23], off offset:8
	v_mul_f64 v[4:5], v[4:5], v[6:7]
	v_fmac_f64_e32 v[4:5], v[8:9], v[2:3]
	s_mov_b64 s[44:45], 0
.LBB116_112:                            ; =>This Inner Loop Header: Depth=1
	s_waitcnt vmcnt(0)
	v_add_f64 v[8:9], v[10:11], v[4:5]
	global_atomic_cmpswap_x2 v[2:3], v[22:23], v[8:11], off offset:8 glc
	s_waitcnt vmcnt(0)
	v_cmp_eq_u64_e32 vcc, v[2:3], v[10:11]
	s_or_b64 s[44:45], vcc, s[44:45]
	v_pk_mov_b32 v[10:11], v[2:3], v[2:3] op_sel:[0,1]
	s_andn2_b64 exec, exec, s[44:45]
	s_cbranch_execnz .LBB116_112
; %bb.113:
	s_or_b64 exec, exec, s[44:45]
                                        ; implicit-def: $vgpr2_vgpr3
.LBB116_114:
	s_andn2_saveexec_b64 s[6:7], s[6:7]
	s_cbranch_execz .LBB116_116
; %bb.115:
	v_mov_b32_e32 v4, s27
	v_add_co_u32_e32 v2, vcc, s26, v2
	v_addc_co_u32_e32 v3, vcc, v4, v3, vcc
	global_load_dwordx4 v[2:5], v[2:3], off
	ds_read_b128 v[6:9], v26 offset:4096
	v_subrev_u32_e32 v10, s8, v20
	v_mov_b32_e32 v11, 0x4000
	v_lshl_add_u32 v12, v10, 4, v11
	s_waitcnt vmcnt(0) lgkmcnt(0)
	v_mul_f64 v[10:11], v[4:5], -v[8:9]
	v_mul_f64 v[4:5], v[4:5], v[6:7]
	v_fmac_f64_e32 v[10:11], v[6:7], v[2:3]
	v_fmac_f64_e32 v[4:5], v[8:9], v[2:3]
	ds_add_f64 v12, v[10:11]
	ds_add_f64 v12, v[4:5] offset:8
.LBB116_116:
	s_or_b64 exec, exec, s[42:43]
	v_lshlrev_b64 v[2:3], 4, v[20:21]
	v_mov_b32_e32 v4, s27
	v_add_co_u32_e32 v2, vcc, s26, v2
	v_addc_co_u32_e32 v3, vcc, v4, v3, vcc
	global_load_dwordx4 v[6:9], v[2:3], off
	ds_read_b128 v[10:13], v26 offset:4096
	v_add_co_u32_e32 v2, vcc, 0x200, v14
	v_addc_co_u32_e32 v3, vcc, 0, v15, vcc
	v_pk_mov_b32 v[4:5], s[28:29], s[28:29] op_sel:[0,1]
	s_and_b64 vcc, exec, s[4:5]
	s_waitcnt vmcnt(0) lgkmcnt(0)
	v_mul_f64 v[20:21], v[8:9], -v[12:13]
	v_mul_f64 v[22:23], v[8:9], v[10:11]
	v_fmac_f64_e32 v[20:21], v[10:11], v[6:7]
	v_fmac_f64_e32 v[22:23], v[12:13], v[6:7]
	v_pk_mov_b32 v[6:7], s[40:41], s[40:41] op_sel:[0,1]
	ds_write_b128 v26, v[20:23] offset:4096
	s_cbranch_vccnz .LBB116_120
; %bb.117:
	s_mov_b64 s[42:43], 0
	v_pk_mov_b32 v[4:5], s[28:29], s[28:29] op_sel:[0,1]
	v_pk_mov_b32 v[6:7], s[40:41], s[40:41] op_sel:[0,1]
	v_mov_b32_e32 v8, s21
	v_mov_b32_e32 v9, s33
.LBB116_118:                            ; =>This Inner Loop Header: Depth=1
	v_add_co_u32_e32 v10, vcc, v6, v4
	v_addc_co_u32_e32 v11, vcc, v7, v5, vcc
	v_lshrrev_b32_e32 v12, 31, v11
	v_add_co_u32_e32 v10, vcc, v10, v12
	v_addc_co_u32_e32 v11, vcc, 0, v11, vcc
	v_ashrrev_i64 v[10:11], 1, v[10:11]
	v_lshlrev_b64 v[12:13], 3, v[10:11]
	v_add_co_u32_e32 v12, vcc, s20, v12
	v_addc_co_u32_e32 v13, vcc, v8, v13, vcc
	global_load_dwordx2 v[12:13], v[12:13], off
	s_waitcnt vmcnt(0)
	v_subrev_co_u32_e32 v12, vcc, s36, v12
	v_subb_co_u32_e32 v13, vcc, v13, v9, vcc
	v_cmp_gt_i64_e32 vcc, v[12:13], v[2:3]
	v_cndmask_b32_e32 v6, v6, v10, vcc
	v_cndmask_b32_e32 v7, v7, v11, vcc
	;; [unrolled: 1-line block ×3, first 2 shown]
	v_add_co_u32_e64 v10, s[6:7], -1, v6
	v_cndmask_b32_e32 v5, v11, v5, vcc
	v_addc_co_u32_e64 v11, s[6:7], -1, v7, s[6:7]
	v_cmp_ge_i64_e32 vcc, v[4:5], v[6:7]
	v_cmp_eq_u64_e64 s[6:7], v[4:5], v[10:11]
	s_or_b64 s[6:7], vcc, s[6:7]
	s_and_b64 s[6:7], exec, s[6:7]
	s_or_b64 s[42:43], s[6:7], s[42:43]
	s_andn2_b64 exec, exec, s[42:43]
	s_cbranch_execnz .LBB116_118
; %bb.119:
	s_or_b64 exec, exec, s[42:43]
.LBB116_120:
	v_lshlrev_b64 v[8:9], 3, v[6:7]
	v_mov_b32_e32 v10, s21
	v_add_co_u32_e32 v8, vcc, s20, v8
	v_addc_co_u32_e32 v9, vcc, v10, v9, vcc
	global_load_dwordx2 v[8:9], v[8:9], off
	v_add_co_u32_e32 v10, vcc, 0x1000, v18
	v_addc_co_u32_e32 v11, vcc, 0, v19, vcc
	global_load_dwordx2 v[10:11], v[10:11], off
	v_mov_b32_e32 v12, s33
	s_waitcnt vmcnt(1)
	v_subrev_co_u32_e32 v8, vcc, s36, v8
	v_subb_co_u32_e32 v9, vcc, v9, v12, vcc
	v_cmp_gt_i64_e32 vcc, v[8:9], v[2:3]
	v_cndmask_b32_e32 v5, v7, v5, vcc
	v_cndmask_b32_e32 v4, v6, v4, vcc
	s_waitcnt vmcnt(0)
	v_subrev_co_u32_e32 v14, vcc, s36, v10
	v_subb_co_u32_e32 v15, vcc, v11, v12, vcc
	v_cmp_ne_u64_e32 vcc, v[14:15], v[4:5]
	s_and_saveexec_b64 s[42:43], vcc
	s_cbranch_execz .LBB116_130
; %bb.121:
	s_load_dwordx2 s[6:7], s[22:23], 0x0
	s_waitcnt lgkmcnt(0)
	s_sub_u32 s6, s6, s36
	s_subb_u32 s7, s7, 0
	v_cmp_gt_i64_e32 vcc, s[6:7], v[2:3]
	s_and_b64 exec, exec, vcc
	s_cbranch_execz .LBB116_130
; %bb.122:
	v_cmp_gt_i64_e32 vcc, s[8:9], v[14:15]
	v_cmp_le_i64_e64 s[6:7], s[30:31], v[14:15]
	s_or_b64 s[6:7], vcc, s[6:7]
	v_lshlrev_b64 v[2:3], 4, v[4:5]
	s_and_saveexec_b64 s[44:45], s[6:7]
	s_xor_b64 s[6:7], exec, s[44:45]
	s_cbranch_execz .LBB116_128
; %bb.123:
	v_mov_b32_e32 v4, s27
	v_add_co_u32_e32 v2, vcc, s26, v2
	v_lshlrev_b64 v[6:7], 4, v[14:15]
	v_addc_co_u32_e32 v3, vcc, v4, v3, vcc
	v_mov_b32_e32 v8, s19
	global_load_dwordx4 v[2:5], v[2:3], off
	v_add_co_u32_e32 v20, vcc, s18, v6
	v_addc_co_u32_e32 v21, vcc, v8, v7, vcc
	global_load_dwordx2 v[12:13], v[20:21], off
	ds_read_b128 v[6:9], v26 offset:8192
	s_mov_b64 s[44:45], 0
	s_waitcnt vmcnt(1) lgkmcnt(0)
	v_mul_f64 v[22:23], v[4:5], -v[8:9]
	v_fmac_f64_e32 v[22:23], v[6:7], v[2:3]
.LBB116_124:                            ; =>This Inner Loop Header: Depth=1
	s_waitcnt vmcnt(0)
	v_add_f64 v[10:11], v[12:13], v[22:23]
	global_atomic_cmpswap_x2 v[10:11], v[20:21], v[10:13], off glc
	s_waitcnt vmcnt(0)
	v_cmp_eq_u64_e32 vcc, v[10:11], v[12:13]
	s_or_b64 s[44:45], vcc, s[44:45]
	v_pk_mov_b32 v[12:13], v[10:11], v[10:11] op_sel:[0,1]
	s_andn2_b64 exec, exec, s[44:45]
	s_cbranch_execnz .LBB116_124
; %bb.125:
	s_or_b64 exec, exec, s[44:45]
	global_load_dwordx2 v[10:11], v[20:21], off offset:8
	v_mul_f64 v[4:5], v[4:5], v[6:7]
	v_fmac_f64_e32 v[4:5], v[8:9], v[2:3]
	s_mov_b64 s[44:45], 0
.LBB116_126:                            ; =>This Inner Loop Header: Depth=1
	s_waitcnt vmcnt(0)
	v_add_f64 v[8:9], v[10:11], v[4:5]
	global_atomic_cmpswap_x2 v[2:3], v[20:21], v[8:11], off offset:8 glc
	s_waitcnt vmcnt(0)
	v_cmp_eq_u64_e32 vcc, v[2:3], v[10:11]
	s_or_b64 s[44:45], vcc, s[44:45]
	v_pk_mov_b32 v[10:11], v[2:3], v[2:3] op_sel:[0,1]
	s_andn2_b64 exec, exec, s[44:45]
	s_cbranch_execnz .LBB116_126
; %bb.127:
	s_or_b64 exec, exec, s[44:45]
                                        ; implicit-def: $vgpr2_vgpr3
.LBB116_128:
	s_andn2_saveexec_b64 s[6:7], s[6:7]
	s_cbranch_execz .LBB116_130
; %bb.129:
	v_mov_b32_e32 v4, s27
	v_add_co_u32_e32 v2, vcc, s26, v2
	v_addc_co_u32_e32 v3, vcc, v4, v3, vcc
	global_load_dwordx4 v[2:5], v[2:3], off
	ds_read_b128 v[6:9], v26 offset:8192
	v_subrev_u32_e32 v10, s8, v14
	v_mov_b32_e32 v11, 0x4000
	v_lshl_add_u32 v12, v10, 4, v11
	s_waitcnt vmcnt(0) lgkmcnt(0)
	v_mul_f64 v[10:11], v[4:5], -v[8:9]
	v_mul_f64 v[4:5], v[4:5], v[6:7]
	v_fmac_f64_e32 v[10:11], v[6:7], v[2:3]
	v_fmac_f64_e32 v[4:5], v[8:9], v[2:3]
	ds_add_f64 v12, v[10:11]
	ds_add_f64 v12, v[4:5] offset:8
.LBB116_130:
	s_or_b64 exec, exec, s[42:43]
	v_lshlrev_b64 v[2:3], 4, v[14:15]
	v_mov_b32_e32 v4, s27
	v_add_co_u32_e32 v2, vcc, s26, v2
	v_addc_co_u32_e32 v3, vcc, v4, v3, vcc
	global_load_dwordx4 v[4:7], v[2:3], off
	ds_read_b128 v[8:11], v26 offset:8192
	s_and_b64 vcc, exec, s[4:5]
	v_pk_mov_b32 v[2:3], s[28:29], s[28:29] op_sel:[0,1]
	s_waitcnt vmcnt(0) lgkmcnt(0)
	v_mul_f64 v[12:13], v[6:7], -v[10:11]
	v_mul_f64 v[14:15], v[6:7], v[8:9]
	v_fmac_f64_e32 v[12:13], v[8:9], v[4:5]
	v_fmac_f64_e32 v[14:15], v[10:11], v[4:5]
	v_pk_mov_b32 v[4:5], s[40:41], s[40:41] op_sel:[0,1]
	ds_write_b128 v26, v[12:15] offset:8192
	s_cbranch_vccnz .LBB116_134
; %bb.131:
	s_mov_b64 s[6:7], 0
	v_pk_mov_b32 v[2:3], s[28:29], s[28:29] op_sel:[0,1]
	v_pk_mov_b32 v[4:5], s[40:41], s[40:41] op_sel:[0,1]
	v_mov_b32_e32 v6, s21
	v_mov_b32_e32 v7, s33
.LBB116_132:                            ; =>This Inner Loop Header: Depth=1
	v_add_co_u32_e32 v8, vcc, v4, v2
	v_addc_co_u32_e32 v9, vcc, v5, v3, vcc
	v_lshrrev_b32_e32 v10, 31, v9
	v_add_co_u32_e32 v8, vcc, v8, v10
	v_addc_co_u32_e32 v9, vcc, 0, v9, vcc
	v_ashrrev_i64 v[8:9], 1, v[8:9]
	v_lshlrev_b64 v[10:11], 3, v[8:9]
	v_add_co_u32_e32 v10, vcc, s20, v10
	v_addc_co_u32_e32 v11, vcc, v6, v11, vcc
	global_load_dwordx2 v[10:11], v[10:11], off
	s_waitcnt vmcnt(0)
	v_subrev_co_u32_e32 v10, vcc, s36, v10
	v_subb_co_u32_e32 v11, vcc, v11, v7, vcc
	v_cmp_gt_i64_e32 vcc, v[10:11], v[16:17]
	v_cndmask_b32_e32 v4, v4, v8, vcc
	v_cndmask_b32_e32 v5, v5, v9, vcc
	;; [unrolled: 1-line block ×3, first 2 shown]
	v_add_co_u32_e64 v8, s[4:5], -1, v4
	v_cndmask_b32_e32 v3, v9, v3, vcc
	v_addc_co_u32_e64 v9, s[4:5], -1, v5, s[4:5]
	v_cmp_ge_i64_e32 vcc, v[2:3], v[4:5]
	v_cmp_eq_u64_e64 s[4:5], v[2:3], v[8:9]
	s_or_b64 s[4:5], vcc, s[4:5]
	s_and_b64 s[4:5], exec, s[4:5]
	s_or_b64 s[6:7], s[4:5], s[6:7]
	s_andn2_b64 exec, exec, s[6:7]
	s_cbranch_execnz .LBB116_132
; %bb.133:
	s_or_b64 exec, exec, s[6:7]
.LBB116_134:
	v_lshlrev_b64 v[6:7], 3, v[4:5]
	v_mov_b32_e32 v8, s21
	v_add_co_u32_e32 v6, vcc, s20, v6
	v_addc_co_u32_e32 v7, vcc, v8, v7, vcc
	global_load_dwordx2 v[6:7], v[6:7], off
	v_add_co_u32_e32 v8, vcc, 0x1000, v18
	v_addc_co_u32_e32 v9, vcc, 0, v19, vcc
	global_load_dwordx2 v[8:9], v[8:9], off offset:2048
	v_mov_b32_e32 v10, s33
	s_waitcnt vmcnt(1)
	v_subrev_co_u32_e32 v6, vcc, s36, v6
	v_subb_co_u32_e32 v7, vcc, v7, v10, vcc
	v_cmp_gt_i64_e32 vcc, v[6:7], v[16:17]
	v_cndmask_b32_e32 v3, v5, v3, vcc
	v_cndmask_b32_e32 v2, v4, v2, vcc
	s_waitcnt vmcnt(0)
	v_subrev_co_u32_e32 v14, vcc, s36, v8
	v_subb_co_u32_e32 v15, vcc, v9, v10, vcc
	v_cmp_ne_u64_e32 vcc, v[14:15], v[2:3]
	s_and_saveexec_b64 s[6:7], vcc
	s_cbranch_execz .LBB116_144
; %bb.135:
	s_load_dwordx2 s[4:5], s[22:23], 0x0
	s_waitcnt lgkmcnt(0)
	s_sub_u32 s4, s4, s36
	s_subb_u32 s5, s5, 0
	v_cmp_gt_i64_e32 vcc, s[4:5], v[16:17]
	s_and_b64 exec, exec, vcc
	s_cbranch_execz .LBB116_144
; %bb.136:
	v_cmp_gt_i64_e32 vcc, s[8:9], v[14:15]
	v_cmp_le_i64_e64 s[4:5], s[30:31], v[14:15]
	s_or_b64 s[4:5], vcc, s[4:5]
	v_lshlrev_b64 v[2:3], 4, v[2:3]
	s_and_saveexec_b64 s[22:23], s[4:5]
	s_xor_b64 s[4:5], exec, s[22:23]
	s_cbranch_execz .LBB116_142
; %bb.137:
	v_mov_b32_e32 v4, s27
	v_add_co_u32_e32 v2, vcc, s26, v2
	v_lshlrev_b64 v[6:7], 4, v[14:15]
	v_addc_co_u32_e32 v3, vcc, v4, v3, vcc
	v_mov_b32_e32 v8, s19
	global_load_dwordx4 v[2:5], v[2:3], off
	v_add_co_u32_e32 v16, vcc, s18, v6
	v_addc_co_u32_e32 v17, vcc, v8, v7, vcc
	global_load_dwordx2 v[12:13], v[16:17], off
	ds_read_b128 v[6:9], v26 offset:12288
	s_mov_b64 s[22:23], 0
	s_waitcnt vmcnt(1) lgkmcnt(0)
	v_mul_f64 v[18:19], v[4:5], -v[8:9]
	v_fmac_f64_e32 v[18:19], v[6:7], v[2:3]
.LBB116_138:                            ; =>This Inner Loop Header: Depth=1
	s_waitcnt vmcnt(0)
	v_add_f64 v[10:11], v[12:13], v[18:19]
	global_atomic_cmpswap_x2 v[10:11], v[16:17], v[10:13], off glc
	s_waitcnt vmcnt(0)
	v_cmp_eq_u64_e32 vcc, v[10:11], v[12:13]
	s_or_b64 s[22:23], vcc, s[22:23]
	v_pk_mov_b32 v[12:13], v[10:11], v[10:11] op_sel:[0,1]
	s_andn2_b64 exec, exec, s[22:23]
	s_cbranch_execnz .LBB116_138
; %bb.139:
	s_or_b64 exec, exec, s[22:23]
	global_load_dwordx2 v[10:11], v[16:17], off offset:8
	v_mul_f64 v[4:5], v[4:5], v[6:7]
	v_fmac_f64_e32 v[4:5], v[8:9], v[2:3]
	s_mov_b64 s[22:23], 0
.LBB116_140:                            ; =>This Inner Loop Header: Depth=1
	s_waitcnt vmcnt(0)
	v_add_f64 v[8:9], v[10:11], v[4:5]
	global_atomic_cmpswap_x2 v[2:3], v[16:17], v[8:11], off offset:8 glc
	s_waitcnt vmcnt(0)
	v_cmp_eq_u64_e32 vcc, v[2:3], v[10:11]
	s_or_b64 s[22:23], vcc, s[22:23]
	v_pk_mov_b32 v[10:11], v[2:3], v[2:3] op_sel:[0,1]
	s_andn2_b64 exec, exec, s[22:23]
	s_cbranch_execnz .LBB116_140
; %bb.141:
	s_or_b64 exec, exec, s[22:23]
                                        ; implicit-def: $vgpr2_vgpr3
.LBB116_142:
	s_andn2_saveexec_b64 s[4:5], s[4:5]
	s_cbranch_execz .LBB116_144
; %bb.143:
	v_mov_b32_e32 v4, s27
	v_add_co_u32_e32 v2, vcc, s26, v2
	v_addc_co_u32_e32 v3, vcc, v4, v3, vcc
	global_load_dwordx4 v[2:5], v[2:3], off
	ds_read_b128 v[6:9], v26 offset:12288
	v_subrev_u32_e32 v10, s8, v14
	v_mov_b32_e32 v11, 0x4000
	v_lshl_add_u32 v12, v10, 4, v11
	s_waitcnt vmcnt(0) lgkmcnt(0)
	v_mul_f64 v[10:11], v[4:5], -v[8:9]
	v_mul_f64 v[4:5], v[4:5], v[6:7]
	v_fmac_f64_e32 v[10:11], v[6:7], v[2:3]
	v_fmac_f64_e32 v[4:5], v[8:9], v[2:3]
	ds_add_f64 v12, v[10:11]
	ds_add_f64 v12, v[4:5] offset:8
.LBB116_144:
	s_or_b64 exec, exec, s[6:7]
	v_lshlrev_b64 v[2:3], 4, v[14:15]
	v_mov_b32_e32 v4, s27
	v_add_co_u32_e32 v2, vcc, s26, v2
	v_addc_co_u32_e32 v3, vcc, v4, v3, vcc
	global_load_dwordx4 v[2:5], v[2:3], off
	ds_read_b128 v[6:9], v26 offset:12288
	s_waitcnt vmcnt(0) lgkmcnt(0)
	v_mul_f64 v[10:11], v[4:5], -v[8:9]
	v_mul_f64 v[12:13], v[4:5], v[6:7]
	v_fmac_f64_e32 v[10:11], v[6:7], v[2:3]
	v_fmac_f64_e32 v[12:13], v[8:9], v[2:3]
	ds_write_b128 v26, v[10:13] offset:12288
.LBB116_145:
	s_or_b64 exec, exec, s[24:25]
	v_pk_mov_b32 v[2:3], s[10:11], s[10:11] op_sel:[0,1]
	v_cmp_lt_i64_e32 vcc, s[30:31], v[2:3]
	s_and_b64 s[4:5], vcc, exec
	s_cselect_b32 s22, s30, s10
	s_cselect_b32 s4, s31, s11
	s_sub_u32 s6, s22, s34
	s_subb_u32 s7, s4, s35
	v_cmp_gt_i64_e32 vcc, s[6:7], v[0:1]
	s_waitcnt lgkmcnt(0)
	s_barrier
	s_and_saveexec_b64 s[4:5], vcc
	s_cbranch_execz .LBB116_152
; %bb.146:
	s_lshl_b64 s[8:9], s[8:9], 4
	s_add_u32 s23, s18, s8
	s_addc_u32 s10, s19, s9
	s_mov_b64 s[8:9], 0
	v_mov_b32_e32 v14, s10
	v_mov_b32_e32 v15, 0x4000
	v_pk_mov_b32 v[10:11], v[0:1], v[0:1] op_sel:[0,1]
.LBB116_147:                            ; =>This Loop Header: Depth=1
                                        ;     Child Loop BB116_148 Depth 2
                                        ;     Child Loop BB116_150 Depth 2
	v_lshlrev_b64 v[2:3], 4, v[10:11]
	v_add_co_u32_e32 v12, vcc, s23, v2
	v_addc_co_u32_e32 v13, vcc, v14, v3, vcc
	global_load_dwordx2 v[8:9], v[12:13], off
	v_lshl_add_u32 v2, v10, 4, v15
	ds_read2_b64 v[2:5], v2 offset1:1
	s_mov_b64 s[10:11], 0
.LBB116_148:                            ;   Parent Loop BB116_147 Depth=1
                                        ; =>  This Inner Loop Header: Depth=2
	s_waitcnt vmcnt(0) lgkmcnt(0)
	v_add_f64 v[6:7], v[8:9], v[2:3]
	global_atomic_cmpswap_x2 v[6:7], v[12:13], v[6:9], off glc
	s_waitcnt vmcnt(0)
	v_cmp_eq_u64_e32 vcc, v[6:7], v[8:9]
	s_or_b64 s[10:11], vcc, s[10:11]
	v_pk_mov_b32 v[8:9], v[6:7], v[6:7] op_sel:[0,1]
	s_andn2_b64 exec, exec, s[10:11]
	s_cbranch_execnz .LBB116_148
; %bb.149:                              ;   in Loop: Header=BB116_147 Depth=1
	s_or_b64 exec, exec, s[10:11]
	global_load_dwordx2 v[8:9], v[12:13], off offset:8
	s_mov_b64 s[10:11], 0
.LBB116_150:                            ;   Parent Loop BB116_147 Depth=1
                                        ; =>  This Inner Loop Header: Depth=2
	s_waitcnt vmcnt(0)
	v_add_f64 v[6:7], v[8:9], v[4:5]
	global_atomic_cmpswap_x2 v[2:3], v[12:13], v[6:9], off offset:8 glc
	s_waitcnt vmcnt(0)
	v_cmp_eq_u64_e32 vcc, v[2:3], v[8:9]
	s_or_b64 s[10:11], vcc, s[10:11]
	v_pk_mov_b32 v[8:9], v[2:3], v[2:3] op_sel:[0,1]
	s_andn2_b64 exec, exec, s[10:11]
	s_cbranch_execnz .LBB116_150
; %bb.151:                              ;   in Loop: Header=BB116_147 Depth=1
	s_or_b64 exec, exec, s[10:11]
	v_add_co_u32_e32 v10, vcc, 0x100, v10
	v_addc_co_u32_e32 v11, vcc, 0, v11, vcc
	v_cmp_le_i64_e32 vcc, s[6:7], v[10:11]
	s_or_b64 s[8:9], vcc, s[8:9]
	s_andn2_b64 exec, exec, s[8:9]
	s_cbranch_execnz .LBB116_147
.LBB116_152:
	s_or_b64 exec, exec, s[4:5]
	s_add_i32 s4, s38, -1
	s_ashr_i32 s5, s4, 1
	s_or_b32 s4, s5, s4
	s_ashr_i32 s5, s4, 2
	s_or_b32 s4, s5, s4
	;; [unrolled: 2-line block ×5, first 2 shown]
	s_add_i32 s7, s7, 1
	s_ashr_i32 s24, s7, 1
	v_mov_b32_e32 v2, s29
	v_add_co_u32_e32 v10, vcc, s28, v0
	v_addc_co_u32_e32 v11, vcc, 0, v2, vcc
	s_cmp_gt_i32 s24, 1
	s_mov_b64 s[4:5], -1
	s_barrier
	s_cbranch_scc1 .LBB116_165
; %bb.153:
	v_cmp_gt_i64_e32 vcc, s[30:31], v[10:11]
	s_and_saveexec_b64 s[4:5], vcc
	s_cbranch_execz .LBB116_164
; %bb.154:
	s_sub_i32 s8, s22, s30
	s_lshl_b32 s8, s8, 4
	s_add_i32 s25, s8, 0x4000
	s_lshl_b32 s8, s12, 4
	s_sub_i32 s26, 0, s8
	s_mov_b64 s[8:9], 0
	v_mov_b32_e32 v18, s21
	v_mov_b32_e32 v19, s19
	;; [unrolled: 1-line block ×3, first 2 shown]
	v_pk_mov_b32 v[12:13], v[10:11], v[10:11] op_sel:[0,1]
.LBB116_155:                            ; =>This Loop Header: Depth=1
                                        ;     Child Loop BB116_157 Depth 2
                                        ;     Child Loop BB116_160 Depth 2
	;; [unrolled: 1-line block ×3, first 2 shown]
	v_lshlrev_b64 v[2:3], 3, v[12:13]
	v_add_co_u32_e32 v2, vcc, s20, v2
	v_addc_co_u32_e32 v3, vcc, v18, v3, vcc
	global_load_dwordx4 v[2:5], v[2:3], off
	v_pk_mov_b32 v[14:15], 0, 0
	v_pk_mov_b32 v[6:7], v[14:15], v[14:15] op_sel:[0,1]
	s_waitcnt vmcnt(0)
	v_cmp_lt_i64_e32 vcc, v[2:3], v[4:5]
	s_and_saveexec_b64 s[10:11], vcc
	s_cbranch_execz .LBB116_159
; %bb.156:                              ;   in Loop: Header=BB116_155 Depth=1
	v_mov_b32_e32 v6, s13
	v_subrev_co_u32_e32 v4, vcc, s12, v4
	v_subb_co_u32_e32 v5, vcc, v5, v6, vcc
	v_subrev_co_u32_e32 v8, vcc, s12, v2
	v_pk_mov_b32 v[14:15], 0, 0
	v_subb_co_u32_e32 v9, vcc, v3, v6, vcc
	v_lshl_add_u32 v2, v2, 4, s26
	s_mov_b64 s[22:23], 0
	v_pk_mov_b32 v[6:7], v[14:15], v[14:15] op_sel:[0,1]
.LBB116_157:                            ;   Parent Loop BB116_155 Depth=1
                                        ; =>  This Inner Loop Header: Depth=2
	ds_read_b128 v[22:25], v2
	v_add_co_u32_e32 v8, vcc, 1, v8
	v_addc_co_u32_e32 v9, vcc, 0, v9, vcc
	v_cmp_ge_i64_e32 vcc, v[8:9], v[4:5]
	v_add_u32_e32 v2, 16, v2
	s_or_b64 s[22:23], vcc, s[22:23]
	s_waitcnt lgkmcnt(0)
	v_add_f64 v[6:7], v[6:7], v[22:23]
	v_add_f64 v[14:15], v[14:15], v[24:25]
	s_andn2_b64 exec, exec, s[22:23]
	s_cbranch_execnz .LBB116_157
; %bb.158:                              ;   in Loop: Header=BB116_155 Depth=1
	s_or_b64 exec, exec, s[22:23]
.LBB116_159:                            ;   in Loop: Header=BB116_155 Depth=1
	s_or_b64 exec, exec, s[10:11]
	v_lshlrev_b64 v[2:3], 4, v[12:13]
	v_add_co_u32_e32 v16, vcc, s18, v2
	v_addc_co_u32_e32 v17, vcc, v19, v3, vcc
	global_load_dwordx2 v[8:9], v[16:17], off
	v_lshl_add_u32 v2, v12, 4, s25
	ds_read2_b64 v[2:5], v2 offset1:1
	s_mov_b64 s[10:11], 0
	s_waitcnt lgkmcnt(0)
	v_add_f64 v[2:3], v[6:7], v[2:3]
.LBB116_160:                            ;   Parent Loop BB116_155 Depth=1
                                        ; =>  This Inner Loop Header: Depth=2
	s_waitcnt vmcnt(0)
	v_add_f64 v[6:7], v[8:9], v[2:3]
	global_atomic_cmpswap_x2 v[6:7], v[16:17], v[6:9], off glc
	s_waitcnt vmcnt(0)
	v_cmp_eq_u64_e32 vcc, v[6:7], v[8:9]
	s_or_b64 s[10:11], vcc, s[10:11]
	v_pk_mov_b32 v[8:9], v[6:7], v[6:7] op_sel:[0,1]
	s_andn2_b64 exec, exec, s[10:11]
	s_cbranch_execnz .LBB116_160
; %bb.161:                              ;   in Loop: Header=BB116_155 Depth=1
	s_or_b64 exec, exec, s[10:11]
	global_load_dwordx2 v[6:7], v[16:17], off offset:8
	v_add_f64 v[2:3], v[14:15], v[4:5]
	s_mov_b64 s[10:11], 0
.LBB116_162:                            ;   Parent Loop BB116_155 Depth=1
                                        ; =>  This Inner Loop Header: Depth=2
	s_waitcnt vmcnt(0)
	v_add_f64 v[4:5], v[6:7], v[2:3]
	global_atomic_cmpswap_x2 v[4:5], v[16:17], v[4:7], off offset:8 glc
	s_waitcnt vmcnt(0)
	v_cmp_eq_u64_e32 vcc, v[4:5], v[6:7]
	s_or_b64 s[10:11], vcc, s[10:11]
	v_pk_mov_b32 v[6:7], v[4:5], v[4:5] op_sel:[0,1]
	s_andn2_b64 exec, exec, s[10:11]
	s_cbranch_execnz .LBB116_162
; %bb.163:                              ;   in Loop: Header=BB116_155 Depth=1
	s_or_b64 exec, exec, s[10:11]
	v_add_co_u32_e32 v12, vcc, s16, v12
	v_addc_co_u32_e32 v13, vcc, v13, v20, vcc
	v_cmp_le_i64_e32 vcc, s[30:31], v[12:13]
	s_or_b64 s[8:9], vcc, s[8:9]
	s_andn2_b64 exec, exec, s[8:9]
	s_cbranch_execnz .LBB116_155
.LBB116_164:
	s_or_b64 exec, exec, s[4:5]
	s_mov_b64 s[4:5], 0
.LBB116_165:
	s_andn2_b64 vcc, exec, s[4:5]
	s_cbranch_vccnz .LBB116_196
; %bb.166:
	v_cvt_f32_u32_e32 v14, s24
	s_sub_i32 s10, 0, s24
	v_mov_b32_e32 v7, 0
	v_mov_b32_e32 v4, s15
	v_rcp_iflag_f32_e32 v2, v14
	v_mov_b32_e32 v12, s13
	v_mul_f32_e32 v2, 0x4f7ffffe, v2
	v_cvt_u32_f32_e32 v2, v2
	v_mul_lo_u32 v3, s10, v2
	v_mul_hi_u32 v3, v2, v3
	v_add_u32_e32 v2, v2, v3
	v_mul_hi_u32 v2, v0, v2
	v_mul_lo_u32 v3, v2, s24
	v_sub_u32_e32 v3, v0, v3
	v_add_u32_e32 v5, 1, v2
	v_cmp_le_u32_e32 vcc, s24, v3
	v_cndmask_b32_e32 v2, v2, v5, vcc
	v_subrev_u32_e32 v5, s24, v3
	v_cndmask_b32_e32 v3, v3, v5, vcc
	v_add_u32_e32 v5, 1, v2
	v_cmp_le_u32_e32 vcc, s24, v3
	v_cndmask_b32_e32 v6, v2, v5, vcc
	v_lshlrev_b64 v[2:3], 3, v[6:7]
	v_add_co_u32_e32 v2, vcc, s14, v2
	v_addc_co_u32_e32 v3, vcc, v4, v3, vcc
	global_load_dwordx4 v[2:5], v[2:3], off
	s_waitcnt vmcnt(0)
	v_subrev_co_u32_e32 v8, vcc, s12, v2
	v_subb_co_u32_e32 v9, vcc, v3, v12, vcc
	v_subrev_co_u32_e32 v20, vcc, s12, v4
	v_subb_co_u32_e32 v21, vcc, v5, v12, vcc
	v_sub_co_u32_e32 v3, vcc, v20, v8
	v_subb_co_u32_e32 v5, vcc, v21, v9, vcc
	v_mov_b32_e32 v4, v7
	v_cmp_ne_u64_e32 vcc, 0, v[4:5]
                                        ; implicit-def: $vgpr12_vgpr13
	s_and_saveexec_b64 s[4:5], vcc
	s_xor_b64 s[8:9], exec, s[4:5]
	s_cbranch_execz .LBB116_168
; %bb.167:
	v_cvt_f32_ubyte0_e32 v4, 0
	v_madmk_f32 v4, v4, 0x4f800000, v14
	v_rcp_f32_e32 v4, v4
	s_sub_u32 s4, 0, s24
	s_subb_u32 s5, 0, 0
	v_mul_f32_e32 v4, 0x5f7ffffc, v4
	v_mul_f32_e32 v12, 0x2f800000, v4
	v_trunc_f32_e32 v12, v12
	v_madmk_f32 v4, v12, 0xcf800000, v4
	v_cvt_u32_f32_e32 v12, v12
	v_cvt_u32_f32_e32 v4, v4
	v_mul_lo_u32 v13, s4, v12
	v_mul_hi_u32 v15, s4, v4
	v_mul_lo_u32 v14, s5, v4
	v_add_u32_e32 v13, v15, v13
	v_add_u32_e32 v13, v13, v14
	v_mul_lo_u32 v16, s4, v4
	v_mul_lo_u32 v15, v4, v13
	v_mul_hi_u32 v17, v4, v16
	v_mul_hi_u32 v14, v4, v13
	v_add_co_u32_e32 v15, vcc, v17, v15
	v_addc_co_u32_e32 v14, vcc, 0, v14, vcc
	v_mul_hi_u32 v18, v12, v16
	v_mul_lo_u32 v16, v12, v16
	v_add_co_u32_e32 v15, vcc, v15, v16
	v_mul_hi_u32 v17, v12, v13
	v_addc_co_u32_e32 v14, vcc, v14, v18, vcc
	v_addc_co_u32_e32 v15, vcc, 0, v17, vcc
	v_mul_lo_u32 v13, v12, v13
	v_add_co_u32_e32 v13, vcc, v14, v13
	v_addc_co_u32_e32 v14, vcc, 0, v15, vcc
	v_add_co_u32_e32 v4, vcc, v4, v13
	v_addc_co_u32_e32 v12, vcc, v12, v14, vcc
	v_mul_lo_u32 v13, s4, v12
	v_mul_hi_u32 v14, s4, v4
	v_add_u32_e32 v13, v14, v13
	v_mul_lo_u32 v14, s5, v4
	v_add_u32_e32 v13, v13, v14
	v_mul_lo_u32 v15, s4, v4
	v_mul_hi_u32 v16, v12, v15
	v_mul_lo_u32 v17, v12, v15
	v_mul_lo_u32 v19, v4, v13
	v_mul_hi_u32 v15, v4, v15
	v_mul_hi_u32 v18, v4, v13
	v_add_co_u32_e32 v15, vcc, v15, v19
	v_addc_co_u32_e32 v18, vcc, 0, v18, vcc
	v_add_co_u32_e32 v15, vcc, v15, v17
	v_mul_hi_u32 v14, v12, v13
	v_addc_co_u32_e32 v15, vcc, v18, v16, vcc
	v_addc_co_u32_e32 v14, vcc, 0, v14, vcc
	v_mul_lo_u32 v13, v12, v13
	v_add_co_u32_e32 v13, vcc, v15, v13
	v_addc_co_u32_e32 v14, vcc, 0, v14, vcc
	v_add_co_u32_e32 v13, vcc, v4, v13
	v_addc_co_u32_e32 v12, vcc, v12, v14, vcc
	v_ashrrev_i32_e32 v14, 31, v5
	v_add_co_u32_e32 v3, vcc, v3, v14
	v_addc_co_u32_e32 v4, vcc, v5, v14, vcc
	v_xor_b32_e32 v3, v3, v14
	v_xor_b32_e32 v15, v4, v14
	v_mad_u64_u32 v[4:5], s[4:5], v3, v12, 0
	v_mul_hi_u32 v16, v3, v13
	v_add_co_u32_e32 v16, vcc, v16, v4
	v_addc_co_u32_e32 v17, vcc, 0, v5, vcc
	v_mad_u64_u32 v[4:5], s[4:5], v15, v12, 0
	v_mad_u64_u32 v[12:13], s[4:5], v15, v13, 0
	v_add_co_u32_e32 v12, vcc, v16, v12
	v_addc_co_u32_e32 v12, vcc, v17, v13, vcc
	v_addc_co_u32_e32 v5, vcc, 0, v5, vcc
	v_add_co_u32_e32 v16, vcc, v12, v4
	v_addc_co_u32_e32 v17, vcc, 0, v5, vcc
	v_mad_u64_u32 v[4:5], s[4:5], s24, v16, 0
	v_mov_b32_e32 v12, v5
	v_mad_u64_u32 v[12:13], s[4:5], s24, v17, v[12:13]
	v_sub_co_u32_e32 v3, vcc, v3, v4
	v_subb_co_u32_e32 v4, vcc, v15, v12, vcc
	v_subrev_co_u32_e32 v5, vcc, s24, v3
	v_subbrev_co_u32_e32 v12, vcc, 0, v4, vcc
	v_cmp_le_u32_e32 vcc, s24, v5
	v_cndmask_b32_e64 v5, 0, -1, vcc
	v_cmp_eq_u32_e32 vcc, 0, v12
	v_cndmask_b32_e32 v5, -1, v5, vcc
	v_add_co_u32_e32 v12, vcc, 2, v16
	v_addc_co_u32_e32 v13, vcc, 0, v17, vcc
	v_add_co_u32_e32 v15, vcc, 1, v16
	v_cmp_le_u32_e64 s[4:5], s24, v3
	v_addc_co_u32_e32 v18, vcc, 0, v17, vcc
	v_cndmask_b32_e64 v3, 0, -1, s[4:5]
	v_cmp_eq_u32_e64 s[4:5], 0, v4
	v_cmp_ne_u32_e32 vcc, 0, v5
	v_cndmask_b32_e64 v3, -1, v3, s[4:5]
	v_cmp_ne_u32_e64 s[4:5], 0, v3
	v_cndmask_b32_e32 v4, v15, v12, vcc
	v_cndmask_b32_e32 v5, v18, v13, vcc
	v_cndmask_b32_e64 v4, v16, v4, s[4:5]
	v_cndmask_b32_e64 v3, v17, v5, s[4:5]
	v_xor_b32_e32 v4, v4, v14
	v_xor_b32_e32 v3, v3, v14
	v_sub_co_u32_e32 v12, vcc, v4, v14
	v_subb_co_u32_e32 v13, vcc, v3, v14, vcc
                                        ; implicit-def: $vgpr3
.LBB116_168:
	s_andn2_saveexec_b64 s[4:5], s[8:9]
	s_cbranch_execz .LBB116_170
; %bb.169:
	v_cvt_f32_u32_e32 v4, s24
	v_mov_b32_e32 v13, 0
	v_rcp_iflag_f32_e32 v4, v4
	v_mul_f32_e32 v4, 0x4f7ffffe, v4
	v_cvt_u32_f32_e32 v4, v4
	v_mul_lo_u32 v5, s10, v4
	v_mul_hi_u32 v5, v4, v5
	v_add_u32_e32 v4, v4, v5
	v_mul_hi_u32 v4, v3, v4
	v_mul_lo_u32 v5, v4, s24
	v_sub_u32_e32 v3, v3, v5
	v_add_u32_e32 v12, 1, v4
	v_subrev_u32_e32 v5, s24, v3
	v_cmp_le_u32_e32 vcc, s24, v3
	v_cndmask_b32_e32 v3, v3, v5, vcc
	v_cndmask_b32_e32 v4, v4, v12, vcc
	v_add_u32_e32 v5, 1, v4
	v_cmp_le_u32_e32 vcc, s24, v3
	v_cndmask_b32_e32 v12, v4, v5, vcc
.LBB116_170:
	s_or_b64 exec, exec, s[4:5]
	v_cmp_gt_i64_e32 vcc, s[34:35], v[6:7]
	v_pk_mov_b32 v[6:7], 0, 0
	v_pk_mov_b32 v[4:5], v[6:7], v[6:7] op_sel:[0,1]
	s_and_saveexec_b64 s[4:5], vcc
	s_cbranch_execz .LBB116_184
; %bb.171:
	s_add_i32 s8, s24, -1
	v_pk_mov_b32 v[6:7], 0, 0
	v_and_b32_e32 v14, s8, v0
	v_cmp_lt_i64_e32 vcc, 0, v[12:13]
	v_pk_mov_b32 v[4:5], v[6:7], v[6:7] op_sel:[0,1]
	s_and_saveexec_b64 s[8:9], vcc
	s_cbranch_execz .LBB116_181
; %bb.172:
	v_pk_mov_b32 v[4:5], 0, 0
	v_cmp_lt_u64_e32 vcc, 3, v[12:13]
	v_pk_mov_b32 v[16:17], 0, 0
	v_pk_mov_b32 v[6:7], v[4:5], v[4:5] op_sel:[0,1]
	s_and_saveexec_b64 s[10:11], vcc
	s_cbranch_execz .LBB116_176
; %bb.173:
	v_add_u32_e32 v3, v14, v2
	v_subrev_u32_e32 v3, s12, v3
	v_pk_mov_b32 v[6:7], 0, 0
	v_and_b32_e32 v17, 0x7fffffff, v13
	v_and_b32_e32 v16, -4, v12
	v_lshlrev_b32_e32 v3, 4, v3
	s_lshl_b32 s13, s24, 6
	s_lshl_b32 s20, s24, 4
	s_mov_b64 s[14:15], 0
	s_mov_b64 s[16:17], 0
	v_pk_mov_b32 v[4:5], v[6:7], v[6:7] op_sel:[0,1]
.LBB116_174:                            ; =>This Inner Loop Header: Depth=1
	ds_read_b128 v[22:25], v3
	v_add_u32_e32 v15, s20, v3
	v_add_u32_e32 v18, s20, v15
	ds_read_b128 v[28:31], v15
	ds_read_b128 v[32:35], v18
	v_add_u32_e32 v15, s20, v18
	ds_read_b128 v[36:39], v15
	s_add_u32 s16, s16, 4
	s_waitcnt lgkmcnt(3)
	v_add_f64 v[4:5], v[4:5], v[22:23]
	v_add_f64 v[6:7], v[6:7], v[24:25]
	s_addc_u32 s17, s17, 0
	s_waitcnt lgkmcnt(2)
	v_add_f64 v[4:5], v[4:5], v[28:29]
	v_add_f64 v[6:7], v[6:7], v[30:31]
	v_cmp_eq_u64_e32 vcc, s[16:17], v[16:17]
	s_waitcnt lgkmcnt(1)
	v_add_f64 v[4:5], v[4:5], v[32:33]
	v_add_f64 v[6:7], v[6:7], v[34:35]
	v_add_u32_e32 v3, s13, v3
	s_or_b64 s[14:15], vcc, s[14:15]
	s_waitcnt lgkmcnt(0)
	v_add_f64 v[4:5], v[4:5], v[36:37]
	v_add_f64 v[6:7], v[6:7], v[38:39]
	s_andn2_b64 exec, exec, s[14:15]
	s_cbranch_execnz .LBB116_174
; %bb.175:
	s_or_b64 exec, exec, s[14:15]
.LBB116_176:
	s_or_b64 exec, exec, s[10:11]
	v_and_b32_e32 v18, 3, v12
	v_mov_b32_e32 v19, 0
	s_mov_b64 s[14:15], 0
	v_cmp_ne_u64_e32 vcc, 0, v[18:19]
	s_and_saveexec_b64 s[10:11], vcc
	s_cbranch_execz .LBB116_180
; %bb.177:
	v_mul_lo_u32 v3, s24, v16
	v_add3_u32 v2, v14, v3, v2
	v_subrev_u32_e32 v2, s12, v2
	v_lshlrev_b32_e32 v2, 4, v2
	s_lshl_b32 s12, s24, 4
.LBB116_178:                            ; =>This Inner Loop Header: Depth=1
	ds_read_b128 v[22:25], v2
	v_add_co_u32_e32 v18, vcc, -1, v18
	v_addc_co_u32_e32 v19, vcc, -1, v19, vcc
	v_cmp_eq_u64_e32 vcc, 0, v[18:19]
	v_add_u32_e32 v2, s12, v2
	s_or_b64 s[14:15], vcc, s[14:15]
	s_waitcnt lgkmcnt(0)
	v_add_f64 v[4:5], v[4:5], v[22:23]
	v_add_f64 v[6:7], v[6:7], v[24:25]
	s_andn2_b64 exec, exec, s[14:15]
	s_cbranch_execnz .LBB116_178
; %bb.179:
	s_or_b64 exec, exec, s[14:15]
.LBB116_180:
	s_or_b64 exec, exec, s[10:11]
.LBB116_181:
	s_or_b64 exec, exec, s[8:9]
	v_mad_u64_u32 v[2:3], s[8:9], v12, s24, v[8:9]
	v_mov_b32_e32 v8, v3
	v_mad_u64_u32 v[8:9], s[8:9], v13, s24, v[8:9]
	v_mov_b32_e32 v3, v8
	v_sub_co_u32_e32 v8, vcc, v20, v2
	v_mov_b32_e32 v15, 0
	v_subb_co_u32_e32 v9, vcc, v21, v3, vcc
	v_cmp_gt_i64_e32 vcc, v[8:9], v[14:15]
	s_and_saveexec_b64 s[8:9], vcc
	s_cbranch_execz .LBB116_183
; %bb.182:
	v_add_lshl_u32 v2, v14, v2, 4
	ds_read_b128 v[12:15], v2
	s_waitcnt lgkmcnt(0)
	v_add_f64 v[4:5], v[4:5], v[12:13]
	v_add_f64 v[6:7], v[6:7], v[14:15]
.LBB116_183:
	s_or_b64 exec, exec, s[8:9]
.LBB116_184:
	s_or_b64 exec, exec, s[4:5]
	v_cmp_gt_i64_e32 vcc, s[34:35], v[0:1]
	s_barrier
	ds_write_b128 v26, v[4:7]
	s_waitcnt lgkmcnt(0)
	s_barrier
	s_and_b64 exec, exec, vcc
	s_cbranch_execz .LBB116_196
; %bb.185:
	v_mul_lo_u32 v1, s24, v0
	s_cmp_lt_u32 s24, 8
	v_pk_mov_b32 v[4:5], 0, 0
	s_cbranch_scc1 .LBB116_188
; %bb.186:
	v_pk_mov_b32 v[8:9], 0, 0
	s_and_b32 s4, s24, 0x7ffffff8
	v_lshlrev_b32_e32 v2, 4, v1
	s_mov_b32 s5, 0
	v_pk_mov_b32 v[4:5], v[8:9], v[8:9] op_sel:[0,1]
.LBB116_187:                            ; =>This Inner Loop Header: Depth=1
	ds_read_b128 v[12:15], v2
	ds_read_b128 v[16:19], v2 offset:16
	ds_read_b128 v[20:23], v2 offset:32
	;; [unrolled: 1-line block ×7, first 2 shown]
	s_waitcnt lgkmcnt(7)
	v_add_f64 v[4:5], v[4:5], v[12:13]
	v_add_f64 v[6:7], v[8:9], v[14:15]
	s_waitcnt lgkmcnt(6)
	v_add_f64 v[4:5], v[4:5], v[16:17]
	v_add_f64 v[6:7], v[6:7], v[18:19]
	;; [unrolled: 3-line block ×6, first 2 shown]
	s_add_i32 s5, s5, 8
	s_waitcnt lgkmcnt(1)
	v_add_f64 v[4:5], v[4:5], v[36:37]
	v_add_f64 v[6:7], v[6:7], v[38:39]
	v_add_u32_e32 v2, 0x80, v2
	s_cmp_eq_u32 s4, s5
	s_waitcnt lgkmcnt(0)
	v_add_f64 v[4:5], v[4:5], v[40:41]
	v_add_f64 v[8:9], v[6:7], v[42:43]
	s_cbranch_scc0 .LBB116_187
	s_branch .LBB116_189
.LBB116_188:
	s_mov_b32 s4, 0
	v_pk_mov_b32 v[8:9], v[4:5], v[4:5] op_sel:[0,1]
.LBB116_189:
	s_bfe_u32 s5, s7, 0x30001
	s_cmp_eq_u32 s5, 0
	s_cbranch_scc1 .LBB116_192
; %bb.190:
	v_add_lshl_u32 v1, s4, v1, 4
.LBB116_191:                            ; =>This Inner Loop Header: Depth=1
	ds_read_b128 v[12:15], v1
	s_add_i32 s5, s5, -1
	v_add_u32_e32 v1, 16, v1
	s_cmp_lg_u32 s5, 0
	s_waitcnt lgkmcnt(0)
	v_add_f64 v[4:5], v[4:5], v[12:13]
	v_add_f64 v[8:9], v[8:9], v[14:15]
	s_cbranch_scc1 .LBB116_191
.LBB116_192:
	v_lshlrev_b64 v[2:3], 4, v[10:11]
	v_mov_b32_e32 v1, s19
	v_add_co_u32_e32 v10, vcc, s18, v2
	v_addc_co_u32_e32 v11, vcc, v1, v3, vcc
	global_load_dwordx2 v[6:7], v[10:11], off
	s_lshl_b32 s4, s6, 4
	s_addk_i32 s4, 0x4000
	v_lshl_add_u32 v0, v0, 4, s4
	ds_read2_b64 v[0:3], v0 offset1:1
	s_mov_b64 s[4:5], 0
	s_waitcnt lgkmcnt(0)
	v_add_f64 v[0:1], v[4:5], v[0:1]
.LBB116_193:                            ; =>This Inner Loop Header: Depth=1
	s_waitcnt vmcnt(0)
	v_add_f64 v[4:5], v[6:7], v[0:1]
	global_atomic_cmpswap_x2 v[4:5], v[10:11], v[4:7], off glc
	s_waitcnt vmcnt(0)
	v_cmp_eq_u64_e32 vcc, v[4:5], v[6:7]
	s_or_b64 s[4:5], vcc, s[4:5]
	v_pk_mov_b32 v[6:7], v[4:5], v[4:5] op_sel:[0,1]
	s_andn2_b64 exec, exec, s[4:5]
	s_cbranch_execnz .LBB116_193
; %bb.194:
	s_or_b64 exec, exec, s[4:5]
	global_load_dwordx2 v[4:5], v[10:11], off offset:8
	v_add_f64 v[0:1], v[8:9], v[2:3]
	s_mov_b64 s[4:5], 0
.LBB116_195:                            ; =>This Inner Loop Header: Depth=1
	s_waitcnt vmcnt(0)
	v_add_f64 v[2:3], v[4:5], v[0:1]
	global_atomic_cmpswap_x2 v[2:3], v[10:11], v[2:5], off offset:8 glc
	s_waitcnt vmcnt(0)
	v_cmp_eq_u64_e32 vcc, v[2:3], v[4:5]
	s_or_b64 s[4:5], vcc, s[4:5]
	v_pk_mov_b32 v[4:5], v[2:3], v[2:3] op_sel:[0,1]
	s_andn2_b64 exec, exec, s[4:5]
	s_cbranch_execnz .LBB116_195
.LBB116_196:
	s_endpgm
	.section	.rodata,"a",@progbits
	.p2align	6, 0x0
	.amdhsa_kernel _ZN9rocsparseL27csrmvn_symm_adaptive_kernelIll21rocsparse_complex_numIfES1_IdES3_S3_EEvbT_S4_PKS4_NS_24const_host_device_scalarIT4_EES6_PKT0_PKT1_PKT2_S9_PT3_21rocsparse_index_base_b
		.amdhsa_group_segment_fixed_size 16384
		.amdhsa_private_segment_fixed_size 24
		.amdhsa_kernarg_size 368
		.amdhsa_user_sgpr_count 8
		.amdhsa_user_sgpr_private_segment_buffer 1
		.amdhsa_user_sgpr_dispatch_ptr 0
		.amdhsa_user_sgpr_queue_ptr 0
		.amdhsa_user_sgpr_kernarg_segment_ptr 1
		.amdhsa_user_sgpr_dispatch_id 0
		.amdhsa_user_sgpr_flat_scratch_init 1
		.amdhsa_user_sgpr_kernarg_preload_length 0
		.amdhsa_user_sgpr_kernarg_preload_offset 0
		.amdhsa_user_sgpr_private_segment_size 0
		.amdhsa_uses_dynamic_stack 0
		.amdhsa_system_sgpr_private_segment_wavefront_offset 1
		.amdhsa_system_sgpr_workgroup_id_x 1
		.amdhsa_system_sgpr_workgroup_id_y 0
		.amdhsa_system_sgpr_workgroup_id_z 0
		.amdhsa_system_sgpr_workgroup_info 0
		.amdhsa_system_vgpr_workitem_id 0
		.amdhsa_next_free_vgpr 44
		.amdhsa_next_free_sgpr 58
		.amdhsa_accum_offset 44
		.amdhsa_reserve_vcc 1
		.amdhsa_reserve_flat_scratch 1
		.amdhsa_float_round_mode_32 0
		.amdhsa_float_round_mode_16_64 0
		.amdhsa_float_denorm_mode_32 3
		.amdhsa_float_denorm_mode_16_64 3
		.amdhsa_dx10_clamp 1
		.amdhsa_ieee_mode 1
		.amdhsa_fp16_overflow 0
		.amdhsa_tg_split 0
		.amdhsa_exception_fp_ieee_invalid_op 0
		.amdhsa_exception_fp_denorm_src 0
		.amdhsa_exception_fp_ieee_div_zero 0
		.amdhsa_exception_fp_ieee_overflow 0
		.amdhsa_exception_fp_ieee_underflow 0
		.amdhsa_exception_fp_ieee_inexact 0
		.amdhsa_exception_int_div_zero 0
	.end_amdhsa_kernel
	.section	.text._ZN9rocsparseL27csrmvn_symm_adaptive_kernelIll21rocsparse_complex_numIfES1_IdES3_S3_EEvbT_S4_PKS4_NS_24const_host_device_scalarIT4_EES6_PKT0_PKT1_PKT2_S9_PT3_21rocsparse_index_base_b,"axG",@progbits,_ZN9rocsparseL27csrmvn_symm_adaptive_kernelIll21rocsparse_complex_numIfES1_IdES3_S3_EEvbT_S4_PKS4_NS_24const_host_device_scalarIT4_EES6_PKT0_PKT1_PKT2_S9_PT3_21rocsparse_index_base_b,comdat
.Lfunc_end116:
	.size	_ZN9rocsparseL27csrmvn_symm_adaptive_kernelIll21rocsparse_complex_numIfES1_IdES3_S3_EEvbT_S4_PKS4_NS_24const_host_device_scalarIT4_EES6_PKT0_PKT1_PKT2_S9_PT3_21rocsparse_index_base_b, .Lfunc_end116-_ZN9rocsparseL27csrmvn_symm_adaptive_kernelIll21rocsparse_complex_numIfES1_IdES3_S3_EEvbT_S4_PKS4_NS_24const_host_device_scalarIT4_EES6_PKT0_PKT1_PKT2_S9_PT3_21rocsparse_index_base_b
                                        ; -- End function
	.section	.AMDGPU.csdata,"",@progbits
; Kernel info:
; codeLenInByte = 10440
; NumSgprs: 64
; NumVgprs: 44
; NumAgprs: 0
; TotalNumVgprs: 44
; ScratchSize: 24
; MemoryBound: 0
; FloatMode: 240
; IeeeMode: 1
; LDSByteSize: 16384 bytes/workgroup (compile time only)
; SGPRBlocks: 7
; VGPRBlocks: 5
; NumSGPRsForWavesPerEU: 64
; NumVGPRsForWavesPerEU: 44
; AccumOffset: 44
; Occupancy: 4
; WaveLimiterHint : 1
; COMPUTE_PGM_RSRC2:SCRATCH_EN: 1
; COMPUTE_PGM_RSRC2:USER_SGPR: 8
; COMPUTE_PGM_RSRC2:TRAP_HANDLER: 0
; COMPUTE_PGM_RSRC2:TGID_X_EN: 1
; COMPUTE_PGM_RSRC2:TGID_Y_EN: 0
; COMPUTE_PGM_RSRC2:TGID_Z_EN: 0
; COMPUTE_PGM_RSRC2:TIDIG_COMP_CNT: 0
; COMPUTE_PGM_RSRC3_GFX90A:ACCUM_OFFSET: 10
; COMPUTE_PGM_RSRC3_GFX90A:TG_SPLIT: 0
	.section	.text._ZL33csrmvn_symm_large_adaptive_kernelIll21rocsparse_complex_numIfES0_IdES2_S2_EvbT_PKS3_N9rocsparse24const_host_device_scalarIT4_EES5_PKT0_PKT1_PKT2_S9_PT3_21rocsparse_index_base_b,"axG",@progbits,_ZL33csrmvn_symm_large_adaptive_kernelIll21rocsparse_complex_numIfES0_IdES2_S2_EvbT_PKS3_N9rocsparse24const_host_device_scalarIT4_EES5_PKT0_PKT1_PKT2_S9_PT3_21rocsparse_index_base_b,comdat
	.globl	_ZL33csrmvn_symm_large_adaptive_kernelIll21rocsparse_complex_numIfES0_IdES2_S2_EvbT_PKS3_N9rocsparse24const_host_device_scalarIT4_EES5_PKT0_PKT1_PKT2_S9_PT3_21rocsparse_index_base_b ; -- Begin function _ZL33csrmvn_symm_large_adaptive_kernelIll21rocsparse_complex_numIfES0_IdES2_S2_EvbT_PKS3_N9rocsparse24const_host_device_scalarIT4_EES5_PKT0_PKT1_PKT2_S9_PT3_21rocsparse_index_base_b
	.p2align	8
	.type	_ZL33csrmvn_symm_large_adaptive_kernelIll21rocsparse_complex_numIfES0_IdES2_S2_EvbT_PKS3_N9rocsparse24const_host_device_scalarIT4_EES5_PKT0_PKT1_PKT2_S9_PT3_21rocsparse_index_base_b,@function
_ZL33csrmvn_symm_large_adaptive_kernelIll21rocsparse_complex_numIfES0_IdES2_S2_EvbT_PKS3_N9rocsparse24const_host_device_scalarIT4_EES5_PKT0_PKT1_PKT2_S9_PT3_21rocsparse_index_base_b: ; @_ZL33csrmvn_symm_large_adaptive_kernelIll21rocsparse_complex_numIfES0_IdES2_S2_EvbT_PKS3_N9rocsparse24const_host_device_scalarIT4_EES5_PKT0_PKT1_PKT2_S9_PT3_21rocsparse_index_base_b
; %bb.0:
	s_add_u32 flat_scratch_lo, s6, s9
	s_addc_u32 flat_scratch_hi, s7, 0
	s_load_dwordx2 s[28:29], s[4:5], 0x60
	s_load_dwordx4 s[16:19], s[4:5], 0x18
	s_load_dwordx4 s[12:15], s[4:5], 0x48
	s_add_u32 s0, s0, s9
	s_addc_u32 s1, s1, 0
	s_waitcnt lgkmcnt(0)
	s_bitcmp1_b32 s29, 0
	v_mov_b32_e32 v1, 0
	v_mov_b32_e32 v3, s16
	s_cselect_b64 s[6:7], -1, 0
	v_cndmask_b32_e64 v2, v3, v1, s[6:7]
	v_mov_b32_e32 v1, s17
	s_mov_b64 s[10:11], src_private_base
	s_and_b64 vcc, s[6:7], exec
	buffer_store_dword v1, off, s[0:3], 0 offset:4
	buffer_store_dword v3, off, s[0:3], 0
	v_mov_b32_e32 v1, s13
	s_cselect_b32 s9, s11, s17
	buffer_store_dword v1, off, s[0:3], 0 offset:12
	v_mov_b32_e32 v1, s12
	buffer_store_dword v1, off, s[0:3], 0 offset:8
	v_mov_b32_e32 v3, s9
	flat_load_dwordx2 v[8:9], v[2:3]
	s_xor_b64 s[20:21], s[6:7], -1
	v_pk_mov_b32 v[10:11], s[18:19], s[18:19] op_sel:[0,1]
	s_cbranch_vccnz .LBB117_2
; %bb.1:
	v_pk_mov_b32 v[2:3], s[16:17], s[16:17] op_sel:[0,1]
	flat_load_dwordx2 v[10:11], v[2:3] offset:8
.LBB117_2:
	s_and_b64 s[16:17], s[6:7], exec
	s_cselect_b32 s9, s11, s13
	v_mov_b32_e32 v1, 8
	v_mov_b32_e32 v2, s12
	v_cndmask_b32_e64 v2, v2, v1, s[6:7]
	v_mov_b32_e32 v3, s9
	flat_load_dwordx2 v[2:3], v[2:3]
	s_andn2_b64 vcc, exec, s[20:21]
	v_pk_mov_b32 v[4:5], s[14:15], s[14:15] op_sel:[0,1]
	s_cbranch_vccnz .LBB117_4
; %bb.3:
	v_pk_mov_b32 v[4:5], s[12:13], s[12:13] op_sel:[0,1]
	flat_load_dwordx2 v[4:5], v[4:5] offset:8
.LBB117_4:
	s_waitcnt vmcnt(0) lgkmcnt(0)
	v_cmp_eq_f64_e32 vcc, 0, v[8:9]
	v_cmp_eq_f64_e64 s[6:7], 0, v[10:11]
	s_and_b64 s[12:13], vcc, s[6:7]
	s_mov_b64 s[6:7], -1
	s_and_saveexec_b64 s[10:11], s[12:13]
; %bb.5:
	v_cmp_neq_f64_e32 vcc, 1.0, v[2:3]
	v_cmp_neq_f64_e64 s[6:7], 0, v[4:5]
	s_or_b64 s[6:7], vcc, s[6:7]
	s_orn2_b64 s[6:7], s[6:7], exec
; %bb.6:
	s_or_b64 exec, exec, s[10:11]
	s_and_saveexec_b64 s[10:11], s[6:7]
	s_cbranch_execz .LBB117_51
; %bb.7:
	s_load_dword s9, s[4:5], 0x0
	s_load_dwordx2 s[6:7], s[4:5], 0x10
	s_mov_b32 s12, 0
	s_mov_b32 s13, s12
	s_mov_b32 s14, s12
	s_waitcnt lgkmcnt(0)
	s_bitcmp1_b32 s9, 0
	s_cselect_b64 s[30:31], -1, 0
	s_ashr_i32 s9, s8, 31
	s_lshl_b64 s[8:9], s[8:9], 3
	s_mov_b32 s15, s12
	v_pk_mov_b32 v[2:3], s[12:13], s[12:13] op_sel:[0,1]
	s_add_u32 s6, s6, s8
	v_lshlrev_b32_e32 v14, 4, v0
	v_pk_mov_b32 v[4:5], s[14:15], s[14:15] op_sel:[0,1]
	s_addc_u32 s7, s7, s9
	ds_write_b128 v14, v[2:5]
	ds_write_b128 v14, v[2:5] offset:4096
	ds_write_b128 v14, v[2:5] offset:8192
	;; [unrolled: 1-line block ×3, first 2 shown]
	s_waitcnt lgkmcnt(0)
	s_barrier
	s_load_dwordx4 s[24:27], s[6:7], 0x0
	s_load_dwordx2 s[34:35], s[4:5], 0x58
	s_load_dwordx8 s[16:23], s[4:5], 0x28
	v_subrev_co_u32_e64 v15, s[4:5], s28, v0
	s_waitcnt lgkmcnt(0)
	v_pk_mov_b32 v[2:3], s[26:27], s[26:27] op_sel:[0,1]
	v_cmp_lt_i64_e32 vcc, s[24:25], v[2:3]
	s_mov_b32 s29, s12
	v_subb_co_u32_e64 v16, s[4:5], 0, 0, s[4:5]
	s_cbranch_vccnz .LBB117_9
; %bb.8:
	s_lshl_b64 s[4:5], s[24:25], 3
	s_add_u32 s4, s16, s4
	s_addc_u32 s5, s17, s5
	s_load_dwordx2 s[36:37], s[4:5], 0x0
	s_cbranch_execz .LBB117_10
	s_branch .LBB117_39
.LBB117_9:
                                        ; implicit-def: $sgpr36_sgpr37
.LBB117_10:
	s_lshl_b64 s[14:15], s[24:25], 3
	s_add_u32 s14, s16, s14
	s_addc_u32 s15, s17, s15
	s_waitcnt lgkmcnt(0)
	s_load_dwordx2 s[36:37], s[14:15], 0x0
	s_add_u32 s48, s16, 8
	s_addc_u32 s49, s17, 0
	s_movk_i32 s33, 0x100
	s_add_u32 s50, s20, 4
	v_cmp_gt_u32_e64 s[4:5], s33, v0
	v_cmp_gt_u32_e64 s[6:7], 64, v0
	;; [unrolled: 1-line block ×4, first 2 shown]
	v_cmp_eq_u32_e64 s[12:13], 0, v0
	s_addc_u32 s51, s21, 0
	v_mov_b32_e32 v17, s29
	v_mov_b32_e32 v18, s23
	v_mov_b32_e32 v19, 0
	s_waitcnt lgkmcnt(0)
	s_mov_b64 s[40:41], s[36:37]
	s_mov_b64 s[38:39], s[24:25]
	s_branch .LBB117_12
.LBB117_11:                             ;   in Loop: Header=BB117_12 Depth=1
	s_or_b64 exec, exec, s[14:15]
	s_add_u32 s38, s38, 1
	s_addc_u32 s39, s39, 0
	v_pk_mov_b32 v[0:1], s[26:27], s[26:27] op_sel:[0,1]
	v_cmp_ge_i64_e32 vcc, s[38:39], v[0:1]
	s_cbranch_vccnz .LBB117_39
.LBB117_12:                             ; =>This Loop Header: Depth=1
                                        ;     Child Loop BB117_14 Depth 2
                                        ;     Child Loop BB117_28 Depth 2
	;; [unrolled: 1-line block ×5, first 2 shown]
	s_mov_b64 s[14:15], s[40:41]
	s_lshl_b64 s[40:41], s[38:39], 3
	s_add_u32 s40, s48, s40
	s_addc_u32 s41, s49, s41
	s_load_dwordx2 s[40:41], s[40:41], 0x0
	v_mov_b32_e32 v0, s15
	v_add_co_u32_e32 v4, vcc, s14, v15
	v_addc_co_u32_e32 v5, vcc, v0, v16, vcc
	s_waitcnt lgkmcnt(0)
	s_sub_u32 s42, s40, s28
	s_subb_u32 s43, s41, 0
	v_pk_mov_b32 v[2:3], 0, 0
	v_cmp_gt_i64_e32 vcc, s[42:43], v[4:5]
	v_pk_mov_b32 v[0:1], v[2:3], v[2:3] op_sel:[0,1]
	s_and_saveexec_b64 s[44:45], vcc
	s_cbranch_execz .LBB117_16
; %bb.13:                               ;   in Loop: Header=BB117_12 Depth=1
	v_lshlrev_b64 v[0:1], 3, v[4:5]
	v_mov_b32_e32 v2, s19
	v_add_co_u32_e32 v6, vcc, s18, v0
	v_addc_co_u32_e32 v7, vcc, v2, v1, vcc
	v_mov_b32_e32 v2, s51
	v_add_co_u32_e32 v12, vcc, s50, v0
	v_addc_co_u32_e32 v13, vcc, v2, v1, vcc
	v_pk_mov_b32 v[2:3], 0, 0
	s_mov_b64 s[46:47], 0
	v_pk_mov_b32 v[0:1], v[2:3], v[2:3] op_sel:[0,1]
.LBB117_14:                             ;   Parent Loop BB117_12 Depth=1
                                        ; =>  This Inner Loop Header: Depth=2
	global_load_dwordx2 v[20:21], v[6:7], off
	global_load_dwordx2 v[24:25], v[12:13], off offset:-4
	s_waitcnt vmcnt(1)
	v_subrev_co_u32_e32 v20, vcc, s28, v20
	v_subb_co_u32_e32 v21, vcc, v21, v17, vcc
	v_lshlrev_b64 v[20:21], 4, v[20:21]
	v_add_co_u32_e32 v20, vcc, s22, v20
	v_addc_co_u32_e32 v21, vcc, v18, v21, vcc
	global_load_dwordx4 v[20:23], v[20:21], off
	v_add_co_u32_e32 v4, vcc, s33, v4
	v_addc_co_u32_e32 v5, vcc, 0, v5, vcc
	v_add_co_u32_e32 v6, vcc, 0x800, v6
	s_waitcnt vmcnt(1)
	v_cndmask_b32_e64 v26, v25, -v25, s[30:31]
	v_addc_co_u32_e32 v7, vcc, 0, v7, vcc
	v_cvt_f64_f32_e32 v[24:25], v24
	v_cvt_f64_f32_e32 v[26:27], v26
	v_add_co_u32_e32 v12, vcc, 0x800, v12
	v_cmp_le_i64_e64 s[14:15], s[42:43], v[4:5]
	v_addc_co_u32_e32 v13, vcc, 0, v13, vcc
	s_or_b64 s[46:47], s[14:15], s[46:47]
	s_waitcnt vmcnt(0)
	v_fmac_f64_e32 v[0:1], v[24:25], v[20:21]
	v_fmac_f64_e32 v[2:3], v[26:27], v[20:21]
	v_fma_f64 v[0:1], -v[26:27], v[22:23], v[0:1]
	v_fmac_f64_e32 v[2:3], v[24:25], v[22:23]
	s_andn2_b64 exec, exec, s[46:47]
	s_cbranch_execnz .LBB117_14
; %bb.15:                               ;   in Loop: Header=BB117_12 Depth=1
	s_or_b64 exec, exec, s[46:47]
.LBB117_16:                             ;   in Loop: Header=BB117_12 Depth=1
	s_or_b64 exec, exec, s[44:45]
	ds_write_b128 v14, v[0:3]
	s_waitcnt lgkmcnt(0)
	s_barrier
	s_and_saveexec_b64 s[14:15], s[4:5]
	s_cbranch_execz .LBB117_18
; %bb.17:                               ;   in Loop: Header=BB117_12 Depth=1
	ds_read_b128 v[0:3], v14 offset:4096
	ds_read_b128 v[4:7], v14 offset:8192
	ds_read_b128 v[20:23], v14 offset:12288
	ds_read_b128 v[24:27], v14
	s_waitcnt lgkmcnt(2)
	v_add_f64 v[0:1], v[4:5], v[0:1]
	v_add_f64 v[2:3], v[6:7], v[2:3]
	s_waitcnt lgkmcnt(1)
	v_add_f64 v[0:1], v[0:1], v[20:21]
	v_add_f64 v[2:3], v[2:3], v[22:23]
	s_waitcnt lgkmcnt(0)
	v_add_f64 v[0:1], v[0:1], v[24:25]
	v_add_f64 v[2:3], v[2:3], v[26:27]
	ds_write_b128 v14, v[0:3]
.LBB117_18:                             ;   in Loop: Header=BB117_12 Depth=1
	s_or_b64 exec, exec, s[14:15]
	s_waitcnt lgkmcnt(0)
	s_barrier
	s_and_saveexec_b64 s[14:15], s[6:7]
	s_cbranch_execz .LBB117_20
; %bb.19:                               ;   in Loop: Header=BB117_12 Depth=1
	ds_read_b128 v[0:3], v14 offset:1024
	ds_read_b128 v[4:7], v14 offset:2048
	ds_read_b128 v[20:23], v14 offset:3072
	ds_read_b128 v[24:27], v14
	s_waitcnt lgkmcnt(2)
	v_add_f64 v[0:1], v[4:5], v[0:1]
	v_add_f64 v[2:3], v[6:7], v[2:3]
	s_waitcnt lgkmcnt(1)
	v_add_f64 v[0:1], v[0:1], v[20:21]
	v_add_f64 v[2:3], v[2:3], v[22:23]
	s_waitcnt lgkmcnt(0)
	v_add_f64 v[0:1], v[0:1], v[24:25]
	v_add_f64 v[2:3], v[2:3], v[26:27]
	ds_write_b128 v14, v[0:3]
.LBB117_20:                             ;   in Loop: Header=BB117_12 Depth=1
	s_or_b64 exec, exec, s[14:15]
	;; [unrolled: 21-line block ×5, first 2 shown]
	s_waitcnt lgkmcnt(0)
	s_barrier
	s_and_saveexec_b64 s[14:15], s[12:13]
	s_cbranch_execz .LBB117_11
; %bb.27:                               ;   in Loop: Header=BB117_12 Depth=1
	ds_read_b128 v[0:3], v19
	v_mov_b32_e32 v12, 0
	s_mov_b64 s[42:43], exec
	v_bfrev_b32_e32 v13, 1
	s_waitcnt lgkmcnt(0)
	v_mul_f64 v[4:5], v[2:3], -v[10:11]
	v_fmac_f64_e32 v[4:5], v[8:9], v[0:1]
.LBB117_28:                             ;   Parent Loop BB117_12 Depth=1
                                        ; =>  This Inner Loop Header: Depth=2
	s_ff1_i32_b64 s46, s[42:43]
	v_readlane_b32 s45, v5, s46
	v_readlane_b32 s44, v4, s46
	s_lshl_b64 s[46:47], 1, s46
	s_andn2_b64 s[42:43], s[42:43], s[46:47]
	s_cmp_lg_u64 s[42:43], 0
	v_add_f64 v[12:13], v[12:13], s[44:45]
	s_cbranch_scc1 .LBB117_28
; %bb.29:                               ;   in Loop: Header=BB117_12 Depth=1
	s_lshl_b64 s[42:43], s[38:39], 4
	v_mbcnt_lo_u32_b32 v4, exec_lo, 0
	s_add_u32 s42, s34, s42
	v_mbcnt_hi_u32_b32 v4, exec_hi, v4
	s_addc_u32 s43, s35, s43
	v_cmp_eq_u32_e32 vcc, 0, v4
	s_and_saveexec_b64 s[44:45], vcc
	s_xor_b64 s[44:45], exec, s[44:45]
	s_cbranch_execz .LBB117_33
; %bb.30:                               ;   in Loop: Header=BB117_12 Depth=1
	global_load_dwordx2 v[6:7], v19, s[42:43]
	s_mov_b64 s[46:47], 0
.LBB117_31:                             ;   Parent Loop BB117_12 Depth=1
                                        ; =>  This Inner Loop Header: Depth=2
	s_waitcnt vmcnt(0)
	v_add_f64 v[4:5], v[6:7], v[12:13]
	global_atomic_cmpswap_x2 v[4:5], v19, v[4:7], s[42:43] glc
	s_waitcnt vmcnt(0)
	v_cmp_eq_u64_e32 vcc, v[4:5], v[6:7]
	s_or_b64 s[46:47], vcc, s[46:47]
	v_pk_mov_b32 v[6:7], v[4:5], v[4:5] op_sel:[0,1]
	s_andn2_b64 exec, exec, s[46:47]
	s_cbranch_execnz .LBB117_31
; %bb.32:                               ;   in Loop: Header=BB117_12 Depth=1
	s_or_b64 exec, exec, s[46:47]
.LBB117_33:                             ;   in Loop: Header=BB117_12 Depth=1
	s_or_b64 exec, exec, s[44:45]
	v_mul_f64 v[2:3], v[8:9], v[2:3]
	v_mov_b32_e32 v4, 0
	s_mov_b64 s[44:45], exec
	v_fmac_f64_e32 v[2:3], v[10:11], v[0:1]
	v_bfrev_b32_e32 v5, 1
.LBB117_34:                             ;   Parent Loop BB117_12 Depth=1
                                        ; =>  This Inner Loop Header: Depth=2
	s_ff1_i32_b64 s52, s[44:45]
	v_readlane_b32 s47, v3, s52
	v_readlane_b32 s46, v2, s52
	s_lshl_b64 s[52:53], 1, s52
	s_andn2_b64 s[44:45], s[44:45], s[52:53]
	s_cmp_lg_u64 s[44:45], 0
	v_add_f64 v[4:5], v[4:5], s[46:47]
	s_cbranch_scc1 .LBB117_34
; %bb.35:                               ;   in Loop: Header=BB117_12 Depth=1
	v_mbcnt_lo_u32_b32 v0, exec_lo, 0
	v_mbcnt_hi_u32_b32 v0, exec_hi, v0
	v_cmp_eq_u32_e32 vcc, 0, v0
	s_and_saveexec_b64 s[44:45], vcc
	s_xor_b64 s[44:45], exec, s[44:45]
	s_cbranch_execz .LBB117_11
; %bb.36:                               ;   in Loop: Header=BB117_12 Depth=1
	global_load_dwordx2 v[2:3], v19, s[42:43] offset:8
	s_mov_b64 s[44:45], 0
.LBB117_37:                             ;   Parent Loop BB117_12 Depth=1
                                        ; =>  This Inner Loop Header: Depth=2
	s_waitcnt vmcnt(0)
	v_add_f64 v[0:1], v[2:3], v[4:5]
	global_atomic_cmpswap_x2 v[0:1], v19, v[0:3], s[42:43] offset:8 glc
	s_waitcnt vmcnt(0)
	v_cmp_eq_u64_e32 vcc, v[0:1], v[2:3]
	s_or_b64 s[44:45], vcc, s[44:45]
	v_pk_mov_b32 v[2:3], v[0:1], v[0:1] op_sel:[0,1]
	s_andn2_b64 exec, exec, s[44:45]
	s_cbranch_execnz .LBB117_37
; %bb.38:                               ;   in Loop: Header=BB117_12 Depth=1
	s_or_b64 exec, exec, s[44:45]
	s_branch .LBB117_11
.LBB117_39:
	s_lshl_b64 s[4:5], s[26:27], 3
	s_add_u32 s4, s16, s4
	s_addc_u32 s5, s17, s5
	s_load_dwordx2 s[4:5], s[4:5], 0x0
	s_waitcnt lgkmcnt(0)
	v_mov_b32_e32 v0, s37
	v_add_co_u32_e32 v12, vcc, s36, v15
	v_addc_co_u32_e32 v13, vcc, v0, v16, vcc
	s_sub_u32 s8, s4, s28
	s_subb_u32 s9, s5, 0
	v_cmp_gt_i64_e32 vcc, s[8:9], v[12:13]
	s_and_b64 exec, exec, vcc
	s_cbranch_execz .LBB117_51
; %bb.40:
	s_add_u32 s10, s26, -1
	s_addc_u32 s11, s27, -1
	s_add_u32 s4, s26, -2
	s_addc_u32 s5, s27, -1
	v_pk_mov_b32 v[0:1], s[24:25], s[24:25] op_sel:[0,1]
	s_cmp_lg_u64 s[4:5], s[24:25]
	v_cmp_gt_i64_e32 vcc, s[10:11], v[0:1]
	s_cselect_b64 s[4:5], -1, 0
	s_and_b64 s[4:5], vcc, s[4:5]
	v_cndmask_b32_e64 v0, 0, 1, s[4:5]
	s_mov_b64 s[12:13], 0
	v_cmp_ne_u32_e64 s[4:5], 1, v0
	v_mov_b32_e32 v22, s17
	v_mov_b32_e32 v23, s29
	;; [unrolled: 1-line block ×3, first 2 shown]
	s_branch .LBB117_42
.LBB117_41:                             ;   in Loop: Header=BB117_42 Depth=1
	s_or_b64 exec, exec, s[6:7]
	v_add_co_u32_e32 v12, vcc, 0x100, v12
	v_addc_co_u32_e32 v13, vcc, 0, v13, vcc
	v_cmp_le_i64_e32 vcc, s[8:9], v[12:13]
	s_or_b64 s[12:13], vcc, s[12:13]
	s_andn2_b64 exec, exec, s[12:13]
	s_cbranch_execz .LBB117_51
.LBB117_42:                             ; =>This Loop Header: Depth=1
                                        ;     Child Loop BB117_44 Depth 2
                                        ;     Child Loop BB117_48 Depth 2
	;; [unrolled: 1-line block ×3, first 2 shown]
	s_and_b64 vcc, exec, s[4:5]
	v_pk_mov_b32 v[0:1], s[24:25], s[24:25] op_sel:[0,1]
	v_pk_mov_b32 v[2:3], s[10:11], s[10:11] op_sel:[0,1]
	s_cbranch_vccnz .LBB117_46
; %bb.43:                               ;   in Loop: Header=BB117_42 Depth=1
	s_mov_b64 s[14:15], 0
	v_pk_mov_b32 v[0:1], s[24:25], s[24:25] op_sel:[0,1]
	v_pk_mov_b32 v[2:3], s[10:11], s[10:11] op_sel:[0,1]
.LBB117_44:                             ;   Parent Loop BB117_42 Depth=1
                                        ; =>  This Inner Loop Header: Depth=2
	v_add_co_u32_e32 v4, vcc, v2, v0
	v_addc_co_u32_e32 v5, vcc, v3, v1, vcc
	v_lshrrev_b32_e32 v6, 31, v5
	v_add_co_u32_e32 v4, vcc, v4, v6
	v_addc_co_u32_e32 v5, vcc, 0, v5, vcc
	v_ashrrev_i64 v[4:5], 1, v[4:5]
	v_lshlrev_b64 v[6:7], 3, v[4:5]
	v_mov_b32_e32 v14, s17
	v_add_co_u32_e32 v6, vcc, s16, v6
	v_addc_co_u32_e32 v7, vcc, v14, v7, vcc
	global_load_dwordx2 v[6:7], v[6:7], off
	v_mov_b32_e32 v14, s29
	s_waitcnt vmcnt(0)
	v_subrev_co_u32_e32 v6, vcc, s28, v6
	v_subb_co_u32_e32 v7, vcc, v7, v14, vcc
	v_cmp_gt_i64_e32 vcc, v[6:7], v[12:13]
	v_cndmask_b32_e32 v2, v2, v4, vcc
	v_cndmask_b32_e32 v3, v3, v5, vcc
	;; [unrolled: 1-line block ×3, first 2 shown]
	v_add_co_u32_e64 v4, s[6:7], -1, v2
	v_cndmask_b32_e32 v1, v5, v1, vcc
	v_addc_co_u32_e64 v5, s[6:7], -1, v3, s[6:7]
	v_cmp_ge_i64_e32 vcc, v[0:1], v[2:3]
	v_cmp_eq_u64_e64 s[6:7], v[0:1], v[4:5]
	s_or_b64 s[6:7], vcc, s[6:7]
	s_and_b64 s[6:7], exec, s[6:7]
	s_or_b64 s[14:15], s[6:7], s[14:15]
	s_andn2_b64 exec, exec, s[14:15]
	s_cbranch_execnz .LBB117_44
; %bb.45:                               ;   in Loop: Header=BB117_42 Depth=1
	s_or_b64 exec, exec, s[14:15]
.LBB117_46:                             ;   in Loop: Header=BB117_42 Depth=1
	v_lshlrev_b64 v[4:5], 3, v[2:3]
	v_add_co_u32_e32 v4, vcc, s16, v4
	v_addc_co_u32_e32 v5, vcc, v22, v5, vcc
	global_load_dwordx2 v[6:7], v[4:5], off
	v_lshlrev_b64 v[4:5], 3, v[12:13]
	v_add_co_u32_e32 v14, vcc, s18, v4
	v_addc_co_u32_e32 v15, vcc, v24, v5, vcc
	global_load_dwordx2 v[14:15], v[14:15], off
	s_waitcnt vmcnt(1)
	v_subrev_co_u32_e32 v6, vcc, s28, v6
	v_subb_co_u32_e32 v7, vcc, v7, v23, vcc
	v_cmp_gt_i64_e32 vcc, v[6:7], v[12:13]
	v_cndmask_b32_e32 v1, v3, v1, vcc
	v_cndmask_b32_e32 v0, v2, v0, vcc
	s_waitcnt vmcnt(0)
	v_subrev_co_u32_e32 v2, vcc, s28, v14
	v_subb_co_u32_e32 v3, vcc, v15, v23, vcc
	v_cmp_ne_u64_e32 vcc, v[2:3], v[0:1]
	s_and_saveexec_b64 s[6:7], vcc
	s_cbranch_execz .LBB117_41
; %bb.47:                               ;   in Loop: Header=BB117_42 Depth=1
	v_lshlrev_b64 v[6:7], 4, v[2:3]
	v_mov_b32_e32 v3, s21
	v_add_co_u32_e32 v2, vcc, s20, v4
	v_addc_co_u32_e32 v3, vcc, v3, v5, vcc
	global_load_dwordx2 v[4:5], v[2:3], off
	v_lshlrev_b64 v[0:1], 4, v[0:1]
	v_mov_b32_e32 v2, s23
	v_add_co_u32_e32 v0, vcc, s22, v0
	v_addc_co_u32_e32 v1, vcc, v2, v1, vcc
	v_mov_b32_e32 v15, s35
	global_load_dwordx4 v[0:3], v[0:1], off
	v_add_co_u32_e32 v14, vcc, s34, v6
	v_addc_co_u32_e32 v15, vcc, v15, v7, vcc
	global_load_dwordx2 v[6:7], v[14:15], off
	s_mov_b64 s[14:15], 0
	s_waitcnt vmcnt(2)
	v_cndmask_b32_e64 v16, v5, -v5, s[30:31]
	v_cvt_f64_f32_e32 v[18:19], v16
	v_cvt_f64_f32_e32 v[4:5], v4
	v_mul_f64 v[16:17], -v[10:11], v[18:19]
	v_mul_f64 v[18:19], v[8:9], v[18:19]
	v_fmac_f64_e32 v[18:19], v[10:11], v[4:5]
	v_fmac_f64_e32 v[16:17], v[8:9], v[4:5]
	s_waitcnt vmcnt(1)
	v_mul_f64 v[20:21], v[2:3], -v[18:19]
	v_fmac_f64_e32 v[20:21], v[16:17], v[0:1]
.LBB117_48:                             ;   Parent Loop BB117_42 Depth=1
                                        ; =>  This Inner Loop Header: Depth=2
	s_waitcnt vmcnt(0)
	v_add_f64 v[4:5], v[6:7], v[20:21]
	global_atomic_cmpswap_x2 v[4:5], v[14:15], v[4:7], off glc
	s_waitcnt vmcnt(0)
	v_cmp_eq_u64_e32 vcc, v[4:5], v[6:7]
	s_or_b64 s[14:15], vcc, s[14:15]
	v_pk_mov_b32 v[6:7], v[4:5], v[4:5] op_sel:[0,1]
	s_andn2_b64 exec, exec, s[14:15]
	s_cbranch_execnz .LBB117_48
; %bb.49:                               ;   in Loop: Header=BB117_42 Depth=1
	s_or_b64 exec, exec, s[14:15]
	global_load_dwordx2 v[4:5], v[14:15], off offset:8
	v_mul_f64 v[6:7], v[2:3], v[16:17]
	v_fmac_f64_e32 v[6:7], v[18:19], v[0:1]
	s_mov_b64 s[14:15], 0
.LBB117_50:                             ;   Parent Loop BB117_42 Depth=1
                                        ; =>  This Inner Loop Header: Depth=2
	s_waitcnt vmcnt(0)
	v_add_f64 v[2:3], v[4:5], v[6:7]
	global_atomic_cmpswap_x2 v[0:1], v[14:15], v[2:5], off offset:8 glc
	s_waitcnt vmcnt(0)
	v_cmp_eq_u64_e32 vcc, v[0:1], v[4:5]
	s_or_b64 s[14:15], vcc, s[14:15]
	v_pk_mov_b32 v[4:5], v[0:1], v[0:1] op_sel:[0,1]
	s_andn2_b64 exec, exec, s[14:15]
	s_cbranch_execnz .LBB117_50
	s_branch .LBB117_41
.LBB117_51:
	s_endpgm
	.section	.rodata,"a",@progbits
	.p2align	6, 0x0
	.amdhsa_kernel _ZL33csrmvn_symm_large_adaptive_kernelIll21rocsparse_complex_numIfES0_IdES2_S2_EvbT_PKS3_N9rocsparse24const_host_device_scalarIT4_EES5_PKT0_PKT1_PKT2_S9_PT3_21rocsparse_index_base_b
		.amdhsa_group_segment_fixed_size 16384
		.amdhsa_private_segment_fixed_size 24
		.amdhsa_kernarg_size 104
		.amdhsa_user_sgpr_count 8
		.amdhsa_user_sgpr_private_segment_buffer 1
		.amdhsa_user_sgpr_dispatch_ptr 0
		.amdhsa_user_sgpr_queue_ptr 0
		.amdhsa_user_sgpr_kernarg_segment_ptr 1
		.amdhsa_user_sgpr_dispatch_id 0
		.amdhsa_user_sgpr_flat_scratch_init 1
		.amdhsa_user_sgpr_kernarg_preload_length 0
		.amdhsa_user_sgpr_kernarg_preload_offset 0
		.amdhsa_user_sgpr_private_segment_size 0
		.amdhsa_uses_dynamic_stack 0
		.amdhsa_system_sgpr_private_segment_wavefront_offset 1
		.amdhsa_system_sgpr_workgroup_id_x 1
		.amdhsa_system_sgpr_workgroup_id_y 0
		.amdhsa_system_sgpr_workgroup_id_z 0
		.amdhsa_system_sgpr_workgroup_info 0
		.amdhsa_system_vgpr_workitem_id 0
		.amdhsa_next_free_vgpr 28
		.amdhsa_next_free_sgpr 54
		.amdhsa_accum_offset 28
		.amdhsa_reserve_vcc 1
		.amdhsa_reserve_flat_scratch 1
		.amdhsa_float_round_mode_32 0
		.amdhsa_float_round_mode_16_64 0
		.amdhsa_float_denorm_mode_32 3
		.amdhsa_float_denorm_mode_16_64 3
		.amdhsa_dx10_clamp 1
		.amdhsa_ieee_mode 1
		.amdhsa_fp16_overflow 0
		.amdhsa_tg_split 0
		.amdhsa_exception_fp_ieee_invalid_op 0
		.amdhsa_exception_fp_denorm_src 0
		.amdhsa_exception_fp_ieee_div_zero 0
		.amdhsa_exception_fp_ieee_overflow 0
		.amdhsa_exception_fp_ieee_underflow 0
		.amdhsa_exception_fp_ieee_inexact 0
		.amdhsa_exception_int_div_zero 0
	.end_amdhsa_kernel
	.section	.text._ZL33csrmvn_symm_large_adaptive_kernelIll21rocsparse_complex_numIfES0_IdES2_S2_EvbT_PKS3_N9rocsparse24const_host_device_scalarIT4_EES5_PKT0_PKT1_PKT2_S9_PT3_21rocsparse_index_base_b,"axG",@progbits,_ZL33csrmvn_symm_large_adaptive_kernelIll21rocsparse_complex_numIfES0_IdES2_S2_EvbT_PKS3_N9rocsparse24const_host_device_scalarIT4_EES5_PKT0_PKT1_PKT2_S9_PT3_21rocsparse_index_base_b,comdat
.Lfunc_end117:
	.size	_ZL33csrmvn_symm_large_adaptive_kernelIll21rocsparse_complex_numIfES0_IdES2_S2_EvbT_PKS3_N9rocsparse24const_host_device_scalarIT4_EES5_PKT0_PKT1_PKT2_S9_PT3_21rocsparse_index_base_b, .Lfunc_end117-_ZL33csrmvn_symm_large_adaptive_kernelIll21rocsparse_complex_numIfES0_IdES2_S2_EvbT_PKS3_N9rocsparse24const_host_device_scalarIT4_EES5_PKT0_PKT1_PKT2_S9_PT3_21rocsparse_index_base_b
                                        ; -- End function
	.section	.AMDGPU.csdata,"",@progbits
; Kernel info:
; codeLenInByte = 2636
; NumSgprs: 60
; NumVgprs: 28
; NumAgprs: 0
; TotalNumVgprs: 28
; ScratchSize: 24
; MemoryBound: 0
; FloatMode: 240
; IeeeMode: 1
; LDSByteSize: 16384 bytes/workgroup (compile time only)
; SGPRBlocks: 7
; VGPRBlocks: 3
; NumSGPRsForWavesPerEU: 60
; NumVGPRsForWavesPerEU: 28
; AccumOffset: 28
; Occupancy: 4
; WaveLimiterHint : 1
; COMPUTE_PGM_RSRC2:SCRATCH_EN: 1
; COMPUTE_PGM_RSRC2:USER_SGPR: 8
; COMPUTE_PGM_RSRC2:TRAP_HANDLER: 0
; COMPUTE_PGM_RSRC2:TGID_X_EN: 1
; COMPUTE_PGM_RSRC2:TGID_Y_EN: 0
; COMPUTE_PGM_RSRC2:TGID_Z_EN: 0
; COMPUTE_PGM_RSRC2:TIDIG_COMP_CNT: 0
; COMPUTE_PGM_RSRC3_GFX90A:ACCUM_OFFSET: 6
; COMPUTE_PGM_RSRC3_GFX90A:TG_SPLIT: 0
	.text
	.p2alignl 6, 3212836864
	.fill 256, 4, 3212836864
	.type	__hip_cuid_a5267aabb0cc3b12,@object ; @__hip_cuid_a5267aabb0cc3b12
	.section	.bss,"aw",@nobits
	.globl	__hip_cuid_a5267aabb0cc3b12
__hip_cuid_a5267aabb0cc3b12:
	.byte	0                               ; 0x0
	.size	__hip_cuid_a5267aabb0cc3b12, 1

	.ident	"AMD clang version 19.0.0git (https://github.com/RadeonOpenCompute/llvm-project roc-6.4.0 25133 c7fe45cf4b819c5991fe208aaa96edf142730f1d)"
	.section	".note.GNU-stack","",@progbits
	.addrsig
	.addrsig_sym _ZN9rocsparse12cols_in_rowsE
	.addrsig_sym __hip_cuid_a5267aabb0cc3b12
	.amdgpu_metadata
---
amdhsa.kernels:
  - .agpr_count:     0
    .args:
      - .offset:         0
        .size:           1
        .value_kind:     by_value
      - .offset:         4
        .size:           4
        .value_kind:     by_value
      - .actual_access:  read_only
        .address_space:  global
        .offset:         8
        .size:           8
        .value_kind:     global_buffer
      - .address_space:  global
        .offset:         16
        .size:           8
        .value_kind:     global_buffer
      - .actual_access:  read_only
        .address_space:  global
        .offset:         24
        .size:           8
        .value_kind:     global_buffer
      - .offset:         32
        .size:           8
        .value_kind:     by_value
      - .actual_access:  read_only
        .address_space:  global
        .offset:         40
        .size:           8
        .value_kind:     global_buffer
      - .actual_access:  read_only
        .address_space:  global
        .offset:         48
        .size:           8
        .value_kind:     global_buffer
      - .actual_access:  read_only
        .address_space:  global
        .offset:         56
        .size:           8
        .value_kind:     global_buffer
      - .actual_access:  read_only
        .address_space:  global
        .offset:         64
        .size:           8
        .value_kind:     global_buffer
      - .offset:         72
        .size:           8
        .value_kind:     by_value
      - .address_space:  global
        .offset:         80
        .size:           8
        .value_kind:     global_buffer
      - .offset:         88
        .size:           4
        .value_kind:     by_value
      - .offset:         92
        .size:           1
        .value_kind:     by_value
    .group_segment_fixed_size: 4096
    .kernarg_segment_align: 8
    .kernarg_segment_size: 96
    .language:       OpenCL C
    .language_version:
      - 2
      - 0
    .max_flat_workgroup_size: 256
    .name:           _ZN9rocsparseL22csrmvn_adaptive_kernelIiiffffEEvbT_PKS1_PjPKT0_NS_24const_host_device_scalarIT4_EES3_S7_PKT1_PKT2_SA_PT3_21rocsparse_index_base_b
    .private_segment_fixed_size: 0
    .sgpr_count:     62
    .sgpr_spill_count: 0
    .symbol:         _ZN9rocsparseL22csrmvn_adaptive_kernelIiiffffEEvbT_PKS1_PjPKT0_NS_24const_host_device_scalarIT4_EES3_S7_PKT1_PKT2_SA_PT3_21rocsparse_index_base_b.kd
    .uniform_work_group_size: 1
    .uses_dynamic_stack: false
    .vgpr_count:     44
    .vgpr_spill_count: 0
    .wavefront_size: 64
  - .agpr_count:     0
    .args:
      - .offset:         0
        .size:           4
        .value_kind:     by_value
      - .offset:         4
        .size:           4
        .value_kind:     by_value
      - .offset:         8
        .size:           4
        .value_kind:     by_value
      - .offset:         16
        .size:           8
        .value_kind:     by_value
      - .address_space:  global
        .offset:         24
        .size:           8
        .value_kind:     global_buffer
      - .offset:         32
        .size:           1
        .value_kind:     by_value
    .group_segment_fixed_size: 0
    .kernarg_segment_align: 8
    .kernarg_segment_size: 36
    .language:       OpenCL C
    .language_version:
      - 2
      - 0
    .max_flat_workgroup_size: 256
    .name:           _ZN9rocsparseL22partial_scale_y_kernelIiffEEvT_S1_S1_NS_24const_host_device_scalarIT1_EEPT0_b
    .private_segment_fixed_size: 0
    .sgpr_count:     16
    .sgpr_spill_count: 0
    .symbol:         _ZN9rocsparseL22partial_scale_y_kernelIiffEEvT_S1_S1_NS_24const_host_device_scalarIT1_EEPT0_b.kd
    .uniform_work_group_size: 1
    .uses_dynamic_stack: false
    .vgpr_count:     4
    .vgpr_spill_count: 0
    .wavefront_size: 64
  - .agpr_count:     0
    .args:
      - .offset:         0
        .size:           1
        .value_kind:     by_value
      - .offset:         4
        .size:           4
        .value_kind:     by_value
      - .offset:         8
        .size:           4
        .value_kind:     by_value
      - .actual_access:  read_only
        .address_space:  global
        .offset:         16
        .size:           8
        .value_kind:     global_buffer
      - .offset:         24
        .size:           8
        .value_kind:     by_value
      - .actual_access:  read_only
        .address_space:  global
        .offset:         32
        .size:           8
        .value_kind:     global_buffer
      - .actual_access:  read_only
        .address_space:  global
        .offset:         40
        .size:           8
        .value_kind:     global_buffer
      - .actual_access:  read_only
        .address_space:  global
        .offset:         48
        .size:           8
        .value_kind:     global_buffer
      - .actual_access:  read_only
        .address_space:  global
        .offset:         56
        .size:           8
        .value_kind:     global_buffer
      - .offset:         64
        .size:           8
        .value_kind:     by_value
      - .address_space:  global
        .offset:         72
        .size:           8
        .value_kind:     global_buffer
      - .offset:         80
        .size:           4
        .value_kind:     by_value
      - .offset:         84
        .size:           1
        .value_kind:     by_value
      - .offset:         88
        .size:           4
        .value_kind:     hidden_block_count_x
      - .offset:         92
        .size:           4
        .value_kind:     hidden_block_count_y
      - .offset:         96
        .size:           4
        .value_kind:     hidden_block_count_z
      - .offset:         100
        .size:           2
        .value_kind:     hidden_group_size_x
      - .offset:         102
        .size:           2
        .value_kind:     hidden_group_size_y
      - .offset:         104
        .size:           2
        .value_kind:     hidden_group_size_z
      - .offset:         106
        .size:           2
        .value_kind:     hidden_remainder_x
      - .offset:         108
        .size:           2
        .value_kind:     hidden_remainder_y
      - .offset:         110
        .size:           2
        .value_kind:     hidden_remainder_z
      - .offset:         128
        .size:           8
        .value_kind:     hidden_global_offset_x
      - .offset:         136
        .size:           8
        .value_kind:     hidden_global_offset_y
      - .offset:         144
        .size:           8
        .value_kind:     hidden_global_offset_z
      - .offset:         152
        .size:           2
        .value_kind:     hidden_grid_dims
      - .offset:         208
        .size:           4
        .value_kind:     hidden_dynamic_lds_size
    .group_segment_fixed_size: 4096
    .kernarg_segment_align: 8
    .kernarg_segment_size: 344
    .language:       OpenCL C
    .language_version:
      - 2
      - 0
    .max_flat_workgroup_size: 256
    .name:           _ZN9rocsparseL27csrmvn_symm_adaptive_kernelIiiffffEEvbT_S1_PKS1_NS_24const_host_device_scalarIT4_EES3_PKT0_PKT1_PKT2_S6_PT3_21rocsparse_index_base_b
    .private_segment_fixed_size: 0
    .sgpr_count:     53
    .sgpr_spill_count: 0
    .symbol:         _ZN9rocsparseL27csrmvn_symm_adaptive_kernelIiiffffEEvbT_S1_PKS1_NS_24const_host_device_scalarIT4_EES3_PKT0_PKT1_PKT2_S6_PT3_21rocsparse_index_base_b.kd
    .uniform_work_group_size: 1
    .uses_dynamic_stack: false
    .vgpr_count:     28
    .vgpr_spill_count: 0
    .wavefront_size: 64
  - .agpr_count:     0
    .args:
      - .offset:         0
        .size:           1
        .value_kind:     by_value
      - .offset:         4
        .size:           4
        .value_kind:     by_value
      - .actual_access:  read_only
        .address_space:  global
        .offset:         8
        .size:           8
        .value_kind:     global_buffer
      - .offset:         16
        .size:           8
        .value_kind:     by_value
      - .actual_access:  read_only
        .address_space:  global
        .offset:         24
        .size:           8
        .value_kind:     global_buffer
      - .actual_access:  read_only
        .address_space:  global
        .offset:         32
        .size:           8
        .value_kind:     global_buffer
      - .actual_access:  read_only
        .address_space:  global
        .offset:         40
        .size:           8
        .value_kind:     global_buffer
      - .actual_access:  read_only
        .address_space:  global
        .offset:         48
        .size:           8
        .value_kind:     global_buffer
      - .offset:         56
        .size:           8
        .value_kind:     by_value
      - .address_space:  global
        .offset:         64
        .size:           8
        .value_kind:     global_buffer
      - .offset:         72
        .size:           4
        .value_kind:     by_value
      - .offset:         76
        .size:           1
        .value_kind:     by_value
    .group_segment_fixed_size: 4096
    .kernarg_segment_align: 8
    .kernarg_segment_size: 80
    .language:       OpenCL C
    .language_version:
      - 2
      - 0
    .max_flat_workgroup_size: 256
    .name:           _ZL33csrmvn_symm_large_adaptive_kernelIiiffffEvbT_PKS0_N9rocsparse24const_host_device_scalarIT4_EES2_PKT0_PKT1_PKT2_S6_PT3_21rocsparse_index_base_b
    .private_segment_fixed_size: 0
    .sgpr_count:     43
    .sgpr_spill_count: 0
    .symbol:         _ZL33csrmvn_symm_large_adaptive_kernelIiiffffEvbT_PKS0_N9rocsparse24const_host_device_scalarIT4_EES2_PKT0_PKT1_PKT2_S6_PT3_21rocsparse_index_base_b.kd
    .uniform_work_group_size: 1
    .uses_dynamic_stack: false
    .vgpr_count:     13
    .vgpr_spill_count: 0
    .wavefront_size: 64
  - .agpr_count:     0
    .args:
      - .offset:         0
        .size:           1
        .value_kind:     by_value
      - .offset:         8
        .size:           8
        .value_kind:     by_value
      - .actual_access:  read_only
        .address_space:  global
        .offset:         16
        .size:           8
        .value_kind:     global_buffer
      - .address_space:  global
        .offset:         24
        .size:           8
        .value_kind:     global_buffer
      - .actual_access:  read_only
        .address_space:  global
        .offset:         32
        .size:           8
        .value_kind:     global_buffer
      - .offset:         40
        .size:           8
        .value_kind:     by_value
      - .actual_access:  read_only
        .address_space:  global
        .offset:         48
        .size:           8
        .value_kind:     global_buffer
      - .actual_access:  read_only
        .address_space:  global
        .offset:         56
        .size:           8
        .value_kind:     global_buffer
      - .actual_access:  read_only
        .address_space:  global
        .offset:         64
        .size:           8
        .value_kind:     global_buffer
      - .actual_access:  read_only
        .address_space:  global
        .offset:         72
        .size:           8
        .value_kind:     global_buffer
      - .offset:         80
        .size:           8
        .value_kind:     by_value
      - .address_space:  global
        .offset:         88
        .size:           8
        .value_kind:     global_buffer
      - .offset:         96
        .size:           4
        .value_kind:     by_value
      - .offset:         100
        .size:           1
        .value_kind:     by_value
    .group_segment_fixed_size: 4096
    .kernarg_segment_align: 8
    .kernarg_segment_size: 104
    .language:       OpenCL C
    .language_version:
      - 2
      - 0
    .max_flat_workgroup_size: 256
    .name:           _ZN9rocsparseL22csrmvn_adaptive_kernelIliffffEEvbT_PKS1_PjPKT0_NS_24const_host_device_scalarIT4_EES3_S7_PKT1_PKT2_SA_PT3_21rocsparse_index_base_b
    .private_segment_fixed_size: 0
    .sgpr_count:     66
    .sgpr_spill_count: 0
    .symbol:         _ZN9rocsparseL22csrmvn_adaptive_kernelIliffffEEvbT_PKS1_PjPKT0_NS_24const_host_device_scalarIT4_EES3_S7_PKT1_PKT2_SA_PT3_21rocsparse_index_base_b.kd
    .uniform_work_group_size: 1
    .uses_dynamic_stack: false
    .vgpr_count:     25
    .vgpr_spill_count: 0
    .wavefront_size: 64
  - .agpr_count:     0
    .args:
      - .offset:         0
        .size:           1
        .value_kind:     by_value
      - .offset:         8
        .size:           8
        .value_kind:     by_value
      - .offset:         16
        .size:           8
        .value_kind:     by_value
      - .actual_access:  read_only
        .address_space:  global
        .offset:         24
        .size:           8
        .value_kind:     global_buffer
      - .offset:         32
        .size:           8
        .value_kind:     by_value
      - .actual_access:  read_only
        .address_space:  global
        .offset:         40
        .size:           8
        .value_kind:     global_buffer
      - .actual_access:  read_only
        .address_space:  global
        .offset:         48
        .size:           8
        .value_kind:     global_buffer
      - .actual_access:  read_only
        .address_space:  global
        .offset:         56
        .size:           8
        .value_kind:     global_buffer
      - .actual_access:  read_only
        .address_space:  global
        .offset:         64
        .size:           8
        .value_kind:     global_buffer
      - .offset:         72
        .size:           8
        .value_kind:     by_value
      - .address_space:  global
        .offset:         80
        .size:           8
        .value_kind:     global_buffer
      - .offset:         88
        .size:           4
        .value_kind:     by_value
      - .offset:         92
        .size:           1
        .value_kind:     by_value
      - .offset:         96
        .size:           4
        .value_kind:     hidden_block_count_x
      - .offset:         100
        .size:           4
        .value_kind:     hidden_block_count_y
      - .offset:         104
        .size:           4
        .value_kind:     hidden_block_count_z
      - .offset:         108
        .size:           2
        .value_kind:     hidden_group_size_x
      - .offset:         110
        .size:           2
        .value_kind:     hidden_group_size_y
      - .offset:         112
        .size:           2
        .value_kind:     hidden_group_size_z
      - .offset:         114
        .size:           2
        .value_kind:     hidden_remainder_x
      - .offset:         116
        .size:           2
        .value_kind:     hidden_remainder_y
      - .offset:         118
        .size:           2
        .value_kind:     hidden_remainder_z
      - .offset:         136
        .size:           8
        .value_kind:     hidden_global_offset_x
      - .offset:         144
        .size:           8
        .value_kind:     hidden_global_offset_y
      - .offset:         152
        .size:           8
        .value_kind:     hidden_global_offset_z
      - .offset:         160
        .size:           2
        .value_kind:     hidden_grid_dims
      - .offset:         216
        .size:           4
        .value_kind:     hidden_dynamic_lds_size
    .group_segment_fixed_size: 4096
    .kernarg_segment_align: 8
    .kernarg_segment_size: 352
    .language:       OpenCL C
    .language_version:
      - 2
      - 0
    .max_flat_workgroup_size: 256
    .name:           _ZN9rocsparseL27csrmvn_symm_adaptive_kernelIliffffEEvbT_S1_PKS1_NS_24const_host_device_scalarIT4_EES3_PKT0_PKT1_PKT2_S6_PT3_21rocsparse_index_base_b
    .private_segment_fixed_size: 0
    .sgpr_count:     56
    .sgpr_spill_count: 0
    .symbol:         _ZN9rocsparseL27csrmvn_symm_adaptive_kernelIliffffEEvbT_S1_PKS1_NS_24const_host_device_scalarIT4_EES3_PKT0_PKT1_PKT2_S6_PT3_21rocsparse_index_base_b.kd
    .uniform_work_group_size: 1
    .uses_dynamic_stack: false
    .vgpr_count:     23
    .vgpr_spill_count: 0
    .wavefront_size: 64
  - .agpr_count:     0
    .args:
      - .offset:         0
        .size:           1
        .value_kind:     by_value
      - .offset:         8
        .size:           8
        .value_kind:     by_value
      - .actual_access:  read_only
        .address_space:  global
        .offset:         16
        .size:           8
        .value_kind:     global_buffer
      - .offset:         24
        .size:           8
        .value_kind:     by_value
      - .actual_access:  read_only
        .address_space:  global
        .offset:         32
        .size:           8
        .value_kind:     global_buffer
      - .actual_access:  read_only
        .address_space:  global
        .offset:         40
        .size:           8
        .value_kind:     global_buffer
      - .actual_access:  read_only
        .address_space:  global
        .offset:         48
        .size:           8
        .value_kind:     global_buffer
      - .actual_access:  read_only
        .address_space:  global
        .offset:         56
        .size:           8
        .value_kind:     global_buffer
      - .offset:         64
        .size:           8
        .value_kind:     by_value
      - .address_space:  global
        .offset:         72
        .size:           8
        .value_kind:     global_buffer
      - .offset:         80
        .size:           4
        .value_kind:     by_value
      - .offset:         84
        .size:           1
        .value_kind:     by_value
    .group_segment_fixed_size: 4096
    .kernarg_segment_align: 8
    .kernarg_segment_size: 88
    .language:       OpenCL C
    .language_version:
      - 2
      - 0
    .max_flat_workgroup_size: 256
    .name:           _ZL33csrmvn_symm_large_adaptive_kernelIliffffEvbT_PKS0_N9rocsparse24const_host_device_scalarIT4_EES2_PKT0_PKT1_PKT2_S6_PT3_21rocsparse_index_base_b
    .private_segment_fixed_size: 0
    .sgpr_count:     49
    .sgpr_spill_count: 0
    .symbol:         _ZL33csrmvn_symm_large_adaptive_kernelIliffffEvbT_PKS0_N9rocsparse24const_host_device_scalarIT4_EES2_PKT0_PKT1_PKT2_S6_PT3_21rocsparse_index_base_b.kd
    .uniform_work_group_size: 1
    .uses_dynamic_stack: false
    .vgpr_count:     17
    .vgpr_spill_count: 0
    .wavefront_size: 64
  - .agpr_count:     0
    .args:
      - .offset:         0
        .size:           1
        .value_kind:     by_value
      - .offset:         8
        .size:           8
        .value_kind:     by_value
      - .actual_access:  read_only
        .address_space:  global
        .offset:         16
        .size:           8
        .value_kind:     global_buffer
      - .address_space:  global
        .offset:         24
        .size:           8
        .value_kind:     global_buffer
      - .actual_access:  read_only
        .address_space:  global
        .offset:         32
        .size:           8
        .value_kind:     global_buffer
      - .offset:         40
        .size:           8
        .value_kind:     by_value
      - .actual_access:  read_only
        .address_space:  global
        .offset:         48
        .size:           8
        .value_kind:     global_buffer
      - .actual_access:  read_only
        .address_space:  global
        .offset:         56
        .size:           8
        .value_kind:     global_buffer
      - .actual_access:  read_only
        .address_space:  global
        .offset:         64
        .size:           8
        .value_kind:     global_buffer
      - .actual_access:  read_only
        .address_space:  global
        .offset:         72
        .size:           8
        .value_kind:     global_buffer
      - .offset:         80
        .size:           8
        .value_kind:     by_value
      - .address_space:  global
        .offset:         88
        .size:           8
        .value_kind:     global_buffer
      - .offset:         96
        .size:           4
        .value_kind:     by_value
      - .offset:         100
        .size:           1
        .value_kind:     by_value
    .group_segment_fixed_size: 4096
    .kernarg_segment_align: 8
    .kernarg_segment_size: 104
    .language:       OpenCL C
    .language_version:
      - 2
      - 0
    .max_flat_workgroup_size: 256
    .name:           _ZN9rocsparseL22csrmvn_adaptive_kernelIllffffEEvbT_PKS1_PjPKT0_NS_24const_host_device_scalarIT4_EES3_S7_PKT1_PKT2_SA_PT3_21rocsparse_index_base_b
    .private_segment_fixed_size: 0
    .sgpr_count:     66
    .sgpr_spill_count: 0
    .symbol:         _ZN9rocsparseL22csrmvn_adaptive_kernelIllffffEEvbT_PKS1_PjPKT0_NS_24const_host_device_scalarIT4_EES3_S7_PKT1_PKT2_SA_PT3_21rocsparse_index_base_b.kd
    .uniform_work_group_size: 1
    .uses_dynamic_stack: false
    .vgpr_count:     20
    .vgpr_spill_count: 0
    .wavefront_size: 64
  - .agpr_count:     0
    .args:
      - .offset:         0
        .size:           8
        .value_kind:     by_value
      - .offset:         8
        .size:           8
        .value_kind:     by_value
      - .offset:         16
        .size:           8
        .value_kind:     by_value
      - .offset:         24
        .size:           8
        .value_kind:     by_value
      - .address_space:  global
        .offset:         32
        .size:           8
        .value_kind:     global_buffer
      - .offset:         40
        .size:           1
        .value_kind:     by_value
    .group_segment_fixed_size: 0
    .kernarg_segment_align: 8
    .kernarg_segment_size: 44
    .language:       OpenCL C
    .language_version:
      - 2
      - 0
    .max_flat_workgroup_size: 256
    .name:           _ZN9rocsparseL22partial_scale_y_kernelIlffEEvT_S1_S1_NS_24const_host_device_scalarIT1_EEPT0_b
    .private_segment_fixed_size: 0
    .sgpr_count:     20
    .sgpr_spill_count: 0
    .symbol:         _ZN9rocsparseL22partial_scale_y_kernelIlffEEvT_S1_S1_NS_24const_host_device_scalarIT1_EEPT0_b.kd
    .uniform_work_group_size: 1
    .uses_dynamic_stack: false
    .vgpr_count:     4
    .vgpr_spill_count: 0
    .wavefront_size: 64
  - .agpr_count:     0
    .args:
      - .offset:         0
        .size:           1
        .value_kind:     by_value
      - .offset:         8
        .size:           8
        .value_kind:     by_value
      - .offset:         16
        .size:           8
        .value_kind:     by_value
      - .actual_access:  read_only
        .address_space:  global
        .offset:         24
        .size:           8
        .value_kind:     global_buffer
      - .offset:         32
        .size:           8
        .value_kind:     by_value
      - .actual_access:  read_only
        .address_space:  global
        .offset:         40
        .size:           8
        .value_kind:     global_buffer
      - .actual_access:  read_only
        .address_space:  global
        .offset:         48
        .size:           8
        .value_kind:     global_buffer
      - .actual_access:  read_only
        .address_space:  global
        .offset:         56
        .size:           8
        .value_kind:     global_buffer
      - .actual_access:  read_only
        .address_space:  global
        .offset:         64
        .size:           8
        .value_kind:     global_buffer
      - .offset:         72
        .size:           8
        .value_kind:     by_value
      - .address_space:  global
        .offset:         80
        .size:           8
        .value_kind:     global_buffer
      - .offset:         88
        .size:           4
        .value_kind:     by_value
      - .offset:         92
        .size:           1
        .value_kind:     by_value
      - .offset:         96
        .size:           4
        .value_kind:     hidden_block_count_x
      - .offset:         100
        .size:           4
        .value_kind:     hidden_block_count_y
      - .offset:         104
        .size:           4
        .value_kind:     hidden_block_count_z
      - .offset:         108
        .size:           2
        .value_kind:     hidden_group_size_x
      - .offset:         110
        .size:           2
        .value_kind:     hidden_group_size_y
      - .offset:         112
        .size:           2
        .value_kind:     hidden_group_size_z
      - .offset:         114
        .size:           2
        .value_kind:     hidden_remainder_x
      - .offset:         116
        .size:           2
        .value_kind:     hidden_remainder_y
      - .offset:         118
        .size:           2
        .value_kind:     hidden_remainder_z
      - .offset:         136
        .size:           8
        .value_kind:     hidden_global_offset_x
      - .offset:         144
        .size:           8
        .value_kind:     hidden_global_offset_y
      - .offset:         152
        .size:           8
        .value_kind:     hidden_global_offset_z
      - .offset:         160
        .size:           2
        .value_kind:     hidden_grid_dims
      - .offset:         216
        .size:           4
        .value_kind:     hidden_dynamic_lds_size
    .group_segment_fixed_size: 4096
    .kernarg_segment_align: 8
    .kernarg_segment_size: 352
    .language:       OpenCL C
    .language_version:
      - 2
      - 0
    .max_flat_workgroup_size: 256
    .name:           _ZN9rocsparseL27csrmvn_symm_adaptive_kernelIllffffEEvbT_S1_PKS1_NS_24const_host_device_scalarIT4_EES3_PKT0_PKT1_PKT2_S6_PT3_21rocsparse_index_base_b
    .private_segment_fixed_size: 0
    .sgpr_count:     56
    .sgpr_spill_count: 0
    .symbol:         _ZN9rocsparseL27csrmvn_symm_adaptive_kernelIllffffEEvbT_S1_PKS1_NS_24const_host_device_scalarIT4_EES3_PKT0_PKT1_PKT2_S6_PT3_21rocsparse_index_base_b.kd
    .uniform_work_group_size: 1
    .uses_dynamic_stack: false
    .vgpr_count:     24
    .vgpr_spill_count: 0
    .wavefront_size: 64
  - .agpr_count:     0
    .args:
      - .offset:         0
        .size:           1
        .value_kind:     by_value
      - .offset:         8
        .size:           8
        .value_kind:     by_value
      - .actual_access:  read_only
        .address_space:  global
        .offset:         16
        .size:           8
        .value_kind:     global_buffer
      - .offset:         24
        .size:           8
        .value_kind:     by_value
      - .actual_access:  read_only
        .address_space:  global
        .offset:         32
        .size:           8
        .value_kind:     global_buffer
      - .actual_access:  read_only
        .address_space:  global
        .offset:         40
        .size:           8
        .value_kind:     global_buffer
      - .actual_access:  read_only
        .address_space:  global
        .offset:         48
        .size:           8
        .value_kind:     global_buffer
      - .actual_access:  read_only
        .address_space:  global
        .offset:         56
        .size:           8
        .value_kind:     global_buffer
      - .offset:         64
        .size:           8
        .value_kind:     by_value
      - .address_space:  global
        .offset:         72
        .size:           8
        .value_kind:     global_buffer
      - .offset:         80
        .size:           4
        .value_kind:     by_value
      - .offset:         84
        .size:           1
        .value_kind:     by_value
    .group_segment_fixed_size: 4096
    .kernarg_segment_align: 8
    .kernarg_segment_size: 88
    .language:       OpenCL C
    .language_version:
      - 2
      - 0
    .max_flat_workgroup_size: 256
    .name:           _ZL33csrmvn_symm_large_adaptive_kernelIllffffEvbT_PKS0_N9rocsparse24const_host_device_scalarIT4_EES2_PKT0_PKT1_PKT2_S6_PT3_21rocsparse_index_base_b
    .private_segment_fixed_size: 0
    .sgpr_count:     49
    .sgpr_spill_count: 0
    .symbol:         _ZL33csrmvn_symm_large_adaptive_kernelIllffffEvbT_PKS0_N9rocsparse24const_host_device_scalarIT4_EES2_PKT0_PKT1_PKT2_S6_PT3_21rocsparse_index_base_b.kd
    .uniform_work_group_size: 1
    .uses_dynamic_stack: false
    .vgpr_count:     18
    .vgpr_spill_count: 0
    .wavefront_size: 64
  - .agpr_count:     0
    .args:
      - .offset:         0
        .size:           1
        .value_kind:     by_value
      - .offset:         4
        .size:           4
        .value_kind:     by_value
      - .actual_access:  read_only
        .address_space:  global
        .offset:         8
        .size:           8
        .value_kind:     global_buffer
      - .address_space:  global
        .offset:         16
        .size:           8
        .value_kind:     global_buffer
      - .actual_access:  read_only
        .address_space:  global
        .offset:         24
        .size:           8
        .value_kind:     global_buffer
      - .offset:         32
        .size:           8
        .value_kind:     by_value
      - .actual_access:  read_only
        .address_space:  global
        .offset:         40
        .size:           8
        .value_kind:     global_buffer
      - .actual_access:  read_only
        .address_space:  global
        .offset:         48
        .size:           8
        .value_kind:     global_buffer
      - .actual_access:  read_only
        .address_space:  global
        .offset:         56
        .size:           8
        .value_kind:     global_buffer
      - .actual_access:  read_only
        .address_space:  global
        .offset:         64
        .size:           8
        .value_kind:     global_buffer
      - .offset:         72
        .size:           8
        .value_kind:     by_value
      - .address_space:  global
        .offset:         80
        .size:           8
        .value_kind:     global_buffer
      - .offset:         88
        .size:           4
        .value_kind:     by_value
      - .offset:         92
        .size:           1
        .value_kind:     by_value
    .group_segment_fixed_size: 8192
    .kernarg_segment_align: 8
    .kernarg_segment_size: 96
    .language:       OpenCL C
    .language_version:
      - 2
      - 0
    .max_flat_workgroup_size: 256
    .name:           _ZN9rocsparseL22csrmvn_adaptive_kernelIiiddddEEvbT_PKS1_PjPKT0_NS_24const_host_device_scalarIT4_EES3_S7_PKT1_PKT2_SA_PT3_21rocsparse_index_base_b
    .private_segment_fixed_size: 0
    .sgpr_count:     59
    .sgpr_spill_count: 0
    .symbol:         _ZN9rocsparseL22csrmvn_adaptive_kernelIiiddddEEvbT_PKS1_PjPKT0_NS_24const_host_device_scalarIT4_EES3_S7_PKT1_PKT2_SA_PT3_21rocsparse_index_base_b.kd
    .uniform_work_group_size: 1
    .uses_dynamic_stack: false
    .vgpr_count:     32
    .vgpr_spill_count: 0
    .wavefront_size: 64
  - .agpr_count:     0
    .args:
      - .offset:         0
        .size:           4
        .value_kind:     by_value
      - .offset:         4
        .size:           4
        .value_kind:     by_value
      - .offset:         8
        .size:           4
        .value_kind:     by_value
      - .offset:         16
        .size:           8
        .value_kind:     by_value
      - .address_space:  global
        .offset:         24
        .size:           8
        .value_kind:     global_buffer
      - .offset:         32
        .size:           1
        .value_kind:     by_value
    .group_segment_fixed_size: 0
    .kernarg_segment_align: 8
    .kernarg_segment_size: 36
    .language:       OpenCL C
    .language_version:
      - 2
      - 0
    .max_flat_workgroup_size: 256
    .name:           _ZN9rocsparseL22partial_scale_y_kernelIiddEEvT_S1_S1_NS_24const_host_device_scalarIT1_EEPT0_b
    .private_segment_fixed_size: 0
    .sgpr_count:     16
    .sgpr_spill_count: 0
    .symbol:         _ZN9rocsparseL22partial_scale_y_kernelIiddEEvT_S1_S1_NS_24const_host_device_scalarIT1_EEPT0_b.kd
    .uniform_work_group_size: 1
    .uses_dynamic_stack: false
    .vgpr_count:     6
    .vgpr_spill_count: 0
    .wavefront_size: 64
  - .agpr_count:     0
    .args:
      - .offset:         0
        .size:           1
        .value_kind:     by_value
      - .offset:         4
        .size:           4
        .value_kind:     by_value
      - .offset:         8
        .size:           4
        .value_kind:     by_value
      - .actual_access:  read_only
        .address_space:  global
        .offset:         16
        .size:           8
        .value_kind:     global_buffer
      - .offset:         24
        .size:           8
        .value_kind:     by_value
      - .actual_access:  read_only
        .address_space:  global
        .offset:         32
        .size:           8
        .value_kind:     global_buffer
      - .actual_access:  read_only
        .address_space:  global
        .offset:         40
        .size:           8
        .value_kind:     global_buffer
      - .actual_access:  read_only
        .address_space:  global
        .offset:         48
        .size:           8
        .value_kind:     global_buffer
      - .actual_access:  read_only
        .address_space:  global
        .offset:         56
        .size:           8
        .value_kind:     global_buffer
      - .offset:         64
        .size:           8
        .value_kind:     by_value
      - .address_space:  global
        .offset:         72
        .size:           8
        .value_kind:     global_buffer
      - .offset:         80
        .size:           4
        .value_kind:     by_value
      - .offset:         84
        .size:           1
        .value_kind:     by_value
      - .offset:         88
        .size:           4
        .value_kind:     hidden_block_count_x
      - .offset:         92
        .size:           4
        .value_kind:     hidden_block_count_y
      - .offset:         96
        .size:           4
        .value_kind:     hidden_block_count_z
      - .offset:         100
        .size:           2
        .value_kind:     hidden_group_size_x
      - .offset:         102
        .size:           2
        .value_kind:     hidden_group_size_y
      - .offset:         104
        .size:           2
        .value_kind:     hidden_group_size_z
      - .offset:         106
        .size:           2
        .value_kind:     hidden_remainder_x
      - .offset:         108
        .size:           2
        .value_kind:     hidden_remainder_y
      - .offset:         110
        .size:           2
        .value_kind:     hidden_remainder_z
      - .offset:         128
        .size:           8
        .value_kind:     hidden_global_offset_x
      - .offset:         136
        .size:           8
        .value_kind:     hidden_global_offset_y
      - .offset:         144
        .size:           8
        .value_kind:     hidden_global_offset_z
      - .offset:         152
        .size:           2
        .value_kind:     hidden_grid_dims
      - .offset:         208
        .size:           4
        .value_kind:     hidden_dynamic_lds_size
    .group_segment_fixed_size: 8192
    .kernarg_segment_align: 8
    .kernarg_segment_size: 344
    .language:       OpenCL C
    .language_version:
      - 2
      - 0
    .max_flat_workgroup_size: 256
    .name:           _ZN9rocsparseL27csrmvn_symm_adaptive_kernelIiiddddEEvbT_S1_PKS1_NS_24const_host_device_scalarIT4_EES3_PKT0_PKT1_PKT2_S6_PT3_21rocsparse_index_base_b
    .private_segment_fixed_size: 0
    .sgpr_count:     46
    .sgpr_spill_count: 0
    .symbol:         _ZN9rocsparseL27csrmvn_symm_adaptive_kernelIiiddddEEvbT_S1_PKS1_NS_24const_host_device_scalarIT4_EES3_PKT0_PKT1_PKT2_S6_PT3_21rocsparse_index_base_b.kd
    .uniform_work_group_size: 1
    .uses_dynamic_stack: false
    .vgpr_count:     24
    .vgpr_spill_count: 0
    .wavefront_size: 64
  - .agpr_count:     0
    .args:
      - .offset:         0
        .size:           1
        .value_kind:     by_value
      - .offset:         4
        .size:           4
        .value_kind:     by_value
      - .actual_access:  read_only
        .address_space:  global
        .offset:         8
        .size:           8
        .value_kind:     global_buffer
      - .offset:         16
        .size:           8
        .value_kind:     by_value
      - .actual_access:  read_only
        .address_space:  global
        .offset:         24
        .size:           8
        .value_kind:     global_buffer
      - .actual_access:  read_only
        .address_space:  global
        .offset:         32
        .size:           8
        .value_kind:     global_buffer
      - .actual_access:  read_only
        .address_space:  global
        .offset:         40
        .size:           8
        .value_kind:     global_buffer
      - .actual_access:  read_only
        .address_space:  global
        .offset:         48
        .size:           8
        .value_kind:     global_buffer
      - .offset:         56
        .size:           8
        .value_kind:     by_value
      - .address_space:  global
        .offset:         64
        .size:           8
        .value_kind:     global_buffer
      - .offset:         72
        .size:           4
        .value_kind:     by_value
      - .offset:         76
        .size:           1
        .value_kind:     by_value
    .group_segment_fixed_size: 8192
    .kernarg_segment_align: 8
    .kernarg_segment_size: 80
    .language:       OpenCL C
    .language_version:
      - 2
      - 0
    .max_flat_workgroup_size: 256
    .name:           _ZL33csrmvn_symm_large_adaptive_kernelIiiddddEvbT_PKS0_N9rocsparse24const_host_device_scalarIT4_EES2_PKT0_PKT1_PKT2_S6_PT3_21rocsparse_index_base_b
    .private_segment_fixed_size: 0
    .sgpr_count:     42
    .sgpr_spill_count: 0
    .symbol:         _ZL33csrmvn_symm_large_adaptive_kernelIiiddddEvbT_PKS0_N9rocsparse24const_host_device_scalarIT4_EES2_PKT0_PKT1_PKT2_S6_PT3_21rocsparse_index_base_b.kd
    .uniform_work_group_size: 1
    .uses_dynamic_stack: false
    .vgpr_count:     18
    .vgpr_spill_count: 0
    .wavefront_size: 64
  - .agpr_count:     0
    .args:
      - .offset:         0
        .size:           1
        .value_kind:     by_value
      - .offset:         8
        .size:           8
        .value_kind:     by_value
      - .actual_access:  read_only
        .address_space:  global
        .offset:         16
        .size:           8
        .value_kind:     global_buffer
      - .address_space:  global
        .offset:         24
        .size:           8
        .value_kind:     global_buffer
      - .actual_access:  read_only
        .address_space:  global
        .offset:         32
        .size:           8
        .value_kind:     global_buffer
      - .offset:         40
        .size:           8
        .value_kind:     by_value
      - .actual_access:  read_only
        .address_space:  global
        .offset:         48
        .size:           8
        .value_kind:     global_buffer
      - .actual_access:  read_only
        .address_space:  global
        .offset:         56
        .size:           8
        .value_kind:     global_buffer
      - .actual_access:  read_only
        .address_space:  global
        .offset:         64
        .size:           8
        .value_kind:     global_buffer
      - .actual_access:  read_only
        .address_space:  global
        .offset:         72
        .size:           8
        .value_kind:     global_buffer
      - .offset:         80
        .size:           8
        .value_kind:     by_value
      - .address_space:  global
        .offset:         88
        .size:           8
        .value_kind:     global_buffer
      - .offset:         96
        .size:           4
        .value_kind:     by_value
      - .offset:         100
        .size:           1
        .value_kind:     by_value
    .group_segment_fixed_size: 8192
    .kernarg_segment_align: 8
    .kernarg_segment_size: 104
    .language:       OpenCL C
    .language_version:
      - 2
      - 0
    .max_flat_workgroup_size: 256
    .name:           _ZN9rocsparseL22csrmvn_adaptive_kernelIliddddEEvbT_PKS1_PjPKT0_NS_24const_host_device_scalarIT4_EES3_S7_PKT1_PKT2_SA_PT3_21rocsparse_index_base_b
    .private_segment_fixed_size: 0
    .sgpr_count:     67
    .sgpr_spill_count: 0
    .symbol:         _ZN9rocsparseL22csrmvn_adaptive_kernelIliddddEEvbT_PKS1_PjPKT0_NS_24const_host_device_scalarIT4_EES3_S7_PKT1_PKT2_SA_PT3_21rocsparse_index_base_b.kd
    .uniform_work_group_size: 1
    .uses_dynamic_stack: false
    .vgpr_count:     32
    .vgpr_spill_count: 0
    .wavefront_size: 64
  - .agpr_count:     0
    .args:
      - .offset:         0
        .size:           1
        .value_kind:     by_value
      - .offset:         8
        .size:           8
        .value_kind:     by_value
      - .offset:         16
        .size:           8
        .value_kind:     by_value
      - .actual_access:  read_only
        .address_space:  global
        .offset:         24
        .size:           8
        .value_kind:     global_buffer
      - .offset:         32
        .size:           8
        .value_kind:     by_value
      - .actual_access:  read_only
        .address_space:  global
        .offset:         40
        .size:           8
        .value_kind:     global_buffer
      - .actual_access:  read_only
        .address_space:  global
        .offset:         48
        .size:           8
        .value_kind:     global_buffer
      - .actual_access:  read_only
        .address_space:  global
        .offset:         56
        .size:           8
        .value_kind:     global_buffer
      - .actual_access:  read_only
        .address_space:  global
        .offset:         64
        .size:           8
        .value_kind:     global_buffer
      - .offset:         72
        .size:           8
        .value_kind:     by_value
      - .address_space:  global
        .offset:         80
        .size:           8
        .value_kind:     global_buffer
      - .offset:         88
        .size:           4
        .value_kind:     by_value
      - .offset:         92
        .size:           1
        .value_kind:     by_value
      - .offset:         96
        .size:           4
        .value_kind:     hidden_block_count_x
      - .offset:         100
        .size:           4
        .value_kind:     hidden_block_count_y
      - .offset:         104
        .size:           4
        .value_kind:     hidden_block_count_z
      - .offset:         108
        .size:           2
        .value_kind:     hidden_group_size_x
      - .offset:         110
        .size:           2
        .value_kind:     hidden_group_size_y
      - .offset:         112
        .size:           2
        .value_kind:     hidden_group_size_z
      - .offset:         114
        .size:           2
        .value_kind:     hidden_remainder_x
      - .offset:         116
        .size:           2
        .value_kind:     hidden_remainder_y
      - .offset:         118
        .size:           2
        .value_kind:     hidden_remainder_z
      - .offset:         136
        .size:           8
        .value_kind:     hidden_global_offset_x
      - .offset:         144
        .size:           8
        .value_kind:     hidden_global_offset_y
      - .offset:         152
        .size:           8
        .value_kind:     hidden_global_offset_z
      - .offset:         160
        .size:           2
        .value_kind:     hidden_grid_dims
      - .offset:         216
        .size:           4
        .value_kind:     hidden_dynamic_lds_size
    .group_segment_fixed_size: 8192
    .kernarg_segment_align: 8
    .kernarg_segment_size: 352
    .language:       OpenCL C
    .language_version:
      - 2
      - 0
    .max_flat_workgroup_size: 256
    .name:           _ZN9rocsparseL27csrmvn_symm_adaptive_kernelIliddddEEvbT_S1_PKS1_NS_24const_host_device_scalarIT4_EES3_PKT0_PKT1_PKT2_S6_PT3_21rocsparse_index_base_b
    .private_segment_fixed_size: 0
    .sgpr_count:     56
    .sgpr_spill_count: 0
    .symbol:         _ZN9rocsparseL27csrmvn_symm_adaptive_kernelIliddddEEvbT_S1_PKS1_NS_24const_host_device_scalarIT4_EES3_PKT0_PKT1_PKT2_S6_PT3_21rocsparse_index_base_b.kd
    .uniform_work_group_size: 1
    .uses_dynamic_stack: false
    .vgpr_count:     28
    .vgpr_spill_count: 0
    .wavefront_size: 64
  - .agpr_count:     0
    .args:
      - .offset:         0
        .size:           1
        .value_kind:     by_value
      - .offset:         8
        .size:           8
        .value_kind:     by_value
      - .actual_access:  read_only
        .address_space:  global
        .offset:         16
        .size:           8
        .value_kind:     global_buffer
      - .offset:         24
        .size:           8
        .value_kind:     by_value
      - .actual_access:  read_only
        .address_space:  global
        .offset:         32
        .size:           8
        .value_kind:     global_buffer
      - .actual_access:  read_only
        .address_space:  global
        .offset:         40
        .size:           8
        .value_kind:     global_buffer
      - .actual_access:  read_only
        .address_space:  global
        .offset:         48
        .size:           8
        .value_kind:     global_buffer
      - .actual_access:  read_only
        .address_space:  global
        .offset:         56
        .size:           8
        .value_kind:     global_buffer
      - .offset:         64
        .size:           8
        .value_kind:     by_value
      - .address_space:  global
        .offset:         72
        .size:           8
        .value_kind:     global_buffer
      - .offset:         80
        .size:           4
        .value_kind:     by_value
      - .offset:         84
        .size:           1
        .value_kind:     by_value
    .group_segment_fixed_size: 8192
    .kernarg_segment_align: 8
    .kernarg_segment_size: 88
    .language:       OpenCL C
    .language_version:
      - 2
      - 0
    .max_flat_workgroup_size: 256
    .name:           _ZL33csrmvn_symm_large_adaptive_kernelIliddddEvbT_PKS0_N9rocsparse24const_host_device_scalarIT4_EES2_PKT0_PKT1_PKT2_S6_PT3_21rocsparse_index_base_b
    .private_segment_fixed_size: 0
    .sgpr_count:     50
    .sgpr_spill_count: 0
    .symbol:         _ZL33csrmvn_symm_large_adaptive_kernelIliddddEvbT_PKS0_N9rocsparse24const_host_device_scalarIT4_EES2_PKT0_PKT1_PKT2_S6_PT3_21rocsparse_index_base_b.kd
    .uniform_work_group_size: 1
    .uses_dynamic_stack: false
    .vgpr_count:     20
    .vgpr_spill_count: 0
    .wavefront_size: 64
  - .agpr_count:     0
    .args:
      - .offset:         0
        .size:           1
        .value_kind:     by_value
      - .offset:         8
        .size:           8
        .value_kind:     by_value
      - .actual_access:  read_only
        .address_space:  global
        .offset:         16
        .size:           8
        .value_kind:     global_buffer
      - .address_space:  global
        .offset:         24
        .size:           8
        .value_kind:     global_buffer
      - .actual_access:  read_only
        .address_space:  global
        .offset:         32
        .size:           8
        .value_kind:     global_buffer
      - .offset:         40
        .size:           8
        .value_kind:     by_value
      - .actual_access:  read_only
        .address_space:  global
        .offset:         48
        .size:           8
        .value_kind:     global_buffer
      - .actual_access:  read_only
        .address_space:  global
        .offset:         56
        .size:           8
        .value_kind:     global_buffer
      - .actual_access:  read_only
        .address_space:  global
        .offset:         64
        .size:           8
        .value_kind:     global_buffer
      - .actual_access:  read_only
        .address_space:  global
        .offset:         72
        .size:           8
        .value_kind:     global_buffer
      - .offset:         80
        .size:           8
        .value_kind:     by_value
      - .address_space:  global
        .offset:         88
        .size:           8
        .value_kind:     global_buffer
      - .offset:         96
        .size:           4
        .value_kind:     by_value
      - .offset:         100
        .size:           1
        .value_kind:     by_value
    .group_segment_fixed_size: 8192
    .kernarg_segment_align: 8
    .kernarg_segment_size: 104
    .language:       OpenCL C
    .language_version:
      - 2
      - 0
    .max_flat_workgroup_size: 256
    .name:           _ZN9rocsparseL22csrmvn_adaptive_kernelIllddddEEvbT_PKS1_PjPKT0_NS_24const_host_device_scalarIT4_EES3_S7_PKT1_PKT2_SA_PT3_21rocsparse_index_base_b
    .private_segment_fixed_size: 0
    .sgpr_count:     67
    .sgpr_spill_count: 0
    .symbol:         _ZN9rocsparseL22csrmvn_adaptive_kernelIllddddEEvbT_PKS1_PjPKT0_NS_24const_host_device_scalarIT4_EES3_S7_PKT1_PKT2_SA_PT3_21rocsparse_index_base_b.kd
    .uniform_work_group_size: 1
    .uses_dynamic_stack: false
    .vgpr_count:     29
    .vgpr_spill_count: 0
    .wavefront_size: 64
  - .agpr_count:     0
    .args:
      - .offset:         0
        .size:           8
        .value_kind:     by_value
      - .offset:         8
        .size:           8
        .value_kind:     by_value
      - .offset:         16
        .size:           8
        .value_kind:     by_value
      - .offset:         24
        .size:           8
        .value_kind:     by_value
      - .address_space:  global
        .offset:         32
        .size:           8
        .value_kind:     global_buffer
      - .offset:         40
        .size:           1
        .value_kind:     by_value
    .group_segment_fixed_size: 0
    .kernarg_segment_align: 8
    .kernarg_segment_size: 44
    .language:       OpenCL C
    .language_version:
      - 2
      - 0
    .max_flat_workgroup_size: 256
    .name:           _ZN9rocsparseL22partial_scale_y_kernelIlddEEvT_S1_S1_NS_24const_host_device_scalarIT1_EEPT0_b
    .private_segment_fixed_size: 0
    .sgpr_count:     20
    .sgpr_spill_count: 0
    .symbol:         _ZN9rocsparseL22partial_scale_y_kernelIlddEEvT_S1_S1_NS_24const_host_device_scalarIT1_EEPT0_b.kd
    .uniform_work_group_size: 1
    .uses_dynamic_stack: false
    .vgpr_count:     6
    .vgpr_spill_count: 0
    .wavefront_size: 64
  - .agpr_count:     0
    .args:
      - .offset:         0
        .size:           1
        .value_kind:     by_value
      - .offset:         8
        .size:           8
        .value_kind:     by_value
      - .offset:         16
        .size:           8
        .value_kind:     by_value
      - .actual_access:  read_only
        .address_space:  global
        .offset:         24
        .size:           8
        .value_kind:     global_buffer
      - .offset:         32
        .size:           8
        .value_kind:     by_value
      - .actual_access:  read_only
        .address_space:  global
        .offset:         40
        .size:           8
        .value_kind:     global_buffer
      - .actual_access:  read_only
        .address_space:  global
        .offset:         48
        .size:           8
        .value_kind:     global_buffer
      - .actual_access:  read_only
        .address_space:  global
        .offset:         56
        .size:           8
        .value_kind:     global_buffer
      - .actual_access:  read_only
        .address_space:  global
        .offset:         64
        .size:           8
        .value_kind:     global_buffer
      - .offset:         72
        .size:           8
        .value_kind:     by_value
      - .address_space:  global
        .offset:         80
        .size:           8
        .value_kind:     global_buffer
      - .offset:         88
        .size:           4
        .value_kind:     by_value
      - .offset:         92
        .size:           1
        .value_kind:     by_value
      - .offset:         96
        .size:           4
        .value_kind:     hidden_block_count_x
      - .offset:         100
        .size:           4
        .value_kind:     hidden_block_count_y
      - .offset:         104
        .size:           4
        .value_kind:     hidden_block_count_z
      - .offset:         108
        .size:           2
        .value_kind:     hidden_group_size_x
      - .offset:         110
        .size:           2
        .value_kind:     hidden_group_size_y
      - .offset:         112
        .size:           2
        .value_kind:     hidden_group_size_z
      - .offset:         114
        .size:           2
        .value_kind:     hidden_remainder_x
      - .offset:         116
        .size:           2
        .value_kind:     hidden_remainder_y
      - .offset:         118
        .size:           2
        .value_kind:     hidden_remainder_z
      - .offset:         136
        .size:           8
        .value_kind:     hidden_global_offset_x
      - .offset:         144
        .size:           8
        .value_kind:     hidden_global_offset_y
      - .offset:         152
        .size:           8
        .value_kind:     hidden_global_offset_z
      - .offset:         160
        .size:           2
        .value_kind:     hidden_grid_dims
      - .offset:         216
        .size:           4
        .value_kind:     hidden_dynamic_lds_size
    .group_segment_fixed_size: 8192
    .kernarg_segment_align: 8
    .kernarg_segment_size: 352
    .language:       OpenCL C
    .language_version:
      - 2
      - 0
    .max_flat_workgroup_size: 256
    .name:           _ZN9rocsparseL27csrmvn_symm_adaptive_kernelIllddddEEvbT_S1_PKS1_NS_24const_host_device_scalarIT4_EES3_PKT0_PKT1_PKT2_S6_PT3_21rocsparse_index_base_b
    .private_segment_fixed_size: 0
    .sgpr_count:     56
    .sgpr_spill_count: 0
    .symbol:         _ZN9rocsparseL27csrmvn_symm_adaptive_kernelIllddddEEvbT_S1_PKS1_NS_24const_host_device_scalarIT4_EES3_PKT0_PKT1_PKT2_S6_PT3_21rocsparse_index_base_b.kd
    .uniform_work_group_size: 1
    .uses_dynamic_stack: false
    .vgpr_count:     28
    .vgpr_spill_count: 0
    .wavefront_size: 64
  - .agpr_count:     0
    .args:
      - .offset:         0
        .size:           1
        .value_kind:     by_value
      - .offset:         8
        .size:           8
        .value_kind:     by_value
      - .actual_access:  read_only
        .address_space:  global
        .offset:         16
        .size:           8
        .value_kind:     global_buffer
      - .offset:         24
        .size:           8
        .value_kind:     by_value
      - .actual_access:  read_only
        .address_space:  global
        .offset:         32
        .size:           8
        .value_kind:     global_buffer
      - .actual_access:  read_only
        .address_space:  global
        .offset:         40
        .size:           8
        .value_kind:     global_buffer
      - .actual_access:  read_only
        .address_space:  global
        .offset:         48
        .size:           8
        .value_kind:     global_buffer
      - .actual_access:  read_only
        .address_space:  global
        .offset:         56
        .size:           8
        .value_kind:     global_buffer
      - .offset:         64
        .size:           8
        .value_kind:     by_value
      - .address_space:  global
        .offset:         72
        .size:           8
        .value_kind:     global_buffer
      - .offset:         80
        .size:           4
        .value_kind:     by_value
      - .offset:         84
        .size:           1
        .value_kind:     by_value
    .group_segment_fixed_size: 8192
    .kernarg_segment_align: 8
    .kernarg_segment_size: 88
    .language:       OpenCL C
    .language_version:
      - 2
      - 0
    .max_flat_workgroup_size: 256
    .name:           _ZL33csrmvn_symm_large_adaptive_kernelIllddddEvbT_PKS0_N9rocsparse24const_host_device_scalarIT4_EES2_PKT0_PKT1_PKT2_S6_PT3_21rocsparse_index_base_b
    .private_segment_fixed_size: 0
    .sgpr_count:     50
    .sgpr_spill_count: 0
    .symbol:         _ZL33csrmvn_symm_large_adaptive_kernelIllddddEvbT_PKS0_N9rocsparse24const_host_device_scalarIT4_EES2_PKT0_PKT1_PKT2_S6_PT3_21rocsparse_index_base_b.kd
    .uniform_work_group_size: 1
    .uses_dynamic_stack: false
    .vgpr_count:     20
    .vgpr_spill_count: 0
    .wavefront_size: 64
  - .agpr_count:     0
    .args:
      - .offset:         0
        .size:           1
        .value_kind:     by_value
      - .offset:         4
        .size:           4
        .value_kind:     by_value
      - .actual_access:  read_only
        .address_space:  global
        .offset:         8
        .size:           8
        .value_kind:     global_buffer
      - .address_space:  global
        .offset:         16
        .size:           8
        .value_kind:     global_buffer
      - .actual_access:  read_only
        .address_space:  global
        .offset:         24
        .size:           8
        .value_kind:     global_buffer
      - .offset:         32
        .size:           8
        .value_kind:     by_value
      - .actual_access:  read_only
        .address_space:  global
        .offset:         40
        .size:           8
        .value_kind:     global_buffer
      - .actual_access:  read_only
        .address_space:  global
        .offset:         48
        .size:           8
        .value_kind:     global_buffer
      - .actual_access:  read_only
        .address_space:  global
        .offset:         56
        .size:           8
        .value_kind:     global_buffer
      - .actual_access:  read_only
        .address_space:  global
        .offset:         64
        .size:           8
        .value_kind:     global_buffer
      - .offset:         72
        .size:           8
        .value_kind:     by_value
      - .address_space:  global
        .offset:         80
        .size:           8
        .value_kind:     global_buffer
      - .offset:         88
        .size:           4
        .value_kind:     by_value
      - .offset:         92
        .size:           1
        .value_kind:     by_value
    .group_segment_fixed_size: 8192
    .kernarg_segment_align: 8
    .kernarg_segment_size: 96
    .language:       OpenCL C
    .language_version:
      - 2
      - 0
    .max_flat_workgroup_size: 256
    .name:           _ZN9rocsparseL22csrmvn_adaptive_kernelIii21rocsparse_complex_numIfES2_S2_S2_EEvbT_PKS3_PjPKT0_NS_24const_host_device_scalarIT4_EES5_S9_PKT1_PKT2_SC_PT3_21rocsparse_index_base_b
    .private_segment_fixed_size: 0
    .sgpr_count:     64
    .sgpr_spill_count: 0
    .symbol:         _ZN9rocsparseL22csrmvn_adaptive_kernelIii21rocsparse_complex_numIfES2_S2_S2_EEvbT_PKS3_PjPKT0_NS_24const_host_device_scalarIT4_EES5_S9_PKT1_PKT2_SC_PT3_21rocsparse_index_base_b.kd
    .uniform_work_group_size: 1
    .uses_dynamic_stack: false
    .vgpr_count:     46
    .vgpr_spill_count: 0
    .wavefront_size: 64
  - .agpr_count:     0
    .args:
      - .offset:         0
        .size:           4
        .value_kind:     by_value
      - .offset:         4
        .size:           4
        .value_kind:     by_value
      - .offset:         8
        .size:           4
        .value_kind:     by_value
      - .offset:         16
        .size:           8
        .value_kind:     by_value
      - .address_space:  global
        .offset:         24
        .size:           8
        .value_kind:     global_buffer
      - .offset:         32
        .size:           1
        .value_kind:     by_value
    .group_segment_fixed_size: 0
    .kernarg_segment_align: 8
    .kernarg_segment_size: 36
    .language:       OpenCL C
    .language_version:
      - 2
      - 0
    .max_flat_workgroup_size: 256
    .name:           _ZN9rocsparseL22partial_scale_y_kernelIi21rocsparse_complex_numIfES2_EEvT_S3_S3_NS_24const_host_device_scalarIT1_EEPT0_b
    .private_segment_fixed_size: 0
    .sgpr_count:     16
    .sgpr_spill_count: 0
    .symbol:         _ZN9rocsparseL22partial_scale_y_kernelIi21rocsparse_complex_numIfES2_EEvT_S3_S3_NS_24const_host_device_scalarIT1_EEPT0_b.kd
    .uniform_work_group_size: 1
    .uses_dynamic_stack: false
    .vgpr_count:     8
    .vgpr_spill_count: 0
    .wavefront_size: 64
  - .agpr_count:     0
    .args:
      - .offset:         0
        .size:           1
        .value_kind:     by_value
      - .offset:         4
        .size:           4
        .value_kind:     by_value
      - .offset:         8
        .size:           4
        .value_kind:     by_value
      - .actual_access:  read_only
        .address_space:  global
        .offset:         16
        .size:           8
        .value_kind:     global_buffer
      - .offset:         24
        .size:           8
        .value_kind:     by_value
      - .actual_access:  read_only
        .address_space:  global
        .offset:         32
        .size:           8
        .value_kind:     global_buffer
      - .actual_access:  read_only
        .address_space:  global
        .offset:         40
        .size:           8
        .value_kind:     global_buffer
      - .actual_access:  read_only
        .address_space:  global
        .offset:         48
        .size:           8
        .value_kind:     global_buffer
      - .actual_access:  read_only
        .address_space:  global
        .offset:         56
        .size:           8
        .value_kind:     global_buffer
      - .offset:         64
        .size:           8
        .value_kind:     by_value
      - .address_space:  global
        .offset:         72
        .size:           8
        .value_kind:     global_buffer
      - .offset:         80
        .size:           4
        .value_kind:     by_value
      - .offset:         84
        .size:           1
        .value_kind:     by_value
      - .offset:         88
        .size:           4
        .value_kind:     hidden_block_count_x
      - .offset:         92
        .size:           4
        .value_kind:     hidden_block_count_y
      - .offset:         96
        .size:           4
        .value_kind:     hidden_block_count_z
      - .offset:         100
        .size:           2
        .value_kind:     hidden_group_size_x
      - .offset:         102
        .size:           2
        .value_kind:     hidden_group_size_y
      - .offset:         104
        .size:           2
        .value_kind:     hidden_group_size_z
      - .offset:         106
        .size:           2
        .value_kind:     hidden_remainder_x
      - .offset:         108
        .size:           2
        .value_kind:     hidden_remainder_y
      - .offset:         110
        .size:           2
        .value_kind:     hidden_remainder_z
      - .offset:         128
        .size:           8
        .value_kind:     hidden_global_offset_x
      - .offset:         136
        .size:           8
        .value_kind:     hidden_global_offset_y
      - .offset:         144
        .size:           8
        .value_kind:     hidden_global_offset_z
      - .offset:         152
        .size:           2
        .value_kind:     hidden_grid_dims
      - .offset:         208
        .size:           4
        .value_kind:     hidden_dynamic_lds_size
    .group_segment_fixed_size: 8192
    .kernarg_segment_align: 8
    .kernarg_segment_size: 344
    .language:       OpenCL C
    .language_version:
      - 2
      - 0
    .max_flat_workgroup_size: 256
    .name:           _ZN9rocsparseL27csrmvn_symm_adaptive_kernelIii21rocsparse_complex_numIfES2_S2_S2_EEvbT_S3_PKS3_NS_24const_host_device_scalarIT4_EES5_PKT0_PKT1_PKT2_S8_PT3_21rocsparse_index_base_b
    .private_segment_fixed_size: 0
    .sgpr_count:     53
    .sgpr_spill_count: 0
    .symbol:         _ZN9rocsparseL27csrmvn_symm_adaptive_kernelIii21rocsparse_complex_numIfES2_S2_S2_EEvbT_S3_PKS3_NS_24const_host_device_scalarIT4_EES5_PKT0_PKT1_PKT2_S8_PT3_21rocsparse_index_base_b.kd
    .uniform_work_group_size: 1
    .uses_dynamic_stack: false
    .vgpr_count:     56
    .vgpr_spill_count: 0
    .wavefront_size: 64
  - .agpr_count:     0
    .args:
      - .offset:         0
        .size:           1
        .value_kind:     by_value
      - .offset:         4
        .size:           4
        .value_kind:     by_value
      - .actual_access:  read_only
        .address_space:  global
        .offset:         8
        .size:           8
        .value_kind:     global_buffer
      - .offset:         16
        .size:           8
        .value_kind:     by_value
      - .actual_access:  read_only
        .address_space:  global
        .offset:         24
        .size:           8
        .value_kind:     global_buffer
      - .actual_access:  read_only
        .address_space:  global
        .offset:         32
        .size:           8
        .value_kind:     global_buffer
      - .actual_access:  read_only
        .address_space:  global
        .offset:         40
        .size:           8
        .value_kind:     global_buffer
      - .actual_access:  read_only
        .address_space:  global
        .offset:         48
        .size:           8
        .value_kind:     global_buffer
      - .offset:         56
        .size:           8
        .value_kind:     by_value
      - .address_space:  global
        .offset:         64
        .size:           8
        .value_kind:     global_buffer
      - .offset:         72
        .size:           4
        .value_kind:     by_value
      - .offset:         76
        .size:           1
        .value_kind:     by_value
    .group_segment_fixed_size: 8192
    .kernarg_segment_align: 8
    .kernarg_segment_size: 80
    .language:       OpenCL C
    .language_version:
      - 2
      - 0
    .max_flat_workgroup_size: 256
    .name:           _ZL33csrmvn_symm_large_adaptive_kernelIii21rocsparse_complex_numIfES1_S1_S1_EvbT_PKS2_N9rocsparse24const_host_device_scalarIT4_EES4_PKT0_PKT1_PKT2_S8_PT3_21rocsparse_index_base_b
    .private_segment_fixed_size: 0
    .sgpr_count:     47
    .sgpr_spill_count: 0
    .symbol:         _ZL33csrmvn_symm_large_adaptive_kernelIii21rocsparse_complex_numIfES1_S1_S1_EvbT_PKS2_N9rocsparse24const_host_device_scalarIT4_EES4_PKT0_PKT1_PKT2_S8_PT3_21rocsparse_index_base_b.kd
    .uniform_work_group_size: 1
    .uses_dynamic_stack: false
    .vgpr_count:     20
    .vgpr_spill_count: 0
    .wavefront_size: 64
  - .agpr_count:     0
    .args:
      - .offset:         0
        .size:           1
        .value_kind:     by_value
      - .offset:         8
        .size:           8
        .value_kind:     by_value
      - .actual_access:  read_only
        .address_space:  global
        .offset:         16
        .size:           8
        .value_kind:     global_buffer
      - .address_space:  global
        .offset:         24
        .size:           8
        .value_kind:     global_buffer
      - .actual_access:  read_only
        .address_space:  global
        .offset:         32
        .size:           8
        .value_kind:     global_buffer
      - .offset:         40
        .size:           8
        .value_kind:     by_value
      - .actual_access:  read_only
        .address_space:  global
        .offset:         48
        .size:           8
        .value_kind:     global_buffer
      - .actual_access:  read_only
        .address_space:  global
        .offset:         56
        .size:           8
        .value_kind:     global_buffer
      - .actual_access:  read_only
        .address_space:  global
        .offset:         64
        .size:           8
        .value_kind:     global_buffer
      - .actual_access:  read_only
        .address_space:  global
        .offset:         72
        .size:           8
        .value_kind:     global_buffer
      - .offset:         80
        .size:           8
        .value_kind:     by_value
      - .address_space:  global
        .offset:         88
        .size:           8
        .value_kind:     global_buffer
      - .offset:         96
        .size:           4
        .value_kind:     by_value
      - .offset:         100
        .size:           1
        .value_kind:     by_value
    .group_segment_fixed_size: 8192
    .kernarg_segment_align: 8
    .kernarg_segment_size: 104
    .language:       OpenCL C
    .language_version:
      - 2
      - 0
    .max_flat_workgroup_size: 256
    .name:           _ZN9rocsparseL22csrmvn_adaptive_kernelIli21rocsparse_complex_numIfES2_S2_S2_EEvbT_PKS3_PjPKT0_NS_24const_host_device_scalarIT4_EES5_S9_PKT1_PKT2_SC_PT3_21rocsparse_index_base_b
    .private_segment_fixed_size: 0
    .sgpr_count:     71
    .sgpr_spill_count: 0
    .symbol:         _ZN9rocsparseL22csrmvn_adaptive_kernelIli21rocsparse_complex_numIfES2_S2_S2_EEvbT_PKS3_PjPKT0_NS_24const_host_device_scalarIT4_EES5_S9_PKT1_PKT2_SC_PT3_21rocsparse_index_base_b.kd
    .uniform_work_group_size: 1
    .uses_dynamic_stack: false
    .vgpr_count:     39
    .vgpr_spill_count: 0
    .wavefront_size: 64
  - .agpr_count:     0
    .args:
      - .offset:         0
        .size:           1
        .value_kind:     by_value
      - .offset:         8
        .size:           8
        .value_kind:     by_value
      - .offset:         16
        .size:           8
        .value_kind:     by_value
      - .actual_access:  read_only
        .address_space:  global
        .offset:         24
        .size:           8
        .value_kind:     global_buffer
      - .offset:         32
        .size:           8
        .value_kind:     by_value
      - .actual_access:  read_only
        .address_space:  global
        .offset:         40
        .size:           8
        .value_kind:     global_buffer
      - .actual_access:  read_only
        .address_space:  global
        .offset:         48
        .size:           8
        .value_kind:     global_buffer
      - .actual_access:  read_only
        .address_space:  global
        .offset:         56
        .size:           8
        .value_kind:     global_buffer
      - .actual_access:  read_only
        .address_space:  global
        .offset:         64
        .size:           8
        .value_kind:     global_buffer
      - .offset:         72
        .size:           8
        .value_kind:     by_value
      - .address_space:  global
        .offset:         80
        .size:           8
        .value_kind:     global_buffer
      - .offset:         88
        .size:           4
        .value_kind:     by_value
      - .offset:         92
        .size:           1
        .value_kind:     by_value
      - .offset:         96
        .size:           4
        .value_kind:     hidden_block_count_x
      - .offset:         100
        .size:           4
        .value_kind:     hidden_block_count_y
      - .offset:         104
        .size:           4
        .value_kind:     hidden_block_count_z
      - .offset:         108
        .size:           2
        .value_kind:     hidden_group_size_x
      - .offset:         110
        .size:           2
        .value_kind:     hidden_group_size_y
      - .offset:         112
        .size:           2
        .value_kind:     hidden_group_size_z
      - .offset:         114
        .size:           2
        .value_kind:     hidden_remainder_x
      - .offset:         116
        .size:           2
        .value_kind:     hidden_remainder_y
      - .offset:         118
        .size:           2
        .value_kind:     hidden_remainder_z
      - .offset:         136
        .size:           8
        .value_kind:     hidden_global_offset_x
      - .offset:         144
        .size:           8
        .value_kind:     hidden_global_offset_y
      - .offset:         152
        .size:           8
        .value_kind:     hidden_global_offset_z
      - .offset:         160
        .size:           2
        .value_kind:     hidden_grid_dims
      - .offset:         216
        .size:           4
        .value_kind:     hidden_dynamic_lds_size
    .group_segment_fixed_size: 8192
    .kernarg_segment_align: 8
    .kernarg_segment_size: 352
    .language:       OpenCL C
    .language_version:
      - 2
      - 0
    .max_flat_workgroup_size: 256
    .name:           _ZN9rocsparseL27csrmvn_symm_adaptive_kernelIli21rocsparse_complex_numIfES2_S2_S2_EEvbT_S3_PKS3_NS_24const_host_device_scalarIT4_EES5_PKT0_PKT1_PKT2_S8_PT3_21rocsparse_index_base_b
    .private_segment_fixed_size: 0
    .sgpr_count:     58
    .sgpr_spill_count: 0
    .symbol:         _ZN9rocsparseL27csrmvn_symm_adaptive_kernelIli21rocsparse_complex_numIfES2_S2_S2_EEvbT_S3_PKS3_NS_24const_host_device_scalarIT4_EES5_PKT0_PKT1_PKT2_S8_PT3_21rocsparse_index_base_b.kd
    .uniform_work_group_size: 1
    .uses_dynamic_stack: false
    .vgpr_count:     36
    .vgpr_spill_count: 0
    .wavefront_size: 64
  - .agpr_count:     0
    .args:
      - .offset:         0
        .size:           1
        .value_kind:     by_value
      - .offset:         8
        .size:           8
        .value_kind:     by_value
      - .actual_access:  read_only
        .address_space:  global
        .offset:         16
        .size:           8
        .value_kind:     global_buffer
      - .offset:         24
        .size:           8
        .value_kind:     by_value
      - .actual_access:  read_only
        .address_space:  global
        .offset:         32
        .size:           8
        .value_kind:     global_buffer
      - .actual_access:  read_only
        .address_space:  global
        .offset:         40
        .size:           8
        .value_kind:     global_buffer
      - .actual_access:  read_only
        .address_space:  global
        .offset:         48
        .size:           8
        .value_kind:     global_buffer
      - .actual_access:  read_only
        .address_space:  global
        .offset:         56
        .size:           8
        .value_kind:     global_buffer
      - .offset:         64
        .size:           8
        .value_kind:     by_value
      - .address_space:  global
        .offset:         72
        .size:           8
        .value_kind:     global_buffer
      - .offset:         80
        .size:           4
        .value_kind:     by_value
      - .offset:         84
        .size:           1
        .value_kind:     by_value
    .group_segment_fixed_size: 8192
    .kernarg_segment_align: 8
    .kernarg_segment_size: 88
    .language:       OpenCL C
    .language_version:
      - 2
      - 0
    .max_flat_workgroup_size: 256
    .name:           _ZL33csrmvn_symm_large_adaptive_kernelIli21rocsparse_complex_numIfES1_S1_S1_EvbT_PKS2_N9rocsparse24const_host_device_scalarIT4_EES4_PKT0_PKT1_PKT2_S8_PT3_21rocsparse_index_base_b
    .private_segment_fixed_size: 0
    .sgpr_count:     54
    .sgpr_spill_count: 0
    .symbol:         _ZL33csrmvn_symm_large_adaptive_kernelIli21rocsparse_complex_numIfES1_S1_S1_EvbT_PKS2_N9rocsparse24const_host_device_scalarIT4_EES4_PKT0_PKT1_PKT2_S8_PT3_21rocsparse_index_base_b.kd
    .uniform_work_group_size: 1
    .uses_dynamic_stack: false
    .vgpr_count:     22
    .vgpr_spill_count: 0
    .wavefront_size: 64
  - .agpr_count:     0
    .args:
      - .offset:         0
        .size:           1
        .value_kind:     by_value
      - .offset:         8
        .size:           8
        .value_kind:     by_value
      - .actual_access:  read_only
        .address_space:  global
        .offset:         16
        .size:           8
        .value_kind:     global_buffer
      - .address_space:  global
        .offset:         24
        .size:           8
        .value_kind:     global_buffer
      - .actual_access:  read_only
        .address_space:  global
        .offset:         32
        .size:           8
        .value_kind:     global_buffer
      - .offset:         40
        .size:           8
        .value_kind:     by_value
      - .actual_access:  read_only
        .address_space:  global
        .offset:         48
        .size:           8
        .value_kind:     global_buffer
      - .actual_access:  read_only
        .address_space:  global
        .offset:         56
        .size:           8
        .value_kind:     global_buffer
      - .actual_access:  read_only
        .address_space:  global
        .offset:         64
        .size:           8
        .value_kind:     global_buffer
      - .actual_access:  read_only
        .address_space:  global
        .offset:         72
        .size:           8
        .value_kind:     global_buffer
      - .offset:         80
        .size:           8
        .value_kind:     by_value
      - .address_space:  global
        .offset:         88
        .size:           8
        .value_kind:     global_buffer
      - .offset:         96
        .size:           4
        .value_kind:     by_value
      - .offset:         100
        .size:           1
        .value_kind:     by_value
    .group_segment_fixed_size: 8192
    .kernarg_segment_align: 8
    .kernarg_segment_size: 104
    .language:       OpenCL C
    .language_version:
      - 2
      - 0
    .max_flat_workgroup_size: 256
    .name:           _ZN9rocsparseL22csrmvn_adaptive_kernelIll21rocsparse_complex_numIfES2_S2_S2_EEvbT_PKS3_PjPKT0_NS_24const_host_device_scalarIT4_EES5_S9_PKT1_PKT2_SC_PT3_21rocsparse_index_base_b
    .private_segment_fixed_size: 0
    .sgpr_count:     71
    .sgpr_spill_count: 0
    .symbol:         _ZN9rocsparseL22csrmvn_adaptive_kernelIll21rocsparse_complex_numIfES2_S2_S2_EEvbT_PKS3_PjPKT0_NS_24const_host_device_scalarIT4_EES5_S9_PKT1_PKT2_SC_PT3_21rocsparse_index_base_b.kd
    .uniform_work_group_size: 1
    .uses_dynamic_stack: false
    .vgpr_count:     34
    .vgpr_spill_count: 0
    .wavefront_size: 64
  - .agpr_count:     0
    .args:
      - .offset:         0
        .size:           8
        .value_kind:     by_value
      - .offset:         8
        .size:           8
        .value_kind:     by_value
      - .offset:         16
        .size:           8
        .value_kind:     by_value
      - .offset:         24
        .size:           8
        .value_kind:     by_value
      - .address_space:  global
        .offset:         32
        .size:           8
        .value_kind:     global_buffer
      - .offset:         40
        .size:           1
        .value_kind:     by_value
    .group_segment_fixed_size: 0
    .kernarg_segment_align: 8
    .kernarg_segment_size: 44
    .language:       OpenCL C
    .language_version:
      - 2
      - 0
    .max_flat_workgroup_size: 256
    .name:           _ZN9rocsparseL22partial_scale_y_kernelIl21rocsparse_complex_numIfES2_EEvT_S3_S3_NS_24const_host_device_scalarIT1_EEPT0_b
    .private_segment_fixed_size: 0
    .sgpr_count:     22
    .sgpr_spill_count: 0
    .symbol:         _ZN9rocsparseL22partial_scale_y_kernelIl21rocsparse_complex_numIfES2_EEvT_S3_S3_NS_24const_host_device_scalarIT1_EEPT0_b.kd
    .uniform_work_group_size: 1
    .uses_dynamic_stack: false
    .vgpr_count:     8
    .vgpr_spill_count: 0
    .wavefront_size: 64
  - .agpr_count:     0
    .args:
      - .offset:         0
        .size:           1
        .value_kind:     by_value
      - .offset:         8
        .size:           8
        .value_kind:     by_value
      - .offset:         16
        .size:           8
        .value_kind:     by_value
      - .actual_access:  read_only
        .address_space:  global
        .offset:         24
        .size:           8
        .value_kind:     global_buffer
      - .offset:         32
        .size:           8
        .value_kind:     by_value
      - .actual_access:  read_only
        .address_space:  global
        .offset:         40
        .size:           8
        .value_kind:     global_buffer
      - .actual_access:  read_only
        .address_space:  global
        .offset:         48
        .size:           8
        .value_kind:     global_buffer
      - .actual_access:  read_only
        .address_space:  global
        .offset:         56
        .size:           8
        .value_kind:     global_buffer
      - .actual_access:  read_only
        .address_space:  global
        .offset:         64
        .size:           8
        .value_kind:     global_buffer
      - .offset:         72
        .size:           8
        .value_kind:     by_value
      - .address_space:  global
        .offset:         80
        .size:           8
        .value_kind:     global_buffer
      - .offset:         88
        .size:           4
        .value_kind:     by_value
      - .offset:         92
        .size:           1
        .value_kind:     by_value
      - .offset:         96
        .size:           4
        .value_kind:     hidden_block_count_x
      - .offset:         100
        .size:           4
        .value_kind:     hidden_block_count_y
      - .offset:         104
        .size:           4
        .value_kind:     hidden_block_count_z
      - .offset:         108
        .size:           2
        .value_kind:     hidden_group_size_x
      - .offset:         110
        .size:           2
        .value_kind:     hidden_group_size_y
      - .offset:         112
        .size:           2
        .value_kind:     hidden_group_size_z
      - .offset:         114
        .size:           2
        .value_kind:     hidden_remainder_x
      - .offset:         116
        .size:           2
        .value_kind:     hidden_remainder_y
      - .offset:         118
        .size:           2
        .value_kind:     hidden_remainder_z
      - .offset:         136
        .size:           8
        .value_kind:     hidden_global_offset_x
      - .offset:         144
        .size:           8
        .value_kind:     hidden_global_offset_y
      - .offset:         152
        .size:           8
        .value_kind:     hidden_global_offset_z
      - .offset:         160
        .size:           2
        .value_kind:     hidden_grid_dims
      - .offset:         216
        .size:           4
        .value_kind:     hidden_dynamic_lds_size
    .group_segment_fixed_size: 8192
    .kernarg_segment_align: 8
    .kernarg_segment_size: 352
    .language:       OpenCL C
    .language_version:
      - 2
      - 0
    .max_flat_workgroup_size: 256
    .name:           _ZN9rocsparseL27csrmvn_symm_adaptive_kernelIll21rocsparse_complex_numIfES2_S2_S2_EEvbT_S3_PKS3_NS_24const_host_device_scalarIT4_EES5_PKT0_PKT1_PKT2_S8_PT3_21rocsparse_index_base_b
    .private_segment_fixed_size: 0
    .sgpr_count:     58
    .sgpr_spill_count: 0
    .symbol:         _ZN9rocsparseL27csrmvn_symm_adaptive_kernelIll21rocsparse_complex_numIfES2_S2_S2_EEvbT_S3_PKS3_NS_24const_host_device_scalarIT4_EES5_PKT0_PKT1_PKT2_S8_PT3_21rocsparse_index_base_b.kd
    .uniform_work_group_size: 1
    .uses_dynamic_stack: false
    .vgpr_count:     36
    .vgpr_spill_count: 0
    .wavefront_size: 64
  - .agpr_count:     0
    .args:
      - .offset:         0
        .size:           1
        .value_kind:     by_value
      - .offset:         8
        .size:           8
        .value_kind:     by_value
      - .actual_access:  read_only
        .address_space:  global
        .offset:         16
        .size:           8
        .value_kind:     global_buffer
      - .offset:         24
        .size:           8
        .value_kind:     by_value
      - .actual_access:  read_only
        .address_space:  global
        .offset:         32
        .size:           8
        .value_kind:     global_buffer
      - .actual_access:  read_only
        .address_space:  global
        .offset:         40
        .size:           8
        .value_kind:     global_buffer
      - .actual_access:  read_only
        .address_space:  global
        .offset:         48
        .size:           8
        .value_kind:     global_buffer
      - .actual_access:  read_only
        .address_space:  global
        .offset:         56
        .size:           8
        .value_kind:     global_buffer
      - .offset:         64
        .size:           8
        .value_kind:     by_value
      - .address_space:  global
        .offset:         72
        .size:           8
        .value_kind:     global_buffer
      - .offset:         80
        .size:           4
        .value_kind:     by_value
      - .offset:         84
        .size:           1
        .value_kind:     by_value
    .group_segment_fixed_size: 8192
    .kernarg_segment_align: 8
    .kernarg_segment_size: 88
    .language:       OpenCL C
    .language_version:
      - 2
      - 0
    .max_flat_workgroup_size: 256
    .name:           _ZL33csrmvn_symm_large_adaptive_kernelIll21rocsparse_complex_numIfES1_S1_S1_EvbT_PKS2_N9rocsparse24const_host_device_scalarIT4_EES4_PKT0_PKT1_PKT2_S8_PT3_21rocsparse_index_base_b
    .private_segment_fixed_size: 0
    .sgpr_count:     54
    .sgpr_spill_count: 0
    .symbol:         _ZL33csrmvn_symm_large_adaptive_kernelIll21rocsparse_complex_numIfES1_S1_S1_EvbT_PKS2_N9rocsparse24const_host_device_scalarIT4_EES4_PKT0_PKT1_PKT2_S8_PT3_21rocsparse_index_base_b.kd
    .uniform_work_group_size: 1
    .uses_dynamic_stack: false
    .vgpr_count:     22
    .vgpr_spill_count: 0
    .wavefront_size: 64
  - .agpr_count:     0
    .args:
      - .offset:         0
        .size:           1
        .value_kind:     by_value
      - .offset:         4
        .size:           4
        .value_kind:     by_value
      - .actual_access:  read_only
        .address_space:  global
        .offset:         8
        .size:           8
        .value_kind:     global_buffer
      - .address_space:  global
        .offset:         16
        .size:           8
        .value_kind:     global_buffer
      - .actual_access:  read_only
        .address_space:  global
        .offset:         24
        .size:           8
        .value_kind:     global_buffer
      - .offset:         32
        .size:           16
        .value_kind:     by_value
      - .actual_access:  read_only
        .address_space:  global
        .offset:         48
        .size:           8
        .value_kind:     global_buffer
      - .actual_access:  read_only
        .address_space:  global
        .offset:         56
        .size:           8
        .value_kind:     global_buffer
      - .actual_access:  read_only
        .address_space:  global
        .offset:         64
        .size:           8
        .value_kind:     global_buffer
      - .actual_access:  read_only
        .address_space:  global
        .offset:         72
        .size:           8
        .value_kind:     global_buffer
      - .offset:         80
        .size:           16
        .value_kind:     by_value
      - .address_space:  global
        .offset:         96
        .size:           8
        .value_kind:     global_buffer
      - .offset:         104
        .size:           4
        .value_kind:     by_value
      - .offset:         108
        .size:           1
        .value_kind:     by_value
    .group_segment_fixed_size: 16384
    .kernarg_segment_align: 8
    .kernarg_segment_size: 112
    .language:       OpenCL C
    .language_version:
      - 2
      - 0
    .max_flat_workgroup_size: 256
    .name:           _ZN9rocsparseL22csrmvn_adaptive_kernelIii21rocsparse_complex_numIdES2_S2_S2_EEvbT_PKS3_PjPKT0_NS_24const_host_device_scalarIT4_EES5_S9_PKT1_PKT2_SC_PT3_21rocsparse_index_base_b
    .private_segment_fixed_size: 24
    .sgpr_count:     70
    .sgpr_spill_count: 0
    .symbol:         _ZN9rocsparseL22csrmvn_adaptive_kernelIii21rocsparse_complex_numIdES2_S2_S2_EEvbT_PKS3_PjPKT0_NS_24const_host_device_scalarIT4_EES5_S9_PKT1_PKT2_SC_PT3_21rocsparse_index_base_b.kd
    .uniform_work_group_size: 1
    .uses_dynamic_stack: false
    .vgpr_count:     58
    .vgpr_spill_count: 0
    .wavefront_size: 64
  - .agpr_count:     0
    .args:
      - .offset:         0
        .size:           4
        .value_kind:     by_value
      - .offset:         4
        .size:           4
        .value_kind:     by_value
      - .offset:         8
        .size:           4
        .value_kind:     by_value
      - .offset:         16
        .size:           16
        .value_kind:     by_value
      - .address_space:  global
        .offset:         32
        .size:           8
        .value_kind:     global_buffer
      - .offset:         40
        .size:           1
        .value_kind:     by_value
    .group_segment_fixed_size: 2048
    .kernarg_segment_align: 8
    .kernarg_segment_size: 44
    .language:       OpenCL C
    .language_version:
      - 2
      - 0
    .max_flat_workgroup_size: 256
    .name:           _ZN9rocsparseL22partial_scale_y_kernelIi21rocsparse_complex_numIdES2_EEvT_S3_S3_NS_24const_host_device_scalarIT1_EEPT0_b
    .private_segment_fixed_size: 0
    .sgpr_count:     20
    .sgpr_spill_count: 0
    .symbol:         _ZN9rocsparseL22partial_scale_y_kernelIi21rocsparse_complex_numIdES2_EEvT_S3_S3_NS_24const_host_device_scalarIT1_EEPT0_b.kd
    .uniform_work_group_size: 1
    .uses_dynamic_stack: false
    .vgpr_count:     14
    .vgpr_spill_count: 0
    .wavefront_size: 64
  - .agpr_count:     0
    .args:
      - .offset:         0
        .size:           1
        .value_kind:     by_value
      - .offset:         4
        .size:           4
        .value_kind:     by_value
      - .offset:         8
        .size:           4
        .value_kind:     by_value
      - .actual_access:  read_only
        .address_space:  global
        .offset:         16
        .size:           8
        .value_kind:     global_buffer
      - .offset:         24
        .size:           16
        .value_kind:     by_value
      - .actual_access:  read_only
        .address_space:  global
        .offset:         40
        .size:           8
        .value_kind:     global_buffer
      - .actual_access:  read_only
        .address_space:  global
        .offset:         48
        .size:           8
        .value_kind:     global_buffer
      - .actual_access:  read_only
        .address_space:  global
        .offset:         56
        .size:           8
        .value_kind:     global_buffer
      - .actual_access:  read_only
        .address_space:  global
        .offset:         64
        .size:           8
        .value_kind:     global_buffer
      - .offset:         72
        .size:           16
        .value_kind:     by_value
      - .address_space:  global
        .offset:         88
        .size:           8
        .value_kind:     global_buffer
      - .offset:         96
        .size:           4
        .value_kind:     by_value
      - .offset:         100
        .size:           1
        .value_kind:     by_value
      - .offset:         104
        .size:           4
        .value_kind:     hidden_block_count_x
      - .offset:         108
        .size:           4
        .value_kind:     hidden_block_count_y
      - .offset:         112
        .size:           4
        .value_kind:     hidden_block_count_z
      - .offset:         116
        .size:           2
        .value_kind:     hidden_group_size_x
      - .offset:         118
        .size:           2
        .value_kind:     hidden_group_size_y
      - .offset:         120
        .size:           2
        .value_kind:     hidden_group_size_z
      - .offset:         122
        .size:           2
        .value_kind:     hidden_remainder_x
      - .offset:         124
        .size:           2
        .value_kind:     hidden_remainder_y
      - .offset:         126
        .size:           2
        .value_kind:     hidden_remainder_z
      - .offset:         144
        .size:           8
        .value_kind:     hidden_global_offset_x
      - .offset:         152
        .size:           8
        .value_kind:     hidden_global_offset_y
      - .offset:         160
        .size:           8
        .value_kind:     hidden_global_offset_z
      - .offset:         168
        .size:           2
        .value_kind:     hidden_grid_dims
      - .offset:         224
        .size:           4
        .value_kind:     hidden_dynamic_lds_size
    .group_segment_fixed_size: 16384
    .kernarg_segment_align: 8
    .kernarg_segment_size: 360
    .language:       OpenCL C
    .language_version:
      - 2
      - 0
    .max_flat_workgroup_size: 256
    .name:           _ZN9rocsparseL27csrmvn_symm_adaptive_kernelIii21rocsparse_complex_numIdES2_S2_S2_EEvbT_S3_PKS3_NS_24const_host_device_scalarIT4_EES5_PKT0_PKT1_PKT2_S8_PT3_21rocsparse_index_base_b
    .private_segment_fixed_size: 24
    .sgpr_count:     60
    .sgpr_spill_count: 0
    .symbol:         _ZN9rocsparseL27csrmvn_symm_adaptive_kernelIii21rocsparse_complex_numIdES2_S2_S2_EEvbT_S3_PKS3_NS_24const_host_device_scalarIT4_EES5_PKT0_PKT1_PKT2_S8_PT3_21rocsparse_index_base_b.kd
    .uniform_work_group_size: 1
    .uses_dynamic_stack: false
    .vgpr_count:     44
    .vgpr_spill_count: 0
    .wavefront_size: 64
  - .agpr_count:     0
    .args:
      - .offset:         0
        .size:           1
        .value_kind:     by_value
      - .offset:         4
        .size:           4
        .value_kind:     by_value
      - .actual_access:  read_only
        .address_space:  global
        .offset:         8
        .size:           8
        .value_kind:     global_buffer
      - .offset:         16
        .size:           16
        .value_kind:     by_value
      - .actual_access:  read_only
        .address_space:  global
        .offset:         32
        .size:           8
        .value_kind:     global_buffer
      - .actual_access:  read_only
        .address_space:  global
        .offset:         40
        .size:           8
        .value_kind:     global_buffer
      - .actual_access:  read_only
        .address_space:  global
        .offset:         48
        .size:           8
        .value_kind:     global_buffer
      - .actual_access:  read_only
        .address_space:  global
        .offset:         56
        .size:           8
        .value_kind:     global_buffer
      - .offset:         64
        .size:           16
        .value_kind:     by_value
      - .address_space:  global
        .offset:         80
        .size:           8
        .value_kind:     global_buffer
      - .offset:         88
        .size:           4
        .value_kind:     by_value
      - .offset:         92
        .size:           1
        .value_kind:     by_value
    .group_segment_fixed_size: 16384
    .kernarg_segment_align: 8
    .kernarg_segment_size: 96
    .language:       OpenCL C
    .language_version:
      - 2
      - 0
    .max_flat_workgroup_size: 256
    .name:           _ZL33csrmvn_symm_large_adaptive_kernelIii21rocsparse_complex_numIdES1_S1_S1_EvbT_PKS2_N9rocsparse24const_host_device_scalarIT4_EES4_PKT0_PKT1_PKT2_S8_PT3_21rocsparse_index_base_b
    .private_segment_fixed_size: 24
    .sgpr_count:     54
    .sgpr_spill_count: 0
    .symbol:         _ZL33csrmvn_symm_large_adaptive_kernelIii21rocsparse_complex_numIdES1_S1_S1_EvbT_PKS2_N9rocsparse24const_host_device_scalarIT4_EES4_PKT0_PKT1_PKT2_S8_PT3_21rocsparse_index_base_b.kd
    .uniform_work_group_size: 1
    .uses_dynamic_stack: false
    .vgpr_count:     28
    .vgpr_spill_count: 0
    .wavefront_size: 64
  - .agpr_count:     0
    .args:
      - .offset:         0
        .size:           1
        .value_kind:     by_value
      - .offset:         8
        .size:           8
        .value_kind:     by_value
      - .actual_access:  read_only
        .address_space:  global
        .offset:         16
        .size:           8
        .value_kind:     global_buffer
      - .address_space:  global
        .offset:         24
        .size:           8
        .value_kind:     global_buffer
      - .actual_access:  read_only
        .address_space:  global
        .offset:         32
        .size:           8
        .value_kind:     global_buffer
      - .offset:         40
        .size:           16
        .value_kind:     by_value
      - .actual_access:  read_only
        .address_space:  global
        .offset:         56
        .size:           8
        .value_kind:     global_buffer
      - .actual_access:  read_only
        .address_space:  global
        .offset:         64
        .size:           8
        .value_kind:     global_buffer
      - .actual_access:  read_only
        .address_space:  global
        .offset:         72
        .size:           8
        .value_kind:     global_buffer
      - .actual_access:  read_only
        .address_space:  global
        .offset:         80
        .size:           8
        .value_kind:     global_buffer
      - .offset:         88
        .size:           16
        .value_kind:     by_value
      - .address_space:  global
        .offset:         104
        .size:           8
        .value_kind:     global_buffer
      - .offset:         112
        .size:           4
        .value_kind:     by_value
      - .offset:         116
        .size:           1
        .value_kind:     by_value
    .group_segment_fixed_size: 16384
    .kernarg_segment_align: 8
    .kernarg_segment_size: 120
    .language:       OpenCL C
    .language_version:
      - 2
      - 0
    .max_flat_workgroup_size: 256
    .name:           _ZN9rocsparseL22csrmvn_adaptive_kernelIli21rocsparse_complex_numIdES2_S2_S2_EEvbT_PKS3_PjPKT0_NS_24const_host_device_scalarIT4_EES5_S9_PKT1_PKT2_SC_PT3_21rocsparse_index_base_b
    .private_segment_fixed_size: 24
    .sgpr_count:     73
    .sgpr_spill_count: 0
    .symbol:         _ZN9rocsparseL22csrmvn_adaptive_kernelIli21rocsparse_complex_numIdES2_S2_S2_EEvbT_PKS3_PjPKT0_NS_24const_host_device_scalarIT4_EES5_S9_PKT1_PKT2_SC_PT3_21rocsparse_index_base_b.kd
    .uniform_work_group_size: 1
    .uses_dynamic_stack: false
    .vgpr_count:     58
    .vgpr_spill_count: 0
    .wavefront_size: 64
  - .agpr_count:     0
    .args:
      - .offset:         0
        .size:           1
        .value_kind:     by_value
      - .offset:         8
        .size:           8
        .value_kind:     by_value
      - .offset:         16
        .size:           8
        .value_kind:     by_value
      - .actual_access:  read_only
        .address_space:  global
        .offset:         24
        .size:           8
        .value_kind:     global_buffer
      - .offset:         32
        .size:           16
        .value_kind:     by_value
      - .actual_access:  read_only
        .address_space:  global
        .offset:         48
        .size:           8
        .value_kind:     global_buffer
      - .actual_access:  read_only
        .address_space:  global
        .offset:         56
        .size:           8
        .value_kind:     global_buffer
      - .actual_access:  read_only
        .address_space:  global
        .offset:         64
        .size:           8
        .value_kind:     global_buffer
      - .actual_access:  read_only
        .address_space:  global
        .offset:         72
        .size:           8
        .value_kind:     global_buffer
      - .offset:         80
        .size:           16
        .value_kind:     by_value
      - .address_space:  global
        .offset:         96
        .size:           8
        .value_kind:     global_buffer
      - .offset:         104
        .size:           4
        .value_kind:     by_value
      - .offset:         108
        .size:           1
        .value_kind:     by_value
      - .offset:         112
        .size:           4
        .value_kind:     hidden_block_count_x
      - .offset:         116
        .size:           4
        .value_kind:     hidden_block_count_y
      - .offset:         120
        .size:           4
        .value_kind:     hidden_block_count_z
      - .offset:         124
        .size:           2
        .value_kind:     hidden_group_size_x
      - .offset:         126
        .size:           2
        .value_kind:     hidden_group_size_y
      - .offset:         128
        .size:           2
        .value_kind:     hidden_group_size_z
      - .offset:         130
        .size:           2
        .value_kind:     hidden_remainder_x
      - .offset:         132
        .size:           2
        .value_kind:     hidden_remainder_y
      - .offset:         134
        .size:           2
        .value_kind:     hidden_remainder_z
      - .offset:         152
        .size:           8
        .value_kind:     hidden_global_offset_x
      - .offset:         160
        .size:           8
        .value_kind:     hidden_global_offset_y
      - .offset:         168
        .size:           8
        .value_kind:     hidden_global_offset_z
      - .offset:         176
        .size:           2
        .value_kind:     hidden_grid_dims
      - .offset:         232
        .size:           4
        .value_kind:     hidden_dynamic_lds_size
    .group_segment_fixed_size: 16384
    .kernarg_segment_align: 8
    .kernarg_segment_size: 368
    .language:       OpenCL C
    .language_version:
      - 2
      - 0
    .max_flat_workgroup_size: 256
    .name:           _ZN9rocsparseL27csrmvn_symm_adaptive_kernelIli21rocsparse_complex_numIdES2_S2_S2_EEvbT_S3_PKS3_NS_24const_host_device_scalarIT4_EES5_PKT0_PKT1_PKT2_S8_PT3_21rocsparse_index_base_b
    .private_segment_fixed_size: 24
    .sgpr_count:     64
    .sgpr_spill_count: 0
    .symbol:         _ZN9rocsparseL27csrmvn_symm_adaptive_kernelIli21rocsparse_complex_numIdES2_S2_S2_EEvbT_S3_PKS3_NS_24const_host_device_scalarIT4_EES5_PKT0_PKT1_PKT2_S8_PT3_21rocsparse_index_base_b.kd
    .uniform_work_group_size: 1
    .uses_dynamic_stack: false
    .vgpr_count:     44
    .vgpr_spill_count: 0
    .wavefront_size: 64
  - .agpr_count:     0
    .args:
      - .offset:         0
        .size:           1
        .value_kind:     by_value
      - .offset:         8
        .size:           8
        .value_kind:     by_value
      - .actual_access:  read_only
        .address_space:  global
        .offset:         16
        .size:           8
        .value_kind:     global_buffer
      - .offset:         24
        .size:           16
        .value_kind:     by_value
      - .actual_access:  read_only
        .address_space:  global
        .offset:         40
        .size:           8
        .value_kind:     global_buffer
      - .actual_access:  read_only
        .address_space:  global
        .offset:         48
        .size:           8
        .value_kind:     global_buffer
      - .actual_access:  read_only
        .address_space:  global
        .offset:         56
        .size:           8
        .value_kind:     global_buffer
      - .actual_access:  read_only
        .address_space:  global
        .offset:         64
        .size:           8
        .value_kind:     global_buffer
      - .offset:         72
        .size:           16
        .value_kind:     by_value
      - .address_space:  global
        .offset:         88
        .size:           8
        .value_kind:     global_buffer
      - .offset:         96
        .size:           4
        .value_kind:     by_value
      - .offset:         100
        .size:           1
        .value_kind:     by_value
    .group_segment_fixed_size: 16384
    .kernarg_segment_align: 8
    .kernarg_segment_size: 104
    .language:       OpenCL C
    .language_version:
      - 2
      - 0
    .max_flat_workgroup_size: 256
    .name:           _ZL33csrmvn_symm_large_adaptive_kernelIli21rocsparse_complex_numIdES1_S1_S1_EvbT_PKS2_N9rocsparse24const_host_device_scalarIT4_EES4_PKT0_PKT1_PKT2_S8_PT3_21rocsparse_index_base_b
    .private_segment_fixed_size: 24
    .sgpr_count:     60
    .sgpr_spill_count: 0
    .symbol:         _ZL33csrmvn_symm_large_adaptive_kernelIli21rocsparse_complex_numIdES1_S1_S1_EvbT_PKS2_N9rocsparse24const_host_device_scalarIT4_EES4_PKT0_PKT1_PKT2_S8_PT3_21rocsparse_index_base_b.kd
    .uniform_work_group_size: 1
    .uses_dynamic_stack: false
    .vgpr_count:     30
    .vgpr_spill_count: 0
    .wavefront_size: 64
  - .agpr_count:     0
    .args:
      - .offset:         0
        .size:           1
        .value_kind:     by_value
      - .offset:         8
        .size:           8
        .value_kind:     by_value
      - .actual_access:  read_only
        .address_space:  global
        .offset:         16
        .size:           8
        .value_kind:     global_buffer
      - .address_space:  global
        .offset:         24
        .size:           8
        .value_kind:     global_buffer
      - .actual_access:  read_only
        .address_space:  global
        .offset:         32
        .size:           8
        .value_kind:     global_buffer
      - .offset:         40
        .size:           16
        .value_kind:     by_value
      - .actual_access:  read_only
        .address_space:  global
        .offset:         56
        .size:           8
        .value_kind:     global_buffer
      - .actual_access:  read_only
        .address_space:  global
        .offset:         64
        .size:           8
        .value_kind:     global_buffer
      - .actual_access:  read_only
        .address_space:  global
        .offset:         72
        .size:           8
        .value_kind:     global_buffer
      - .actual_access:  read_only
        .address_space:  global
        .offset:         80
        .size:           8
        .value_kind:     global_buffer
      - .offset:         88
        .size:           16
        .value_kind:     by_value
      - .address_space:  global
        .offset:         104
        .size:           8
        .value_kind:     global_buffer
      - .offset:         112
        .size:           4
        .value_kind:     by_value
      - .offset:         116
        .size:           1
        .value_kind:     by_value
    .group_segment_fixed_size: 16384
    .kernarg_segment_align: 8
    .kernarg_segment_size: 120
    .language:       OpenCL C
    .language_version:
      - 2
      - 0
    .max_flat_workgroup_size: 256
    .name:           _ZN9rocsparseL22csrmvn_adaptive_kernelIll21rocsparse_complex_numIdES2_S2_S2_EEvbT_PKS3_PjPKT0_NS_24const_host_device_scalarIT4_EES5_S9_PKT1_PKT2_SC_PT3_21rocsparse_index_base_b
    .private_segment_fixed_size: 24
    .sgpr_count:     73
    .sgpr_spill_count: 0
    .symbol:         _ZN9rocsparseL22csrmvn_adaptive_kernelIll21rocsparse_complex_numIdES2_S2_S2_EEvbT_PKS3_PjPKT0_NS_24const_host_device_scalarIT4_EES5_S9_PKT1_PKT2_SC_PT3_21rocsparse_index_base_b.kd
    .uniform_work_group_size: 1
    .uses_dynamic_stack: false
    .vgpr_count:     58
    .vgpr_spill_count: 0
    .wavefront_size: 64
  - .agpr_count:     0
    .args:
      - .offset:         0
        .size:           8
        .value_kind:     by_value
      - .offset:         8
        .size:           8
        .value_kind:     by_value
      - .offset:         16
        .size:           8
        .value_kind:     by_value
      - .offset:         24
        .size:           16
        .value_kind:     by_value
      - .address_space:  global
        .offset:         40
        .size:           8
        .value_kind:     global_buffer
      - .offset:         48
        .size:           1
        .value_kind:     by_value
    .group_segment_fixed_size: 2048
    .kernarg_segment_align: 8
    .kernarg_segment_size: 52
    .language:       OpenCL C
    .language_version:
      - 2
      - 0
    .max_flat_workgroup_size: 256
    .name:           _ZN9rocsparseL22partial_scale_y_kernelIl21rocsparse_complex_numIdES2_EEvT_S3_S3_NS_24const_host_device_scalarIT1_EEPT0_b
    .private_segment_fixed_size: 0
    .sgpr_count:     24
    .sgpr_spill_count: 0
    .symbol:         _ZN9rocsparseL22partial_scale_y_kernelIl21rocsparse_complex_numIdES2_EEvT_S3_S3_NS_24const_host_device_scalarIT1_EEPT0_b.kd
    .uniform_work_group_size: 1
    .uses_dynamic_stack: false
    .vgpr_count:     14
    .vgpr_spill_count: 0
    .wavefront_size: 64
  - .agpr_count:     0
    .args:
      - .offset:         0
        .size:           1
        .value_kind:     by_value
      - .offset:         8
        .size:           8
        .value_kind:     by_value
      - .offset:         16
        .size:           8
        .value_kind:     by_value
      - .actual_access:  read_only
        .address_space:  global
        .offset:         24
        .size:           8
        .value_kind:     global_buffer
      - .offset:         32
        .size:           16
        .value_kind:     by_value
      - .actual_access:  read_only
        .address_space:  global
        .offset:         48
        .size:           8
        .value_kind:     global_buffer
      - .actual_access:  read_only
        .address_space:  global
        .offset:         56
        .size:           8
        .value_kind:     global_buffer
      - .actual_access:  read_only
        .address_space:  global
        .offset:         64
        .size:           8
        .value_kind:     global_buffer
      - .actual_access:  read_only
        .address_space:  global
        .offset:         72
        .size:           8
        .value_kind:     global_buffer
      - .offset:         80
        .size:           16
        .value_kind:     by_value
      - .address_space:  global
        .offset:         96
        .size:           8
        .value_kind:     global_buffer
      - .offset:         104
        .size:           4
        .value_kind:     by_value
      - .offset:         108
        .size:           1
        .value_kind:     by_value
      - .offset:         112
        .size:           4
        .value_kind:     hidden_block_count_x
      - .offset:         116
        .size:           4
        .value_kind:     hidden_block_count_y
      - .offset:         120
        .size:           4
        .value_kind:     hidden_block_count_z
      - .offset:         124
        .size:           2
        .value_kind:     hidden_group_size_x
      - .offset:         126
        .size:           2
        .value_kind:     hidden_group_size_y
      - .offset:         128
        .size:           2
        .value_kind:     hidden_group_size_z
      - .offset:         130
        .size:           2
        .value_kind:     hidden_remainder_x
      - .offset:         132
        .size:           2
        .value_kind:     hidden_remainder_y
      - .offset:         134
        .size:           2
        .value_kind:     hidden_remainder_z
      - .offset:         152
        .size:           8
        .value_kind:     hidden_global_offset_x
      - .offset:         160
        .size:           8
        .value_kind:     hidden_global_offset_y
      - .offset:         168
        .size:           8
        .value_kind:     hidden_global_offset_z
      - .offset:         176
        .size:           2
        .value_kind:     hidden_grid_dims
      - .offset:         232
        .size:           4
        .value_kind:     hidden_dynamic_lds_size
    .group_segment_fixed_size: 16384
    .kernarg_segment_align: 8
    .kernarg_segment_size: 368
    .language:       OpenCL C
    .language_version:
      - 2
      - 0
    .max_flat_workgroup_size: 256
    .name:           _ZN9rocsparseL27csrmvn_symm_adaptive_kernelIll21rocsparse_complex_numIdES2_S2_S2_EEvbT_S3_PKS3_NS_24const_host_device_scalarIT4_EES5_PKT0_PKT1_PKT2_S8_PT3_21rocsparse_index_base_b
    .private_segment_fixed_size: 24
    .sgpr_count:     64
    .sgpr_spill_count: 0
    .symbol:         _ZN9rocsparseL27csrmvn_symm_adaptive_kernelIll21rocsparse_complex_numIdES2_S2_S2_EEvbT_S3_PKS3_NS_24const_host_device_scalarIT4_EES5_PKT0_PKT1_PKT2_S8_PT3_21rocsparse_index_base_b.kd
    .uniform_work_group_size: 1
    .uses_dynamic_stack: false
    .vgpr_count:     44
    .vgpr_spill_count: 0
    .wavefront_size: 64
  - .agpr_count:     0
    .args:
      - .offset:         0
        .size:           1
        .value_kind:     by_value
      - .offset:         8
        .size:           8
        .value_kind:     by_value
      - .actual_access:  read_only
        .address_space:  global
        .offset:         16
        .size:           8
        .value_kind:     global_buffer
      - .offset:         24
        .size:           16
        .value_kind:     by_value
      - .actual_access:  read_only
        .address_space:  global
        .offset:         40
        .size:           8
        .value_kind:     global_buffer
      - .actual_access:  read_only
        .address_space:  global
        .offset:         48
        .size:           8
        .value_kind:     global_buffer
      - .actual_access:  read_only
        .address_space:  global
        .offset:         56
        .size:           8
        .value_kind:     global_buffer
      - .actual_access:  read_only
        .address_space:  global
        .offset:         64
        .size:           8
        .value_kind:     global_buffer
      - .offset:         72
        .size:           16
        .value_kind:     by_value
      - .address_space:  global
        .offset:         88
        .size:           8
        .value_kind:     global_buffer
      - .offset:         96
        .size:           4
        .value_kind:     by_value
      - .offset:         100
        .size:           1
        .value_kind:     by_value
    .group_segment_fixed_size: 16384
    .kernarg_segment_align: 8
    .kernarg_segment_size: 104
    .language:       OpenCL C
    .language_version:
      - 2
      - 0
    .max_flat_workgroup_size: 256
    .name:           _ZL33csrmvn_symm_large_adaptive_kernelIll21rocsparse_complex_numIdES1_S1_S1_EvbT_PKS2_N9rocsparse24const_host_device_scalarIT4_EES4_PKT0_PKT1_PKT2_S8_PT3_21rocsparse_index_base_b
    .private_segment_fixed_size: 24
    .sgpr_count:     60
    .sgpr_spill_count: 0
    .symbol:         _ZL33csrmvn_symm_large_adaptive_kernelIll21rocsparse_complex_numIdES1_S1_S1_EvbT_PKS2_N9rocsparse24const_host_device_scalarIT4_EES4_PKT0_PKT1_PKT2_S8_PT3_21rocsparse_index_base_b.kd
    .uniform_work_group_size: 1
    .uses_dynamic_stack: false
    .vgpr_count:     30
    .vgpr_spill_count: 0
    .wavefront_size: 64
  - .agpr_count:     0
    .args:
      - .offset:         0
        .size:           1
        .value_kind:     by_value
      - .offset:         4
        .size:           4
        .value_kind:     by_value
      - .actual_access:  read_only
        .address_space:  global
        .offset:         8
        .size:           8
        .value_kind:     global_buffer
      - .address_space:  global
        .offset:         16
        .size:           8
        .value_kind:     global_buffer
      - .actual_access:  read_only
        .address_space:  global
        .offset:         24
        .size:           8
        .value_kind:     global_buffer
      - .offset:         32
        .size:           8
        .value_kind:     by_value
      - .actual_access:  read_only
        .address_space:  global
        .offset:         40
        .size:           8
        .value_kind:     global_buffer
      - .actual_access:  read_only
        .address_space:  global
        .offset:         48
        .size:           8
        .value_kind:     global_buffer
      - .actual_access:  read_only
        .address_space:  global
        .offset:         56
        .size:           8
        .value_kind:     global_buffer
      - .actual_access:  read_only
        .address_space:  global
        .offset:         64
        .size:           8
        .value_kind:     global_buffer
      - .offset:         72
        .size:           8
        .value_kind:     by_value
      - .address_space:  global
        .offset:         80
        .size:           8
        .value_kind:     global_buffer
      - .offset:         88
        .size:           4
        .value_kind:     by_value
      - .offset:         92
        .size:           1
        .value_kind:     by_value
    .group_segment_fixed_size: 4096
    .kernarg_segment_align: 8
    .kernarg_segment_size: 96
    .language:       OpenCL C
    .language_version:
      - 2
      - 0
    .max_flat_workgroup_size: 256
    .name:           _ZN9rocsparseL22csrmvn_adaptive_kernelIiiaaiiEEvbT_PKS1_PjPKT0_NS_24const_host_device_scalarIT4_EES3_S7_PKT1_PKT2_SA_PT3_21rocsparse_index_base_b
    .private_segment_fixed_size: 0
    .sgpr_count:     68
    .sgpr_spill_count: 0
    .symbol:         _ZN9rocsparseL22csrmvn_adaptive_kernelIiiaaiiEEvbT_PKS1_PjPKT0_NS_24const_host_device_scalarIT4_EES3_S7_PKT1_PKT2_SA_PT3_21rocsparse_index_base_b.kd
    .uniform_work_group_size: 1
    .uses_dynamic_stack: false
    .vgpr_count:     32
    .vgpr_spill_count: 0
    .wavefront_size: 64
  - .agpr_count:     0
    .args:
      - .offset:         0
        .size:           4
        .value_kind:     by_value
      - .offset:         4
        .size:           4
        .value_kind:     by_value
      - .offset:         8
        .size:           4
        .value_kind:     by_value
      - .offset:         16
        .size:           8
        .value_kind:     by_value
      - .address_space:  global
        .offset:         24
        .size:           8
        .value_kind:     global_buffer
      - .offset:         32
        .size:           1
        .value_kind:     by_value
    .group_segment_fixed_size: 0
    .kernarg_segment_align: 8
    .kernarg_segment_size: 36
    .language:       OpenCL C
    .language_version:
      - 2
      - 0
    .max_flat_workgroup_size: 256
    .name:           _ZN9rocsparseL22partial_scale_y_kernelIiiiEEvT_S1_S1_NS_24const_host_device_scalarIT1_EEPT0_b
    .private_segment_fixed_size: 0
    .sgpr_count:     15
    .sgpr_spill_count: 0
    .symbol:         _ZN9rocsparseL22partial_scale_y_kernelIiiiEEvT_S1_S1_NS_24const_host_device_scalarIT1_EEPT0_b.kd
    .uniform_work_group_size: 1
    .uses_dynamic_stack: false
    .vgpr_count:     4
    .vgpr_spill_count: 0
    .wavefront_size: 64
  - .agpr_count:     0
    .args:
      - .offset:         0
        .size:           1
        .value_kind:     by_value
      - .offset:         4
        .size:           4
        .value_kind:     by_value
      - .offset:         8
        .size:           4
        .value_kind:     by_value
      - .actual_access:  read_only
        .address_space:  global
        .offset:         16
        .size:           8
        .value_kind:     global_buffer
      - .offset:         24
        .size:           8
        .value_kind:     by_value
      - .actual_access:  read_only
        .address_space:  global
        .offset:         32
        .size:           8
        .value_kind:     global_buffer
      - .actual_access:  read_only
        .address_space:  global
        .offset:         40
        .size:           8
        .value_kind:     global_buffer
      - .actual_access:  read_only
        .address_space:  global
        .offset:         48
        .size:           8
        .value_kind:     global_buffer
      - .actual_access:  read_only
        .address_space:  global
        .offset:         56
        .size:           8
        .value_kind:     global_buffer
      - .offset:         64
        .size:           8
        .value_kind:     by_value
      - .address_space:  global
        .offset:         72
        .size:           8
        .value_kind:     global_buffer
      - .offset:         80
        .size:           4
        .value_kind:     by_value
      - .offset:         84
        .size:           1
        .value_kind:     by_value
      - .offset:         88
        .size:           4
        .value_kind:     hidden_block_count_x
      - .offset:         92
        .size:           4
        .value_kind:     hidden_block_count_y
      - .offset:         96
        .size:           4
        .value_kind:     hidden_block_count_z
      - .offset:         100
        .size:           2
        .value_kind:     hidden_group_size_x
      - .offset:         102
        .size:           2
        .value_kind:     hidden_group_size_y
      - .offset:         104
        .size:           2
        .value_kind:     hidden_group_size_z
      - .offset:         106
        .size:           2
        .value_kind:     hidden_remainder_x
      - .offset:         108
        .size:           2
        .value_kind:     hidden_remainder_y
      - .offset:         110
        .size:           2
        .value_kind:     hidden_remainder_z
      - .offset:         128
        .size:           8
        .value_kind:     hidden_global_offset_x
      - .offset:         136
        .size:           8
        .value_kind:     hidden_global_offset_y
      - .offset:         144
        .size:           8
        .value_kind:     hidden_global_offset_z
      - .offset:         152
        .size:           2
        .value_kind:     hidden_grid_dims
      - .offset:         208
        .size:           4
        .value_kind:     hidden_dynamic_lds_size
    .group_segment_fixed_size: 4096
    .kernarg_segment_align: 8
    .kernarg_segment_size: 344
    .language:       OpenCL C
    .language_version:
      - 2
      - 0
    .max_flat_workgroup_size: 256
    .name:           _ZN9rocsparseL27csrmvn_symm_adaptive_kernelIiiaaiiEEvbT_S1_PKS1_NS_24const_host_device_scalarIT4_EES3_PKT0_PKT1_PKT2_S6_PT3_21rocsparse_index_base_b
    .private_segment_fixed_size: 0
    .sgpr_count:     62
    .sgpr_spill_count: 0
    .symbol:         _ZN9rocsparseL27csrmvn_symm_adaptive_kernelIiiaaiiEEvbT_S1_PKS1_NS_24const_host_device_scalarIT4_EES3_PKT0_PKT1_PKT2_S6_PT3_21rocsparse_index_base_b.kd
    .uniform_work_group_size: 1
    .uses_dynamic_stack: false
    .vgpr_count:     34
    .vgpr_spill_count: 0
    .wavefront_size: 64
  - .agpr_count:     0
    .args:
      - .offset:         0
        .size:           1
        .value_kind:     by_value
      - .offset:         4
        .size:           4
        .value_kind:     by_value
      - .actual_access:  read_only
        .address_space:  global
        .offset:         8
        .size:           8
        .value_kind:     global_buffer
      - .offset:         16
        .size:           8
        .value_kind:     by_value
      - .actual_access:  read_only
        .address_space:  global
        .offset:         24
        .size:           8
        .value_kind:     global_buffer
      - .actual_access:  read_only
        .address_space:  global
        .offset:         32
        .size:           8
        .value_kind:     global_buffer
      - .actual_access:  read_only
        .address_space:  global
        .offset:         40
        .size:           8
        .value_kind:     global_buffer
      - .actual_access:  read_only
        .address_space:  global
        .offset:         48
        .size:           8
        .value_kind:     global_buffer
      - .offset:         56
        .size:           8
        .value_kind:     by_value
      - .address_space:  global
        .offset:         64
        .size:           8
        .value_kind:     global_buffer
      - .offset:         72
        .size:           4
        .value_kind:     by_value
      - .offset:         76
        .size:           1
        .value_kind:     by_value
    .group_segment_fixed_size: 4096
    .kernarg_segment_align: 8
    .kernarg_segment_size: 80
    .language:       OpenCL C
    .language_version:
      - 2
      - 0
    .max_flat_workgroup_size: 256
    .name:           _ZL33csrmvn_symm_large_adaptive_kernelIiiaaiiEvbT_PKS0_N9rocsparse24const_host_device_scalarIT4_EES2_PKT0_PKT1_PKT2_S6_PT3_21rocsparse_index_base_b
    .private_segment_fixed_size: 0
    .sgpr_count:     47
    .sgpr_spill_count: 0
    .symbol:         _ZL33csrmvn_symm_large_adaptive_kernelIiiaaiiEvbT_PKS0_N9rocsparse24const_host_device_scalarIT4_EES2_PKT0_PKT1_PKT2_S6_PT3_21rocsparse_index_base_b.kd
    .uniform_work_group_size: 1
    .uses_dynamic_stack: false
    .vgpr_count:     25
    .vgpr_spill_count: 0
    .wavefront_size: 64
  - .agpr_count:     0
    .args:
      - .offset:         0
        .size:           1
        .value_kind:     by_value
      - .offset:         8
        .size:           8
        .value_kind:     by_value
      - .actual_access:  read_only
        .address_space:  global
        .offset:         16
        .size:           8
        .value_kind:     global_buffer
      - .address_space:  global
        .offset:         24
        .size:           8
        .value_kind:     global_buffer
      - .actual_access:  read_only
        .address_space:  global
        .offset:         32
        .size:           8
        .value_kind:     global_buffer
      - .offset:         40
        .size:           8
        .value_kind:     by_value
      - .actual_access:  read_only
        .address_space:  global
        .offset:         48
        .size:           8
        .value_kind:     global_buffer
      - .actual_access:  read_only
        .address_space:  global
        .offset:         56
        .size:           8
        .value_kind:     global_buffer
      - .actual_access:  read_only
        .address_space:  global
        .offset:         64
        .size:           8
        .value_kind:     global_buffer
      - .actual_access:  read_only
        .address_space:  global
        .offset:         72
        .size:           8
        .value_kind:     global_buffer
      - .offset:         80
        .size:           8
        .value_kind:     by_value
      - .address_space:  global
        .offset:         88
        .size:           8
        .value_kind:     global_buffer
      - .offset:         96
        .size:           4
        .value_kind:     by_value
      - .offset:         100
        .size:           1
        .value_kind:     by_value
    .group_segment_fixed_size: 4096
    .kernarg_segment_align: 8
    .kernarg_segment_size: 104
    .language:       OpenCL C
    .language_version:
      - 2
      - 0
    .max_flat_workgroup_size: 256
    .name:           _ZN9rocsparseL22csrmvn_adaptive_kernelIliaaiiEEvbT_PKS1_PjPKT0_NS_24const_host_device_scalarIT4_EES3_S7_PKT1_PKT2_SA_PT3_21rocsparse_index_base_b
    .private_segment_fixed_size: 0
    .sgpr_count:     72
    .sgpr_spill_count: 0
    .symbol:         _ZN9rocsparseL22csrmvn_adaptive_kernelIliaaiiEEvbT_PKS1_PjPKT0_NS_24const_host_device_scalarIT4_EES3_S7_PKT1_PKT2_SA_PT3_21rocsparse_index_base_b.kd
    .uniform_work_group_size: 1
    .uses_dynamic_stack: false
    .vgpr_count:     34
    .vgpr_spill_count: 0
    .wavefront_size: 64
  - .agpr_count:     0
    .args:
      - .offset:         0
        .size:           1
        .value_kind:     by_value
      - .offset:         8
        .size:           8
        .value_kind:     by_value
      - .offset:         16
        .size:           8
        .value_kind:     by_value
      - .actual_access:  read_only
        .address_space:  global
        .offset:         24
        .size:           8
        .value_kind:     global_buffer
      - .offset:         32
        .size:           8
        .value_kind:     by_value
      - .actual_access:  read_only
        .address_space:  global
        .offset:         40
        .size:           8
        .value_kind:     global_buffer
      - .actual_access:  read_only
        .address_space:  global
        .offset:         48
        .size:           8
        .value_kind:     global_buffer
      - .actual_access:  read_only
        .address_space:  global
        .offset:         56
        .size:           8
        .value_kind:     global_buffer
      - .actual_access:  read_only
        .address_space:  global
        .offset:         64
        .size:           8
        .value_kind:     global_buffer
      - .offset:         72
        .size:           8
        .value_kind:     by_value
      - .address_space:  global
        .offset:         80
        .size:           8
        .value_kind:     global_buffer
      - .offset:         88
        .size:           4
        .value_kind:     by_value
      - .offset:         92
        .size:           1
        .value_kind:     by_value
      - .offset:         96
        .size:           4
        .value_kind:     hidden_block_count_x
      - .offset:         100
        .size:           4
        .value_kind:     hidden_block_count_y
      - .offset:         104
        .size:           4
        .value_kind:     hidden_block_count_z
      - .offset:         108
        .size:           2
        .value_kind:     hidden_group_size_x
      - .offset:         110
        .size:           2
        .value_kind:     hidden_group_size_y
      - .offset:         112
        .size:           2
        .value_kind:     hidden_group_size_z
      - .offset:         114
        .size:           2
        .value_kind:     hidden_remainder_x
      - .offset:         116
        .size:           2
        .value_kind:     hidden_remainder_y
      - .offset:         118
        .size:           2
        .value_kind:     hidden_remainder_z
      - .offset:         136
        .size:           8
        .value_kind:     hidden_global_offset_x
      - .offset:         144
        .size:           8
        .value_kind:     hidden_global_offset_y
      - .offset:         152
        .size:           8
        .value_kind:     hidden_global_offset_z
      - .offset:         160
        .size:           2
        .value_kind:     hidden_grid_dims
      - .offset:         216
        .size:           4
        .value_kind:     hidden_dynamic_lds_size
    .group_segment_fixed_size: 4096
    .kernarg_segment_align: 8
    .kernarg_segment_size: 352
    .language:       OpenCL C
    .language_version:
      - 2
      - 0
    .max_flat_workgroup_size: 256
    .name:           _ZN9rocsparseL27csrmvn_symm_adaptive_kernelIliaaiiEEvbT_S1_PKS1_NS_24const_host_device_scalarIT4_EES3_PKT0_PKT1_PKT2_S6_PT3_21rocsparse_index_base_b
    .private_segment_fixed_size: 0
    .sgpr_count:     60
    .sgpr_spill_count: 0
    .symbol:         _ZN9rocsparseL27csrmvn_symm_adaptive_kernelIliaaiiEEvbT_S1_PKS1_NS_24const_host_device_scalarIT4_EES3_PKT0_PKT1_PKT2_S6_PT3_21rocsparse_index_base_b.kd
    .uniform_work_group_size: 1
    .uses_dynamic_stack: false
    .vgpr_count:     32
    .vgpr_spill_count: 0
    .wavefront_size: 64
  - .agpr_count:     0
    .args:
      - .offset:         0
        .size:           1
        .value_kind:     by_value
      - .offset:         8
        .size:           8
        .value_kind:     by_value
      - .actual_access:  read_only
        .address_space:  global
        .offset:         16
        .size:           8
        .value_kind:     global_buffer
      - .offset:         24
        .size:           8
        .value_kind:     by_value
      - .actual_access:  read_only
        .address_space:  global
        .offset:         32
        .size:           8
        .value_kind:     global_buffer
      - .actual_access:  read_only
        .address_space:  global
        .offset:         40
        .size:           8
        .value_kind:     global_buffer
      - .actual_access:  read_only
        .address_space:  global
        .offset:         48
        .size:           8
        .value_kind:     global_buffer
      - .actual_access:  read_only
        .address_space:  global
        .offset:         56
        .size:           8
        .value_kind:     global_buffer
      - .offset:         64
        .size:           8
        .value_kind:     by_value
      - .address_space:  global
        .offset:         72
        .size:           8
        .value_kind:     global_buffer
      - .offset:         80
        .size:           4
        .value_kind:     by_value
      - .offset:         84
        .size:           1
        .value_kind:     by_value
    .group_segment_fixed_size: 4096
    .kernarg_segment_align: 8
    .kernarg_segment_size: 88
    .language:       OpenCL C
    .language_version:
      - 2
      - 0
    .max_flat_workgroup_size: 256
    .name:           _ZL33csrmvn_symm_large_adaptive_kernelIliaaiiEvbT_PKS0_N9rocsparse24const_host_device_scalarIT4_EES2_PKT0_PKT1_PKT2_S6_PT3_21rocsparse_index_base_b
    .private_segment_fixed_size: 0
    .sgpr_count:     56
    .sgpr_spill_count: 0
    .symbol:         _ZL33csrmvn_symm_large_adaptive_kernelIliaaiiEvbT_PKS0_N9rocsparse24const_host_device_scalarIT4_EES2_PKT0_PKT1_PKT2_S6_PT3_21rocsparse_index_base_b.kd
    .uniform_work_group_size: 1
    .uses_dynamic_stack: false
    .vgpr_count:     32
    .vgpr_spill_count: 0
    .wavefront_size: 64
  - .agpr_count:     0
    .args:
      - .offset:         0
        .size:           1
        .value_kind:     by_value
      - .offset:         8
        .size:           8
        .value_kind:     by_value
      - .actual_access:  read_only
        .address_space:  global
        .offset:         16
        .size:           8
        .value_kind:     global_buffer
      - .address_space:  global
        .offset:         24
        .size:           8
        .value_kind:     global_buffer
      - .actual_access:  read_only
        .address_space:  global
        .offset:         32
        .size:           8
        .value_kind:     global_buffer
      - .offset:         40
        .size:           8
        .value_kind:     by_value
      - .actual_access:  read_only
        .address_space:  global
        .offset:         48
        .size:           8
        .value_kind:     global_buffer
      - .actual_access:  read_only
        .address_space:  global
        .offset:         56
        .size:           8
        .value_kind:     global_buffer
      - .actual_access:  read_only
        .address_space:  global
        .offset:         64
        .size:           8
        .value_kind:     global_buffer
      - .actual_access:  read_only
        .address_space:  global
        .offset:         72
        .size:           8
        .value_kind:     global_buffer
      - .offset:         80
        .size:           8
        .value_kind:     by_value
      - .address_space:  global
        .offset:         88
        .size:           8
        .value_kind:     global_buffer
      - .offset:         96
        .size:           4
        .value_kind:     by_value
      - .offset:         100
        .size:           1
        .value_kind:     by_value
    .group_segment_fixed_size: 4096
    .kernarg_segment_align: 8
    .kernarg_segment_size: 104
    .language:       OpenCL C
    .language_version:
      - 2
      - 0
    .max_flat_workgroup_size: 256
    .name:           _ZN9rocsparseL22csrmvn_adaptive_kernelIllaaiiEEvbT_PKS1_PjPKT0_NS_24const_host_device_scalarIT4_EES3_S7_PKT1_PKT2_SA_PT3_21rocsparse_index_base_b
    .private_segment_fixed_size: 0
    .sgpr_count:     66
    .sgpr_spill_count: 0
    .symbol:         _ZN9rocsparseL22csrmvn_adaptive_kernelIllaaiiEEvbT_PKS1_PjPKT0_NS_24const_host_device_scalarIT4_EES3_S7_PKT1_PKT2_SA_PT3_21rocsparse_index_base_b.kd
    .uniform_work_group_size: 1
    .uses_dynamic_stack: false
    .vgpr_count:     20
    .vgpr_spill_count: 0
    .wavefront_size: 64
  - .agpr_count:     0
    .args:
      - .offset:         0
        .size:           8
        .value_kind:     by_value
      - .offset:         8
        .size:           8
        .value_kind:     by_value
      - .offset:         16
        .size:           8
        .value_kind:     by_value
      - .offset:         24
        .size:           8
        .value_kind:     by_value
      - .address_space:  global
        .offset:         32
        .size:           8
        .value_kind:     global_buffer
      - .offset:         40
        .size:           1
        .value_kind:     by_value
    .group_segment_fixed_size: 0
    .kernarg_segment_align: 8
    .kernarg_segment_size: 44
    .language:       OpenCL C
    .language_version:
      - 2
      - 0
    .max_flat_workgroup_size: 256
    .name:           _ZN9rocsparseL22partial_scale_y_kernelIliiEEvT_S1_S1_NS_24const_host_device_scalarIT1_EEPT0_b
    .private_segment_fixed_size: 0
    .sgpr_count:     20
    .sgpr_spill_count: 0
    .symbol:         _ZN9rocsparseL22partial_scale_y_kernelIliiEEvT_S1_S1_NS_24const_host_device_scalarIT1_EEPT0_b.kd
    .uniform_work_group_size: 1
    .uses_dynamic_stack: false
    .vgpr_count:     4
    .vgpr_spill_count: 0
    .wavefront_size: 64
  - .agpr_count:     0
    .args:
      - .offset:         0
        .size:           1
        .value_kind:     by_value
      - .offset:         8
        .size:           8
        .value_kind:     by_value
      - .offset:         16
        .size:           8
        .value_kind:     by_value
      - .actual_access:  read_only
        .address_space:  global
        .offset:         24
        .size:           8
        .value_kind:     global_buffer
      - .offset:         32
        .size:           8
        .value_kind:     by_value
      - .actual_access:  read_only
        .address_space:  global
        .offset:         40
        .size:           8
        .value_kind:     global_buffer
      - .actual_access:  read_only
        .address_space:  global
        .offset:         48
        .size:           8
        .value_kind:     global_buffer
      - .actual_access:  read_only
        .address_space:  global
        .offset:         56
        .size:           8
        .value_kind:     global_buffer
      - .actual_access:  read_only
        .address_space:  global
        .offset:         64
        .size:           8
        .value_kind:     global_buffer
      - .offset:         72
        .size:           8
        .value_kind:     by_value
      - .address_space:  global
        .offset:         80
        .size:           8
        .value_kind:     global_buffer
      - .offset:         88
        .size:           4
        .value_kind:     by_value
      - .offset:         92
        .size:           1
        .value_kind:     by_value
      - .offset:         96
        .size:           4
        .value_kind:     hidden_block_count_x
      - .offset:         100
        .size:           4
        .value_kind:     hidden_block_count_y
      - .offset:         104
        .size:           4
        .value_kind:     hidden_block_count_z
      - .offset:         108
        .size:           2
        .value_kind:     hidden_group_size_x
      - .offset:         110
        .size:           2
        .value_kind:     hidden_group_size_y
      - .offset:         112
        .size:           2
        .value_kind:     hidden_group_size_z
      - .offset:         114
        .size:           2
        .value_kind:     hidden_remainder_x
      - .offset:         116
        .size:           2
        .value_kind:     hidden_remainder_y
      - .offset:         118
        .size:           2
        .value_kind:     hidden_remainder_z
      - .offset:         136
        .size:           8
        .value_kind:     hidden_global_offset_x
      - .offset:         144
        .size:           8
        .value_kind:     hidden_global_offset_y
      - .offset:         152
        .size:           8
        .value_kind:     hidden_global_offset_z
      - .offset:         160
        .size:           2
        .value_kind:     hidden_grid_dims
      - .offset:         216
        .size:           4
        .value_kind:     hidden_dynamic_lds_size
    .group_segment_fixed_size: 4096
    .kernarg_segment_align: 8
    .kernarg_segment_size: 352
    .language:       OpenCL C
    .language_version:
      - 2
      - 0
    .max_flat_workgroup_size: 256
    .name:           _ZN9rocsparseL27csrmvn_symm_adaptive_kernelIllaaiiEEvbT_S1_PKS1_NS_24const_host_device_scalarIT4_EES3_PKT0_PKT1_PKT2_S6_PT3_21rocsparse_index_base_b
    .private_segment_fixed_size: 0
    .sgpr_count:     56
    .sgpr_spill_count: 0
    .symbol:         _ZN9rocsparseL27csrmvn_symm_adaptive_kernelIllaaiiEEvbT_S1_PKS1_NS_24const_host_device_scalarIT4_EES3_PKT0_PKT1_PKT2_S6_PT3_21rocsparse_index_base_b.kd
    .uniform_work_group_size: 1
    .uses_dynamic_stack: false
    .vgpr_count:     24
    .vgpr_spill_count: 0
    .wavefront_size: 64
  - .agpr_count:     0
    .args:
      - .offset:         0
        .size:           1
        .value_kind:     by_value
      - .offset:         8
        .size:           8
        .value_kind:     by_value
      - .actual_access:  read_only
        .address_space:  global
        .offset:         16
        .size:           8
        .value_kind:     global_buffer
      - .offset:         24
        .size:           8
        .value_kind:     by_value
      - .actual_access:  read_only
        .address_space:  global
        .offset:         32
        .size:           8
        .value_kind:     global_buffer
      - .actual_access:  read_only
        .address_space:  global
        .offset:         40
        .size:           8
        .value_kind:     global_buffer
      - .actual_access:  read_only
        .address_space:  global
        .offset:         48
        .size:           8
        .value_kind:     global_buffer
      - .actual_access:  read_only
        .address_space:  global
        .offset:         56
        .size:           8
        .value_kind:     global_buffer
      - .offset:         64
        .size:           8
        .value_kind:     by_value
      - .address_space:  global
        .offset:         72
        .size:           8
        .value_kind:     global_buffer
      - .offset:         80
        .size:           4
        .value_kind:     by_value
      - .offset:         84
        .size:           1
        .value_kind:     by_value
    .group_segment_fixed_size: 4096
    .kernarg_segment_align: 8
    .kernarg_segment_size: 88
    .language:       OpenCL C
    .language_version:
      - 2
      - 0
    .max_flat_workgroup_size: 256
    .name:           _ZL33csrmvn_symm_large_adaptive_kernelIllaaiiEvbT_PKS0_N9rocsparse24const_host_device_scalarIT4_EES2_PKT0_PKT1_PKT2_S6_PT3_21rocsparse_index_base_b
    .private_segment_fixed_size: 0
    .sgpr_count:     46
    .sgpr_spill_count: 0
    .symbol:         _ZL33csrmvn_symm_large_adaptive_kernelIllaaiiEvbT_PKS0_N9rocsparse24const_host_device_scalarIT4_EES2_PKT0_PKT1_PKT2_S6_PT3_21rocsparse_index_base_b.kd
    .uniform_work_group_size: 1
    .uses_dynamic_stack: false
    .vgpr_count:     18
    .vgpr_spill_count: 0
    .wavefront_size: 64
  - .agpr_count:     0
    .args:
      - .offset:         0
        .size:           1
        .value_kind:     by_value
      - .offset:         4
        .size:           4
        .value_kind:     by_value
      - .actual_access:  read_only
        .address_space:  global
        .offset:         8
        .size:           8
        .value_kind:     global_buffer
      - .address_space:  global
        .offset:         16
        .size:           8
        .value_kind:     global_buffer
      - .actual_access:  read_only
        .address_space:  global
        .offset:         24
        .size:           8
        .value_kind:     global_buffer
      - .offset:         32
        .size:           8
        .value_kind:     by_value
      - .actual_access:  read_only
        .address_space:  global
        .offset:         40
        .size:           8
        .value_kind:     global_buffer
      - .actual_access:  read_only
        .address_space:  global
        .offset:         48
        .size:           8
        .value_kind:     global_buffer
      - .actual_access:  read_only
        .address_space:  global
        .offset:         56
        .size:           8
        .value_kind:     global_buffer
      - .actual_access:  read_only
        .address_space:  global
        .offset:         64
        .size:           8
        .value_kind:     global_buffer
      - .offset:         72
        .size:           8
        .value_kind:     by_value
      - .address_space:  global
        .offset:         80
        .size:           8
        .value_kind:     global_buffer
      - .offset:         88
        .size:           4
        .value_kind:     by_value
      - .offset:         92
        .size:           1
        .value_kind:     by_value
    .group_segment_fixed_size: 4096
    .kernarg_segment_align: 8
    .kernarg_segment_size: 96
    .language:       OpenCL C
    .language_version:
      - 2
      - 0
    .max_flat_workgroup_size: 256
    .name:           _ZN9rocsparseL22csrmvn_adaptive_kernelIiiaaffEEvbT_PKS1_PjPKT0_NS_24const_host_device_scalarIT4_EES3_S7_PKT1_PKT2_SA_PT3_21rocsparse_index_base_b
    .private_segment_fixed_size: 0
    .sgpr_count:     62
    .sgpr_spill_count: 0
    .symbol:         _ZN9rocsparseL22csrmvn_adaptive_kernelIiiaaffEEvbT_PKS1_PjPKT0_NS_24const_host_device_scalarIT4_EES3_S7_PKT1_PKT2_SA_PT3_21rocsparse_index_base_b.kd
    .uniform_work_group_size: 1
    .uses_dynamic_stack: false
    .vgpr_count:     28
    .vgpr_spill_count: 0
    .wavefront_size: 64
  - .agpr_count:     0
    .args:
      - .offset:         0
        .size:           1
        .value_kind:     by_value
      - .offset:         4
        .size:           4
        .value_kind:     by_value
      - .offset:         8
        .size:           4
        .value_kind:     by_value
      - .actual_access:  read_only
        .address_space:  global
        .offset:         16
        .size:           8
        .value_kind:     global_buffer
      - .offset:         24
        .size:           8
        .value_kind:     by_value
      - .actual_access:  read_only
        .address_space:  global
        .offset:         32
        .size:           8
        .value_kind:     global_buffer
      - .actual_access:  read_only
        .address_space:  global
        .offset:         40
        .size:           8
        .value_kind:     global_buffer
      - .actual_access:  read_only
        .address_space:  global
        .offset:         48
        .size:           8
        .value_kind:     global_buffer
      - .actual_access:  read_only
        .address_space:  global
        .offset:         56
        .size:           8
        .value_kind:     global_buffer
      - .offset:         64
        .size:           8
        .value_kind:     by_value
      - .address_space:  global
        .offset:         72
        .size:           8
        .value_kind:     global_buffer
      - .offset:         80
        .size:           4
        .value_kind:     by_value
      - .offset:         84
        .size:           1
        .value_kind:     by_value
      - .offset:         88
        .size:           4
        .value_kind:     hidden_block_count_x
      - .offset:         92
        .size:           4
        .value_kind:     hidden_block_count_y
      - .offset:         96
        .size:           4
        .value_kind:     hidden_block_count_z
      - .offset:         100
        .size:           2
        .value_kind:     hidden_group_size_x
      - .offset:         102
        .size:           2
        .value_kind:     hidden_group_size_y
      - .offset:         104
        .size:           2
        .value_kind:     hidden_group_size_z
      - .offset:         106
        .size:           2
        .value_kind:     hidden_remainder_x
      - .offset:         108
        .size:           2
        .value_kind:     hidden_remainder_y
      - .offset:         110
        .size:           2
        .value_kind:     hidden_remainder_z
      - .offset:         128
        .size:           8
        .value_kind:     hidden_global_offset_x
      - .offset:         136
        .size:           8
        .value_kind:     hidden_global_offset_y
      - .offset:         144
        .size:           8
        .value_kind:     hidden_global_offset_z
      - .offset:         152
        .size:           2
        .value_kind:     hidden_grid_dims
      - .offset:         208
        .size:           4
        .value_kind:     hidden_dynamic_lds_size
    .group_segment_fixed_size: 4096
    .kernarg_segment_align: 8
    .kernarg_segment_size: 344
    .language:       OpenCL C
    .language_version:
      - 2
      - 0
    .max_flat_workgroup_size: 256
    .name:           _ZN9rocsparseL27csrmvn_symm_adaptive_kernelIiiaaffEEvbT_S1_PKS1_NS_24const_host_device_scalarIT4_EES3_PKT0_PKT1_PKT2_S6_PT3_21rocsparse_index_base_b
    .private_segment_fixed_size: 0
    .sgpr_count:     63
    .sgpr_spill_count: 0
    .symbol:         _ZN9rocsparseL27csrmvn_symm_adaptive_kernelIiiaaffEEvbT_S1_PKS1_NS_24const_host_device_scalarIT4_EES3_PKT0_PKT1_PKT2_S6_PT3_21rocsparse_index_base_b.kd
    .uniform_work_group_size: 1
    .uses_dynamic_stack: false
    .vgpr_count:     29
    .vgpr_spill_count: 0
    .wavefront_size: 64
  - .agpr_count:     0
    .args:
      - .offset:         0
        .size:           1
        .value_kind:     by_value
      - .offset:         4
        .size:           4
        .value_kind:     by_value
      - .actual_access:  read_only
        .address_space:  global
        .offset:         8
        .size:           8
        .value_kind:     global_buffer
      - .offset:         16
        .size:           8
        .value_kind:     by_value
      - .actual_access:  read_only
        .address_space:  global
        .offset:         24
        .size:           8
        .value_kind:     global_buffer
      - .actual_access:  read_only
        .address_space:  global
        .offset:         32
        .size:           8
        .value_kind:     global_buffer
      - .actual_access:  read_only
        .address_space:  global
        .offset:         40
        .size:           8
        .value_kind:     global_buffer
      - .actual_access:  read_only
        .address_space:  global
        .offset:         48
        .size:           8
        .value_kind:     global_buffer
      - .offset:         56
        .size:           8
        .value_kind:     by_value
      - .address_space:  global
        .offset:         64
        .size:           8
        .value_kind:     global_buffer
      - .offset:         72
        .size:           4
        .value_kind:     by_value
      - .offset:         76
        .size:           1
        .value_kind:     by_value
    .group_segment_fixed_size: 4096
    .kernarg_segment_align: 8
    .kernarg_segment_size: 80
    .language:       OpenCL C
    .language_version:
      - 2
      - 0
    .max_flat_workgroup_size: 256
    .name:           _ZL33csrmvn_symm_large_adaptive_kernelIiiaaffEvbT_PKS0_N9rocsparse24const_host_device_scalarIT4_EES2_PKT0_PKT1_PKT2_S6_PT3_21rocsparse_index_base_b
    .private_segment_fixed_size: 0
    .sgpr_count:     43
    .sgpr_spill_count: 0
    .symbol:         _ZL33csrmvn_symm_large_adaptive_kernelIiiaaffEvbT_PKS0_N9rocsparse24const_host_device_scalarIT4_EES2_PKT0_PKT1_PKT2_S6_PT3_21rocsparse_index_base_b.kd
    .uniform_work_group_size: 1
    .uses_dynamic_stack: false
    .vgpr_count:     13
    .vgpr_spill_count: 0
    .wavefront_size: 64
  - .agpr_count:     0
    .args:
      - .offset:         0
        .size:           1
        .value_kind:     by_value
      - .offset:         8
        .size:           8
        .value_kind:     by_value
      - .actual_access:  read_only
        .address_space:  global
        .offset:         16
        .size:           8
        .value_kind:     global_buffer
      - .address_space:  global
        .offset:         24
        .size:           8
        .value_kind:     global_buffer
      - .actual_access:  read_only
        .address_space:  global
        .offset:         32
        .size:           8
        .value_kind:     global_buffer
      - .offset:         40
        .size:           8
        .value_kind:     by_value
      - .actual_access:  read_only
        .address_space:  global
        .offset:         48
        .size:           8
        .value_kind:     global_buffer
      - .actual_access:  read_only
        .address_space:  global
        .offset:         56
        .size:           8
        .value_kind:     global_buffer
      - .actual_access:  read_only
        .address_space:  global
        .offset:         64
        .size:           8
        .value_kind:     global_buffer
      - .actual_access:  read_only
        .address_space:  global
        .offset:         72
        .size:           8
        .value_kind:     global_buffer
      - .offset:         80
        .size:           8
        .value_kind:     by_value
      - .address_space:  global
        .offset:         88
        .size:           8
        .value_kind:     global_buffer
      - .offset:         96
        .size:           4
        .value_kind:     by_value
      - .offset:         100
        .size:           1
        .value_kind:     by_value
    .group_segment_fixed_size: 4096
    .kernarg_segment_align: 8
    .kernarg_segment_size: 104
    .language:       OpenCL C
    .language_version:
      - 2
      - 0
    .max_flat_workgroup_size: 256
    .name:           _ZN9rocsparseL22csrmvn_adaptive_kernelIliaaffEEvbT_PKS1_PjPKT0_NS_24const_host_device_scalarIT4_EES3_S7_PKT1_PKT2_SA_PT3_21rocsparse_index_base_b
    .private_segment_fixed_size: 0
    .sgpr_count:     64
    .sgpr_spill_count: 0
    .symbol:         _ZN9rocsparseL22csrmvn_adaptive_kernelIliaaffEEvbT_PKS1_PjPKT0_NS_24const_host_device_scalarIT4_EES3_S7_PKT1_PKT2_SA_PT3_21rocsparse_index_base_b.kd
    .uniform_work_group_size: 1
    .uses_dynamic_stack: false
    .vgpr_count:     25
    .vgpr_spill_count: 0
    .wavefront_size: 64
  - .agpr_count:     0
    .args:
      - .offset:         0
        .size:           1
        .value_kind:     by_value
      - .offset:         8
        .size:           8
        .value_kind:     by_value
      - .offset:         16
        .size:           8
        .value_kind:     by_value
      - .actual_access:  read_only
        .address_space:  global
        .offset:         24
        .size:           8
        .value_kind:     global_buffer
      - .offset:         32
        .size:           8
        .value_kind:     by_value
      - .actual_access:  read_only
        .address_space:  global
        .offset:         40
        .size:           8
        .value_kind:     global_buffer
      - .actual_access:  read_only
        .address_space:  global
        .offset:         48
        .size:           8
        .value_kind:     global_buffer
      - .actual_access:  read_only
        .address_space:  global
        .offset:         56
        .size:           8
        .value_kind:     global_buffer
      - .actual_access:  read_only
        .address_space:  global
        .offset:         64
        .size:           8
        .value_kind:     global_buffer
      - .offset:         72
        .size:           8
        .value_kind:     by_value
      - .address_space:  global
        .offset:         80
        .size:           8
        .value_kind:     global_buffer
      - .offset:         88
        .size:           4
        .value_kind:     by_value
      - .offset:         92
        .size:           1
        .value_kind:     by_value
      - .offset:         96
        .size:           4
        .value_kind:     hidden_block_count_x
      - .offset:         100
        .size:           4
        .value_kind:     hidden_block_count_y
      - .offset:         104
        .size:           4
        .value_kind:     hidden_block_count_z
      - .offset:         108
        .size:           2
        .value_kind:     hidden_group_size_x
      - .offset:         110
        .size:           2
        .value_kind:     hidden_group_size_y
      - .offset:         112
        .size:           2
        .value_kind:     hidden_group_size_z
      - .offset:         114
        .size:           2
        .value_kind:     hidden_remainder_x
      - .offset:         116
        .size:           2
        .value_kind:     hidden_remainder_y
      - .offset:         118
        .size:           2
        .value_kind:     hidden_remainder_z
      - .offset:         136
        .size:           8
        .value_kind:     hidden_global_offset_x
      - .offset:         144
        .size:           8
        .value_kind:     hidden_global_offset_y
      - .offset:         152
        .size:           8
        .value_kind:     hidden_global_offset_z
      - .offset:         160
        .size:           2
        .value_kind:     hidden_grid_dims
      - .offset:         216
        .size:           4
        .value_kind:     hidden_dynamic_lds_size
    .group_segment_fixed_size: 4096
    .kernarg_segment_align: 8
    .kernarg_segment_size: 352
    .language:       OpenCL C
    .language_version:
      - 2
      - 0
    .max_flat_workgroup_size: 256
    .name:           _ZN9rocsparseL27csrmvn_symm_adaptive_kernelIliaaffEEvbT_S1_PKS1_NS_24const_host_device_scalarIT4_EES3_PKT0_PKT1_PKT2_S6_PT3_21rocsparse_index_base_b
    .private_segment_fixed_size: 0
    .sgpr_count:     56
    .sgpr_spill_count: 0
    .symbol:         _ZN9rocsparseL27csrmvn_symm_adaptive_kernelIliaaffEEvbT_S1_PKS1_NS_24const_host_device_scalarIT4_EES3_PKT0_PKT1_PKT2_S6_PT3_21rocsparse_index_base_b.kd
    .uniform_work_group_size: 1
    .uses_dynamic_stack: false
    .vgpr_count:     23
    .vgpr_spill_count: 0
    .wavefront_size: 64
  - .agpr_count:     0
    .args:
      - .offset:         0
        .size:           1
        .value_kind:     by_value
      - .offset:         8
        .size:           8
        .value_kind:     by_value
      - .actual_access:  read_only
        .address_space:  global
        .offset:         16
        .size:           8
        .value_kind:     global_buffer
      - .offset:         24
        .size:           8
        .value_kind:     by_value
      - .actual_access:  read_only
        .address_space:  global
        .offset:         32
        .size:           8
        .value_kind:     global_buffer
      - .actual_access:  read_only
        .address_space:  global
        .offset:         40
        .size:           8
        .value_kind:     global_buffer
      - .actual_access:  read_only
        .address_space:  global
        .offset:         48
        .size:           8
        .value_kind:     global_buffer
      - .actual_access:  read_only
        .address_space:  global
        .offset:         56
        .size:           8
        .value_kind:     global_buffer
      - .offset:         64
        .size:           8
        .value_kind:     by_value
      - .address_space:  global
        .offset:         72
        .size:           8
        .value_kind:     global_buffer
      - .offset:         80
        .size:           4
        .value_kind:     by_value
      - .offset:         84
        .size:           1
        .value_kind:     by_value
    .group_segment_fixed_size: 4096
    .kernarg_segment_align: 8
    .kernarg_segment_size: 88
    .language:       OpenCL C
    .language_version:
      - 2
      - 0
    .max_flat_workgroup_size: 256
    .name:           _ZL33csrmvn_symm_large_adaptive_kernelIliaaffEvbT_PKS0_N9rocsparse24const_host_device_scalarIT4_EES2_PKT0_PKT1_PKT2_S6_PT3_21rocsparse_index_base_b
    .private_segment_fixed_size: 0
    .sgpr_count:     46
    .sgpr_spill_count: 0
    .symbol:         _ZL33csrmvn_symm_large_adaptive_kernelIliaaffEvbT_PKS0_N9rocsparse24const_host_device_scalarIT4_EES2_PKT0_PKT1_PKT2_S6_PT3_21rocsparse_index_base_b.kd
    .uniform_work_group_size: 1
    .uses_dynamic_stack: false
    .vgpr_count:     17
    .vgpr_spill_count: 0
    .wavefront_size: 64
  - .agpr_count:     0
    .args:
      - .offset:         0
        .size:           1
        .value_kind:     by_value
      - .offset:         8
        .size:           8
        .value_kind:     by_value
      - .actual_access:  read_only
        .address_space:  global
        .offset:         16
        .size:           8
        .value_kind:     global_buffer
      - .address_space:  global
        .offset:         24
        .size:           8
        .value_kind:     global_buffer
      - .actual_access:  read_only
        .address_space:  global
        .offset:         32
        .size:           8
        .value_kind:     global_buffer
      - .offset:         40
        .size:           8
        .value_kind:     by_value
      - .actual_access:  read_only
        .address_space:  global
        .offset:         48
        .size:           8
        .value_kind:     global_buffer
      - .actual_access:  read_only
        .address_space:  global
        .offset:         56
        .size:           8
        .value_kind:     global_buffer
      - .actual_access:  read_only
        .address_space:  global
        .offset:         64
        .size:           8
        .value_kind:     global_buffer
      - .actual_access:  read_only
        .address_space:  global
        .offset:         72
        .size:           8
        .value_kind:     global_buffer
      - .offset:         80
        .size:           8
        .value_kind:     by_value
      - .address_space:  global
        .offset:         88
        .size:           8
        .value_kind:     global_buffer
      - .offset:         96
        .size:           4
        .value_kind:     by_value
      - .offset:         100
        .size:           1
        .value_kind:     by_value
    .group_segment_fixed_size: 4096
    .kernarg_segment_align: 8
    .kernarg_segment_size: 104
    .language:       OpenCL C
    .language_version:
      - 2
      - 0
    .max_flat_workgroup_size: 256
    .name:           _ZN9rocsparseL22csrmvn_adaptive_kernelIllaaffEEvbT_PKS1_PjPKT0_NS_24const_host_device_scalarIT4_EES3_S7_PKT1_PKT2_SA_PT3_21rocsparse_index_base_b
    .private_segment_fixed_size: 0
    .sgpr_count:     64
    .sgpr_spill_count: 0
    .symbol:         _ZN9rocsparseL22csrmvn_adaptive_kernelIllaaffEEvbT_PKS1_PjPKT0_NS_24const_host_device_scalarIT4_EES3_S7_PKT1_PKT2_SA_PT3_21rocsparse_index_base_b.kd
    .uniform_work_group_size: 1
    .uses_dynamic_stack: false
    .vgpr_count:     20
    .vgpr_spill_count: 0
    .wavefront_size: 64
  - .agpr_count:     0
    .args:
      - .offset:         0
        .size:           1
        .value_kind:     by_value
      - .offset:         8
        .size:           8
        .value_kind:     by_value
      - .offset:         16
        .size:           8
        .value_kind:     by_value
      - .actual_access:  read_only
        .address_space:  global
        .offset:         24
        .size:           8
        .value_kind:     global_buffer
      - .offset:         32
        .size:           8
        .value_kind:     by_value
      - .actual_access:  read_only
        .address_space:  global
        .offset:         40
        .size:           8
        .value_kind:     global_buffer
      - .actual_access:  read_only
        .address_space:  global
        .offset:         48
        .size:           8
        .value_kind:     global_buffer
      - .actual_access:  read_only
        .address_space:  global
        .offset:         56
        .size:           8
        .value_kind:     global_buffer
      - .actual_access:  read_only
        .address_space:  global
        .offset:         64
        .size:           8
        .value_kind:     global_buffer
      - .offset:         72
        .size:           8
        .value_kind:     by_value
      - .address_space:  global
        .offset:         80
        .size:           8
        .value_kind:     global_buffer
      - .offset:         88
        .size:           4
        .value_kind:     by_value
      - .offset:         92
        .size:           1
        .value_kind:     by_value
      - .offset:         96
        .size:           4
        .value_kind:     hidden_block_count_x
      - .offset:         100
        .size:           4
        .value_kind:     hidden_block_count_y
      - .offset:         104
        .size:           4
        .value_kind:     hidden_block_count_z
      - .offset:         108
        .size:           2
        .value_kind:     hidden_group_size_x
      - .offset:         110
        .size:           2
        .value_kind:     hidden_group_size_y
      - .offset:         112
        .size:           2
        .value_kind:     hidden_group_size_z
      - .offset:         114
        .size:           2
        .value_kind:     hidden_remainder_x
      - .offset:         116
        .size:           2
        .value_kind:     hidden_remainder_y
      - .offset:         118
        .size:           2
        .value_kind:     hidden_remainder_z
      - .offset:         136
        .size:           8
        .value_kind:     hidden_global_offset_x
      - .offset:         144
        .size:           8
        .value_kind:     hidden_global_offset_y
      - .offset:         152
        .size:           8
        .value_kind:     hidden_global_offset_z
      - .offset:         160
        .size:           2
        .value_kind:     hidden_grid_dims
      - .offset:         216
        .size:           4
        .value_kind:     hidden_dynamic_lds_size
    .group_segment_fixed_size: 4096
    .kernarg_segment_align: 8
    .kernarg_segment_size: 352
    .language:       OpenCL C
    .language_version:
      - 2
      - 0
    .max_flat_workgroup_size: 256
    .name:           _ZN9rocsparseL27csrmvn_symm_adaptive_kernelIllaaffEEvbT_S1_PKS1_NS_24const_host_device_scalarIT4_EES3_PKT0_PKT1_PKT2_S6_PT3_21rocsparse_index_base_b
    .private_segment_fixed_size: 0
    .sgpr_count:     56
    .sgpr_spill_count: 0
    .symbol:         _ZN9rocsparseL27csrmvn_symm_adaptive_kernelIllaaffEEvbT_S1_PKS1_NS_24const_host_device_scalarIT4_EES3_PKT0_PKT1_PKT2_S6_PT3_21rocsparse_index_base_b.kd
    .uniform_work_group_size: 1
    .uses_dynamic_stack: false
    .vgpr_count:     23
    .vgpr_spill_count: 0
    .wavefront_size: 64
  - .agpr_count:     0
    .args:
      - .offset:         0
        .size:           1
        .value_kind:     by_value
      - .offset:         8
        .size:           8
        .value_kind:     by_value
      - .actual_access:  read_only
        .address_space:  global
        .offset:         16
        .size:           8
        .value_kind:     global_buffer
      - .offset:         24
        .size:           8
        .value_kind:     by_value
      - .actual_access:  read_only
        .address_space:  global
        .offset:         32
        .size:           8
        .value_kind:     global_buffer
      - .actual_access:  read_only
        .address_space:  global
        .offset:         40
        .size:           8
        .value_kind:     global_buffer
      - .actual_access:  read_only
        .address_space:  global
        .offset:         48
        .size:           8
        .value_kind:     global_buffer
      - .actual_access:  read_only
        .address_space:  global
        .offset:         56
        .size:           8
        .value_kind:     global_buffer
      - .offset:         64
        .size:           8
        .value_kind:     by_value
      - .address_space:  global
        .offset:         72
        .size:           8
        .value_kind:     global_buffer
      - .offset:         80
        .size:           4
        .value_kind:     by_value
      - .offset:         84
        .size:           1
        .value_kind:     by_value
    .group_segment_fixed_size: 4096
    .kernarg_segment_align: 8
    .kernarg_segment_size: 88
    .language:       OpenCL C
    .language_version:
      - 2
      - 0
    .max_flat_workgroup_size: 256
    .name:           _ZL33csrmvn_symm_large_adaptive_kernelIllaaffEvbT_PKS0_N9rocsparse24const_host_device_scalarIT4_EES2_PKT0_PKT1_PKT2_S6_PT3_21rocsparse_index_base_b
    .private_segment_fixed_size: 0
    .sgpr_count:     46
    .sgpr_spill_count: 0
    .symbol:         _ZL33csrmvn_symm_large_adaptive_kernelIllaaffEvbT_PKS0_N9rocsparse24const_host_device_scalarIT4_EES2_PKT0_PKT1_PKT2_S6_PT3_21rocsparse_index_base_b.kd
    .uniform_work_group_size: 1
    .uses_dynamic_stack: false
    .vgpr_count:     18
    .vgpr_spill_count: 0
    .wavefront_size: 64
  - .agpr_count:     0
    .args:
      - .offset:         0
        .size:           1
        .value_kind:     by_value
      - .offset:         4
        .size:           4
        .value_kind:     by_value
      - .actual_access:  read_only
        .address_space:  global
        .offset:         8
        .size:           8
        .value_kind:     global_buffer
      - .address_space:  global
        .offset:         16
        .size:           8
        .value_kind:     global_buffer
      - .actual_access:  read_only
        .address_space:  global
        .offset:         24
        .size:           8
        .value_kind:     global_buffer
      - .offset:         32
        .size:           8
        .value_kind:     by_value
      - .actual_access:  read_only
        .address_space:  global
        .offset:         40
        .size:           8
        .value_kind:     global_buffer
      - .actual_access:  read_only
        .address_space:  global
        .offset:         48
        .size:           8
        .value_kind:     global_buffer
      - .actual_access:  read_only
        .address_space:  global
        .offset:         56
        .size:           8
        .value_kind:     global_buffer
      - .actual_access:  read_only
        .address_space:  global
        .offset:         64
        .size:           8
        .value_kind:     global_buffer
      - .offset:         72
        .size:           8
        .value_kind:     by_value
      - .address_space:  global
        .offset:         80
        .size:           8
        .value_kind:     global_buffer
      - .offset:         88
        .size:           4
        .value_kind:     by_value
      - .offset:         92
        .size:           1
        .value_kind:     by_value
    .group_segment_fixed_size: 4096
    .kernarg_segment_align: 8
    .kernarg_segment_size: 96
    .language:       OpenCL C
    .language_version:
      - 2
      - 0
    .max_flat_workgroup_size: 256
    .name:           _ZN9rocsparseL22csrmvn_adaptive_kernelIiiDF16_DF16_ffEEvbT_PKS1_PjPKT0_NS_24const_host_device_scalarIT4_EES3_S7_PKT1_PKT2_SA_PT3_21rocsparse_index_base_b
    .private_segment_fixed_size: 0
    .sgpr_count:     62
    .sgpr_spill_count: 0
    .symbol:         _ZN9rocsparseL22csrmvn_adaptive_kernelIiiDF16_DF16_ffEEvbT_PKS1_PjPKT0_NS_24const_host_device_scalarIT4_EES3_S7_PKT1_PKT2_SA_PT3_21rocsparse_index_base_b.kd
    .uniform_work_group_size: 1
    .uses_dynamic_stack: false
    .vgpr_count:     28
    .vgpr_spill_count: 0
    .wavefront_size: 64
  - .agpr_count:     0
    .args:
      - .offset:         0
        .size:           1
        .value_kind:     by_value
      - .offset:         4
        .size:           4
        .value_kind:     by_value
      - .offset:         8
        .size:           4
        .value_kind:     by_value
      - .actual_access:  read_only
        .address_space:  global
        .offset:         16
        .size:           8
        .value_kind:     global_buffer
      - .offset:         24
        .size:           8
        .value_kind:     by_value
      - .actual_access:  read_only
        .address_space:  global
        .offset:         32
        .size:           8
        .value_kind:     global_buffer
      - .actual_access:  read_only
        .address_space:  global
        .offset:         40
        .size:           8
        .value_kind:     global_buffer
      - .actual_access:  read_only
        .address_space:  global
        .offset:         48
        .size:           8
        .value_kind:     global_buffer
      - .actual_access:  read_only
        .address_space:  global
        .offset:         56
        .size:           8
        .value_kind:     global_buffer
      - .offset:         64
        .size:           8
        .value_kind:     by_value
      - .address_space:  global
        .offset:         72
        .size:           8
        .value_kind:     global_buffer
      - .offset:         80
        .size:           4
        .value_kind:     by_value
      - .offset:         84
        .size:           1
        .value_kind:     by_value
      - .offset:         88
        .size:           4
        .value_kind:     hidden_block_count_x
      - .offset:         92
        .size:           4
        .value_kind:     hidden_block_count_y
      - .offset:         96
        .size:           4
        .value_kind:     hidden_block_count_z
      - .offset:         100
        .size:           2
        .value_kind:     hidden_group_size_x
      - .offset:         102
        .size:           2
        .value_kind:     hidden_group_size_y
      - .offset:         104
        .size:           2
        .value_kind:     hidden_group_size_z
      - .offset:         106
        .size:           2
        .value_kind:     hidden_remainder_x
      - .offset:         108
        .size:           2
        .value_kind:     hidden_remainder_y
      - .offset:         110
        .size:           2
        .value_kind:     hidden_remainder_z
      - .offset:         128
        .size:           8
        .value_kind:     hidden_global_offset_x
      - .offset:         136
        .size:           8
        .value_kind:     hidden_global_offset_y
      - .offset:         144
        .size:           8
        .value_kind:     hidden_global_offset_z
      - .offset:         152
        .size:           2
        .value_kind:     hidden_grid_dims
      - .offset:         208
        .size:           4
        .value_kind:     hidden_dynamic_lds_size
    .group_segment_fixed_size: 4096
    .kernarg_segment_align: 8
    .kernarg_segment_size: 344
    .language:       OpenCL C
    .language_version:
      - 2
      - 0
    .max_flat_workgroup_size: 256
    .name:           _ZN9rocsparseL27csrmvn_symm_adaptive_kernelIiiDF16_DF16_ffEEvbT_S1_PKS1_NS_24const_host_device_scalarIT4_EES3_PKT0_PKT1_PKT2_S6_PT3_21rocsparse_index_base_b
    .private_segment_fixed_size: 0
    .sgpr_count:     53
    .sgpr_spill_count: 0
    .symbol:         _ZN9rocsparseL27csrmvn_symm_adaptive_kernelIiiDF16_DF16_ffEEvbT_S1_PKS1_NS_24const_host_device_scalarIT4_EES3_PKT0_PKT1_PKT2_S6_PT3_21rocsparse_index_base_b.kd
    .uniform_work_group_size: 1
    .uses_dynamic_stack: false
    .vgpr_count:     32
    .vgpr_spill_count: 0
    .wavefront_size: 64
  - .agpr_count:     0
    .args:
      - .offset:         0
        .size:           1
        .value_kind:     by_value
      - .offset:         4
        .size:           4
        .value_kind:     by_value
      - .actual_access:  read_only
        .address_space:  global
        .offset:         8
        .size:           8
        .value_kind:     global_buffer
      - .offset:         16
        .size:           8
        .value_kind:     by_value
      - .actual_access:  read_only
        .address_space:  global
        .offset:         24
        .size:           8
        .value_kind:     global_buffer
      - .actual_access:  read_only
        .address_space:  global
        .offset:         32
        .size:           8
        .value_kind:     global_buffer
      - .actual_access:  read_only
        .address_space:  global
        .offset:         40
        .size:           8
        .value_kind:     global_buffer
      - .actual_access:  read_only
        .address_space:  global
        .offset:         48
        .size:           8
        .value_kind:     global_buffer
      - .offset:         56
        .size:           8
        .value_kind:     by_value
      - .address_space:  global
        .offset:         64
        .size:           8
        .value_kind:     global_buffer
      - .offset:         72
        .size:           4
        .value_kind:     by_value
      - .offset:         76
        .size:           1
        .value_kind:     by_value
    .group_segment_fixed_size: 4096
    .kernarg_segment_align: 8
    .kernarg_segment_size: 80
    .language:       OpenCL C
    .language_version:
      - 2
      - 0
    .max_flat_workgroup_size: 256
    .name:           _ZL33csrmvn_symm_large_adaptive_kernelIiiDF16_DF16_ffEvbT_PKS0_N9rocsparse24const_host_device_scalarIT4_EES2_PKT0_PKT1_PKT2_S6_PT3_21rocsparse_index_base_b
    .private_segment_fixed_size: 0
    .sgpr_count:     43
    .sgpr_spill_count: 0
    .symbol:         _ZL33csrmvn_symm_large_adaptive_kernelIiiDF16_DF16_ffEvbT_PKS0_N9rocsparse24const_host_device_scalarIT4_EES2_PKT0_PKT1_PKT2_S6_PT3_21rocsparse_index_base_b.kd
    .uniform_work_group_size: 1
    .uses_dynamic_stack: false
    .vgpr_count:     13
    .vgpr_spill_count: 0
    .wavefront_size: 64
  - .agpr_count:     0
    .args:
      - .offset:         0
        .size:           1
        .value_kind:     by_value
      - .offset:         8
        .size:           8
        .value_kind:     by_value
      - .actual_access:  read_only
        .address_space:  global
        .offset:         16
        .size:           8
        .value_kind:     global_buffer
      - .address_space:  global
        .offset:         24
        .size:           8
        .value_kind:     global_buffer
      - .actual_access:  read_only
        .address_space:  global
        .offset:         32
        .size:           8
        .value_kind:     global_buffer
      - .offset:         40
        .size:           8
        .value_kind:     by_value
      - .actual_access:  read_only
        .address_space:  global
        .offset:         48
        .size:           8
        .value_kind:     global_buffer
      - .actual_access:  read_only
        .address_space:  global
        .offset:         56
        .size:           8
        .value_kind:     global_buffer
      - .actual_access:  read_only
        .address_space:  global
        .offset:         64
        .size:           8
        .value_kind:     global_buffer
      - .actual_access:  read_only
        .address_space:  global
        .offset:         72
        .size:           8
        .value_kind:     global_buffer
      - .offset:         80
        .size:           8
        .value_kind:     by_value
      - .address_space:  global
        .offset:         88
        .size:           8
        .value_kind:     global_buffer
      - .offset:         96
        .size:           4
        .value_kind:     by_value
      - .offset:         100
        .size:           1
        .value_kind:     by_value
    .group_segment_fixed_size: 4096
    .kernarg_segment_align: 8
    .kernarg_segment_size: 104
    .language:       OpenCL C
    .language_version:
      - 2
      - 0
    .max_flat_workgroup_size: 256
    .name:           _ZN9rocsparseL22csrmvn_adaptive_kernelIliDF16_DF16_ffEEvbT_PKS1_PjPKT0_NS_24const_host_device_scalarIT4_EES3_S7_PKT1_PKT2_SA_PT3_21rocsparse_index_base_b
    .private_segment_fixed_size: 0
    .sgpr_count:     66
    .sgpr_spill_count: 0
    .symbol:         _ZN9rocsparseL22csrmvn_adaptive_kernelIliDF16_DF16_ffEEvbT_PKS1_PjPKT0_NS_24const_host_device_scalarIT4_EES3_S7_PKT1_PKT2_SA_PT3_21rocsparse_index_base_b.kd
    .uniform_work_group_size: 1
    .uses_dynamic_stack: false
    .vgpr_count:     25
    .vgpr_spill_count: 0
    .wavefront_size: 64
  - .agpr_count:     0
    .args:
      - .offset:         0
        .size:           1
        .value_kind:     by_value
      - .offset:         8
        .size:           8
        .value_kind:     by_value
      - .offset:         16
        .size:           8
        .value_kind:     by_value
      - .actual_access:  read_only
        .address_space:  global
        .offset:         24
        .size:           8
        .value_kind:     global_buffer
      - .offset:         32
        .size:           8
        .value_kind:     by_value
      - .actual_access:  read_only
        .address_space:  global
        .offset:         40
        .size:           8
        .value_kind:     global_buffer
      - .actual_access:  read_only
        .address_space:  global
        .offset:         48
        .size:           8
        .value_kind:     global_buffer
      - .actual_access:  read_only
        .address_space:  global
        .offset:         56
        .size:           8
        .value_kind:     global_buffer
      - .actual_access:  read_only
        .address_space:  global
        .offset:         64
        .size:           8
        .value_kind:     global_buffer
      - .offset:         72
        .size:           8
        .value_kind:     by_value
      - .address_space:  global
        .offset:         80
        .size:           8
        .value_kind:     global_buffer
      - .offset:         88
        .size:           4
        .value_kind:     by_value
      - .offset:         92
        .size:           1
        .value_kind:     by_value
      - .offset:         96
        .size:           4
        .value_kind:     hidden_block_count_x
      - .offset:         100
        .size:           4
        .value_kind:     hidden_block_count_y
      - .offset:         104
        .size:           4
        .value_kind:     hidden_block_count_z
      - .offset:         108
        .size:           2
        .value_kind:     hidden_group_size_x
      - .offset:         110
        .size:           2
        .value_kind:     hidden_group_size_y
      - .offset:         112
        .size:           2
        .value_kind:     hidden_group_size_z
      - .offset:         114
        .size:           2
        .value_kind:     hidden_remainder_x
      - .offset:         116
        .size:           2
        .value_kind:     hidden_remainder_y
      - .offset:         118
        .size:           2
        .value_kind:     hidden_remainder_z
      - .offset:         136
        .size:           8
        .value_kind:     hidden_global_offset_x
      - .offset:         144
        .size:           8
        .value_kind:     hidden_global_offset_y
      - .offset:         152
        .size:           8
        .value_kind:     hidden_global_offset_z
      - .offset:         160
        .size:           2
        .value_kind:     hidden_grid_dims
      - .offset:         216
        .size:           4
        .value_kind:     hidden_dynamic_lds_size
    .group_segment_fixed_size: 4096
    .kernarg_segment_align: 8
    .kernarg_segment_size: 352
    .language:       OpenCL C
    .language_version:
      - 2
      - 0
    .max_flat_workgroup_size: 256
    .name:           _ZN9rocsparseL27csrmvn_symm_adaptive_kernelIliDF16_DF16_ffEEvbT_S1_PKS1_NS_24const_host_device_scalarIT4_EES3_PKT0_PKT1_PKT2_S6_PT3_21rocsparse_index_base_b
    .private_segment_fixed_size: 0
    .sgpr_count:     56
    .sgpr_spill_count: 0
    .symbol:         _ZN9rocsparseL27csrmvn_symm_adaptive_kernelIliDF16_DF16_ffEEvbT_S1_PKS1_NS_24const_host_device_scalarIT4_EES3_PKT0_PKT1_PKT2_S6_PT3_21rocsparse_index_base_b.kd
    .uniform_work_group_size: 1
    .uses_dynamic_stack: false
    .vgpr_count:     24
    .vgpr_spill_count: 0
    .wavefront_size: 64
  - .agpr_count:     0
    .args:
      - .offset:         0
        .size:           1
        .value_kind:     by_value
      - .offset:         8
        .size:           8
        .value_kind:     by_value
      - .actual_access:  read_only
        .address_space:  global
        .offset:         16
        .size:           8
        .value_kind:     global_buffer
      - .offset:         24
        .size:           8
        .value_kind:     by_value
      - .actual_access:  read_only
        .address_space:  global
        .offset:         32
        .size:           8
        .value_kind:     global_buffer
      - .actual_access:  read_only
        .address_space:  global
        .offset:         40
        .size:           8
        .value_kind:     global_buffer
      - .actual_access:  read_only
        .address_space:  global
        .offset:         48
        .size:           8
        .value_kind:     global_buffer
      - .actual_access:  read_only
        .address_space:  global
        .offset:         56
        .size:           8
        .value_kind:     global_buffer
      - .offset:         64
        .size:           8
        .value_kind:     by_value
      - .address_space:  global
        .offset:         72
        .size:           8
        .value_kind:     global_buffer
      - .offset:         80
        .size:           4
        .value_kind:     by_value
      - .offset:         84
        .size:           1
        .value_kind:     by_value
    .group_segment_fixed_size: 4096
    .kernarg_segment_align: 8
    .kernarg_segment_size: 88
    .language:       OpenCL C
    .language_version:
      - 2
      - 0
    .max_flat_workgroup_size: 256
    .name:           _ZL33csrmvn_symm_large_adaptive_kernelIliDF16_DF16_ffEvbT_PKS0_N9rocsparse24const_host_device_scalarIT4_EES2_PKT0_PKT1_PKT2_S6_PT3_21rocsparse_index_base_b
    .private_segment_fixed_size: 0
    .sgpr_count:     49
    .sgpr_spill_count: 0
    .symbol:         _ZL33csrmvn_symm_large_adaptive_kernelIliDF16_DF16_ffEvbT_PKS0_N9rocsparse24const_host_device_scalarIT4_EES2_PKT0_PKT1_PKT2_S6_PT3_21rocsparse_index_base_b.kd
    .uniform_work_group_size: 1
    .uses_dynamic_stack: false
    .vgpr_count:     17
    .vgpr_spill_count: 0
    .wavefront_size: 64
  - .agpr_count:     0
    .args:
      - .offset:         0
        .size:           1
        .value_kind:     by_value
      - .offset:         8
        .size:           8
        .value_kind:     by_value
      - .actual_access:  read_only
        .address_space:  global
        .offset:         16
        .size:           8
        .value_kind:     global_buffer
      - .address_space:  global
        .offset:         24
        .size:           8
        .value_kind:     global_buffer
      - .actual_access:  read_only
        .address_space:  global
        .offset:         32
        .size:           8
        .value_kind:     global_buffer
      - .offset:         40
        .size:           8
        .value_kind:     by_value
      - .actual_access:  read_only
        .address_space:  global
        .offset:         48
        .size:           8
        .value_kind:     global_buffer
      - .actual_access:  read_only
        .address_space:  global
        .offset:         56
        .size:           8
        .value_kind:     global_buffer
      - .actual_access:  read_only
        .address_space:  global
        .offset:         64
        .size:           8
        .value_kind:     global_buffer
      - .actual_access:  read_only
        .address_space:  global
        .offset:         72
        .size:           8
        .value_kind:     global_buffer
      - .offset:         80
        .size:           8
        .value_kind:     by_value
      - .address_space:  global
        .offset:         88
        .size:           8
        .value_kind:     global_buffer
      - .offset:         96
        .size:           4
        .value_kind:     by_value
      - .offset:         100
        .size:           1
        .value_kind:     by_value
    .group_segment_fixed_size: 4096
    .kernarg_segment_align: 8
    .kernarg_segment_size: 104
    .language:       OpenCL C
    .language_version:
      - 2
      - 0
    .max_flat_workgroup_size: 256
    .name:           _ZN9rocsparseL22csrmvn_adaptive_kernelIllDF16_DF16_ffEEvbT_PKS1_PjPKT0_NS_24const_host_device_scalarIT4_EES3_S7_PKT1_PKT2_SA_PT3_21rocsparse_index_base_b
    .private_segment_fixed_size: 0
    .sgpr_count:     66
    .sgpr_spill_count: 0
    .symbol:         _ZN9rocsparseL22csrmvn_adaptive_kernelIllDF16_DF16_ffEEvbT_PKS1_PjPKT0_NS_24const_host_device_scalarIT4_EES3_S7_PKT1_PKT2_SA_PT3_21rocsparse_index_base_b.kd
    .uniform_work_group_size: 1
    .uses_dynamic_stack: false
    .vgpr_count:     20
    .vgpr_spill_count: 0
    .wavefront_size: 64
  - .agpr_count:     0
    .args:
      - .offset:         0
        .size:           1
        .value_kind:     by_value
      - .offset:         8
        .size:           8
        .value_kind:     by_value
      - .offset:         16
        .size:           8
        .value_kind:     by_value
      - .actual_access:  read_only
        .address_space:  global
        .offset:         24
        .size:           8
        .value_kind:     global_buffer
      - .offset:         32
        .size:           8
        .value_kind:     by_value
      - .actual_access:  read_only
        .address_space:  global
        .offset:         40
        .size:           8
        .value_kind:     global_buffer
      - .actual_access:  read_only
        .address_space:  global
        .offset:         48
        .size:           8
        .value_kind:     global_buffer
      - .actual_access:  read_only
        .address_space:  global
        .offset:         56
        .size:           8
        .value_kind:     global_buffer
      - .actual_access:  read_only
        .address_space:  global
        .offset:         64
        .size:           8
        .value_kind:     global_buffer
      - .offset:         72
        .size:           8
        .value_kind:     by_value
      - .address_space:  global
        .offset:         80
        .size:           8
        .value_kind:     global_buffer
      - .offset:         88
        .size:           4
        .value_kind:     by_value
      - .offset:         92
        .size:           1
        .value_kind:     by_value
      - .offset:         96
        .size:           4
        .value_kind:     hidden_block_count_x
      - .offset:         100
        .size:           4
        .value_kind:     hidden_block_count_y
      - .offset:         104
        .size:           4
        .value_kind:     hidden_block_count_z
      - .offset:         108
        .size:           2
        .value_kind:     hidden_group_size_x
      - .offset:         110
        .size:           2
        .value_kind:     hidden_group_size_y
      - .offset:         112
        .size:           2
        .value_kind:     hidden_group_size_z
      - .offset:         114
        .size:           2
        .value_kind:     hidden_remainder_x
      - .offset:         116
        .size:           2
        .value_kind:     hidden_remainder_y
      - .offset:         118
        .size:           2
        .value_kind:     hidden_remainder_z
      - .offset:         136
        .size:           8
        .value_kind:     hidden_global_offset_x
      - .offset:         144
        .size:           8
        .value_kind:     hidden_global_offset_y
      - .offset:         152
        .size:           8
        .value_kind:     hidden_global_offset_z
      - .offset:         160
        .size:           2
        .value_kind:     hidden_grid_dims
      - .offset:         216
        .size:           4
        .value_kind:     hidden_dynamic_lds_size
    .group_segment_fixed_size: 4096
    .kernarg_segment_align: 8
    .kernarg_segment_size: 352
    .language:       OpenCL C
    .language_version:
      - 2
      - 0
    .max_flat_workgroup_size: 256
    .name:           _ZN9rocsparseL27csrmvn_symm_adaptive_kernelIllDF16_DF16_ffEEvbT_S1_PKS1_NS_24const_host_device_scalarIT4_EES3_PKT0_PKT1_PKT2_S6_PT3_21rocsparse_index_base_b
    .private_segment_fixed_size: 0
    .sgpr_count:     56
    .sgpr_spill_count: 0
    .symbol:         _ZN9rocsparseL27csrmvn_symm_adaptive_kernelIllDF16_DF16_ffEEvbT_S1_PKS1_NS_24const_host_device_scalarIT4_EES3_PKT0_PKT1_PKT2_S6_PT3_21rocsparse_index_base_b.kd
    .uniform_work_group_size: 1
    .uses_dynamic_stack: false
    .vgpr_count:     24
    .vgpr_spill_count: 0
    .wavefront_size: 64
  - .agpr_count:     0
    .args:
      - .offset:         0
        .size:           1
        .value_kind:     by_value
      - .offset:         8
        .size:           8
        .value_kind:     by_value
      - .actual_access:  read_only
        .address_space:  global
        .offset:         16
        .size:           8
        .value_kind:     global_buffer
      - .offset:         24
        .size:           8
        .value_kind:     by_value
      - .actual_access:  read_only
        .address_space:  global
        .offset:         32
        .size:           8
        .value_kind:     global_buffer
      - .actual_access:  read_only
        .address_space:  global
        .offset:         40
        .size:           8
        .value_kind:     global_buffer
      - .actual_access:  read_only
        .address_space:  global
        .offset:         48
        .size:           8
        .value_kind:     global_buffer
      - .actual_access:  read_only
        .address_space:  global
        .offset:         56
        .size:           8
        .value_kind:     global_buffer
      - .offset:         64
        .size:           8
        .value_kind:     by_value
      - .address_space:  global
        .offset:         72
        .size:           8
        .value_kind:     global_buffer
      - .offset:         80
        .size:           4
        .value_kind:     by_value
      - .offset:         84
        .size:           1
        .value_kind:     by_value
    .group_segment_fixed_size: 4096
    .kernarg_segment_align: 8
    .kernarg_segment_size: 88
    .language:       OpenCL C
    .language_version:
      - 2
      - 0
    .max_flat_workgroup_size: 256
    .name:           _ZL33csrmvn_symm_large_adaptive_kernelIllDF16_DF16_ffEvbT_PKS0_N9rocsparse24const_host_device_scalarIT4_EES2_PKT0_PKT1_PKT2_S6_PT3_21rocsparse_index_base_b
    .private_segment_fixed_size: 0
    .sgpr_count:     49
    .sgpr_spill_count: 0
    .symbol:         _ZL33csrmvn_symm_large_adaptive_kernelIllDF16_DF16_ffEvbT_PKS0_N9rocsparse24const_host_device_scalarIT4_EES2_PKT0_PKT1_PKT2_S6_PT3_21rocsparse_index_base_b.kd
    .uniform_work_group_size: 1
    .uses_dynamic_stack: false
    .vgpr_count:     18
    .vgpr_spill_count: 0
    .wavefront_size: 64
  - .agpr_count:     0
    .args:
      - .offset:         0
        .size:           1
        .value_kind:     by_value
      - .offset:         4
        .size:           4
        .value_kind:     by_value
      - .actual_access:  read_only
        .address_space:  global
        .offset:         8
        .size:           8
        .value_kind:     global_buffer
      - .address_space:  global
        .offset:         16
        .size:           8
        .value_kind:     global_buffer
      - .actual_access:  read_only
        .address_space:  global
        .offset:         24
        .size:           8
        .value_kind:     global_buffer
      - .offset:         32
        .size:           8
        .value_kind:     by_value
      - .actual_access:  read_only
        .address_space:  global
        .offset:         40
        .size:           8
        .value_kind:     global_buffer
      - .actual_access:  read_only
        .address_space:  global
        .offset:         48
        .size:           8
        .value_kind:     global_buffer
      - .actual_access:  read_only
        .address_space:  global
        .offset:         56
        .size:           8
        .value_kind:     global_buffer
      - .actual_access:  read_only
        .address_space:  global
        .offset:         64
        .size:           8
        .value_kind:     global_buffer
      - .offset:         72
        .size:           8
        .value_kind:     by_value
      - .address_space:  global
        .offset:         80
        .size:           8
        .value_kind:     global_buffer
      - .offset:         88
        .size:           4
        .value_kind:     by_value
      - .offset:         92
        .size:           1
        .value_kind:     by_value
    .group_segment_fixed_size: 4096
    .kernarg_segment_align: 8
    .kernarg_segment_size: 96
    .language:       OpenCL C
    .language_version:
      - 2
      - 0
    .max_flat_workgroup_size: 256
    .name:           _ZN9rocsparseL22csrmvn_adaptive_kernelIii18rocsparse_bfloat16S1_ffEEvbT_PKS2_PjPKT0_NS_24const_host_device_scalarIT4_EES4_S8_PKT1_PKT2_SB_PT3_21rocsparse_index_base_b
    .private_segment_fixed_size: 0
    .sgpr_count:     62
    .sgpr_spill_count: 0
    .symbol:         _ZN9rocsparseL22csrmvn_adaptive_kernelIii18rocsparse_bfloat16S1_ffEEvbT_PKS2_PjPKT0_NS_24const_host_device_scalarIT4_EES4_S8_PKT1_PKT2_SB_PT3_21rocsparse_index_base_b.kd
    .uniform_work_group_size: 1
    .uses_dynamic_stack: false
    .vgpr_count:     28
    .vgpr_spill_count: 0
    .wavefront_size: 64
  - .agpr_count:     0
    .args:
      - .offset:         0
        .size:           1
        .value_kind:     by_value
      - .offset:         4
        .size:           4
        .value_kind:     by_value
      - .offset:         8
        .size:           4
        .value_kind:     by_value
      - .actual_access:  read_only
        .address_space:  global
        .offset:         16
        .size:           8
        .value_kind:     global_buffer
      - .offset:         24
        .size:           8
        .value_kind:     by_value
      - .actual_access:  read_only
        .address_space:  global
        .offset:         32
        .size:           8
        .value_kind:     global_buffer
      - .actual_access:  read_only
        .address_space:  global
        .offset:         40
        .size:           8
        .value_kind:     global_buffer
      - .actual_access:  read_only
        .address_space:  global
        .offset:         48
        .size:           8
        .value_kind:     global_buffer
      - .actual_access:  read_only
        .address_space:  global
        .offset:         56
        .size:           8
        .value_kind:     global_buffer
      - .offset:         64
        .size:           8
        .value_kind:     by_value
      - .address_space:  global
        .offset:         72
        .size:           8
        .value_kind:     global_buffer
      - .offset:         80
        .size:           4
        .value_kind:     by_value
      - .offset:         84
        .size:           1
        .value_kind:     by_value
      - .offset:         88
        .size:           4
        .value_kind:     hidden_block_count_x
      - .offset:         92
        .size:           4
        .value_kind:     hidden_block_count_y
      - .offset:         96
        .size:           4
        .value_kind:     hidden_block_count_z
      - .offset:         100
        .size:           2
        .value_kind:     hidden_group_size_x
      - .offset:         102
        .size:           2
        .value_kind:     hidden_group_size_y
      - .offset:         104
        .size:           2
        .value_kind:     hidden_group_size_z
      - .offset:         106
        .size:           2
        .value_kind:     hidden_remainder_x
      - .offset:         108
        .size:           2
        .value_kind:     hidden_remainder_y
      - .offset:         110
        .size:           2
        .value_kind:     hidden_remainder_z
      - .offset:         128
        .size:           8
        .value_kind:     hidden_global_offset_x
      - .offset:         136
        .size:           8
        .value_kind:     hidden_global_offset_y
      - .offset:         144
        .size:           8
        .value_kind:     hidden_global_offset_z
      - .offset:         152
        .size:           2
        .value_kind:     hidden_grid_dims
      - .offset:         208
        .size:           4
        .value_kind:     hidden_dynamic_lds_size
    .group_segment_fixed_size: 4096
    .kernarg_segment_align: 8
    .kernarg_segment_size: 344
    .language:       OpenCL C
    .language_version:
      - 2
      - 0
    .max_flat_workgroup_size: 256
    .name:           _ZN9rocsparseL27csrmvn_symm_adaptive_kernelIii18rocsparse_bfloat16S1_ffEEvbT_S2_PKS2_NS_24const_host_device_scalarIT4_EES4_PKT0_PKT1_PKT2_S7_PT3_21rocsparse_index_base_b
    .private_segment_fixed_size: 0
    .sgpr_count:     53
    .sgpr_spill_count: 0
    .symbol:         _ZN9rocsparseL27csrmvn_symm_adaptive_kernelIii18rocsparse_bfloat16S1_ffEEvbT_S2_PKS2_NS_24const_host_device_scalarIT4_EES4_PKT0_PKT1_PKT2_S7_PT3_21rocsparse_index_base_b.kd
    .uniform_work_group_size: 1
    .uses_dynamic_stack: false
    .vgpr_count:     32
    .vgpr_spill_count: 0
    .wavefront_size: 64
  - .agpr_count:     0
    .args:
      - .offset:         0
        .size:           1
        .value_kind:     by_value
      - .offset:         4
        .size:           4
        .value_kind:     by_value
      - .actual_access:  read_only
        .address_space:  global
        .offset:         8
        .size:           8
        .value_kind:     global_buffer
      - .offset:         16
        .size:           8
        .value_kind:     by_value
      - .actual_access:  read_only
        .address_space:  global
        .offset:         24
        .size:           8
        .value_kind:     global_buffer
      - .actual_access:  read_only
        .address_space:  global
        .offset:         32
        .size:           8
        .value_kind:     global_buffer
      - .actual_access:  read_only
        .address_space:  global
        .offset:         40
        .size:           8
        .value_kind:     global_buffer
      - .actual_access:  read_only
        .address_space:  global
        .offset:         48
        .size:           8
        .value_kind:     global_buffer
      - .offset:         56
        .size:           8
        .value_kind:     by_value
      - .address_space:  global
        .offset:         64
        .size:           8
        .value_kind:     global_buffer
      - .offset:         72
        .size:           4
        .value_kind:     by_value
      - .offset:         76
        .size:           1
        .value_kind:     by_value
    .group_segment_fixed_size: 4096
    .kernarg_segment_align: 8
    .kernarg_segment_size: 80
    .language:       OpenCL C
    .language_version:
      - 2
      - 0
    .max_flat_workgroup_size: 256
    .name:           _ZL33csrmvn_symm_large_adaptive_kernelIii18rocsparse_bfloat16S0_ffEvbT_PKS1_N9rocsparse24const_host_device_scalarIT4_EES3_PKT0_PKT1_PKT2_S7_PT3_21rocsparse_index_base_b
    .private_segment_fixed_size: 0
    .sgpr_count:     43
    .sgpr_spill_count: 0
    .symbol:         _ZL33csrmvn_symm_large_adaptive_kernelIii18rocsparse_bfloat16S0_ffEvbT_PKS1_N9rocsparse24const_host_device_scalarIT4_EES3_PKT0_PKT1_PKT2_S7_PT3_21rocsparse_index_base_b.kd
    .uniform_work_group_size: 1
    .uses_dynamic_stack: false
    .vgpr_count:     13
    .vgpr_spill_count: 0
    .wavefront_size: 64
  - .agpr_count:     0
    .args:
      - .offset:         0
        .size:           1
        .value_kind:     by_value
      - .offset:         8
        .size:           8
        .value_kind:     by_value
      - .actual_access:  read_only
        .address_space:  global
        .offset:         16
        .size:           8
        .value_kind:     global_buffer
      - .address_space:  global
        .offset:         24
        .size:           8
        .value_kind:     global_buffer
      - .actual_access:  read_only
        .address_space:  global
        .offset:         32
        .size:           8
        .value_kind:     global_buffer
      - .offset:         40
        .size:           8
        .value_kind:     by_value
      - .actual_access:  read_only
        .address_space:  global
        .offset:         48
        .size:           8
        .value_kind:     global_buffer
      - .actual_access:  read_only
        .address_space:  global
        .offset:         56
        .size:           8
        .value_kind:     global_buffer
      - .actual_access:  read_only
        .address_space:  global
        .offset:         64
        .size:           8
        .value_kind:     global_buffer
      - .actual_access:  read_only
        .address_space:  global
        .offset:         72
        .size:           8
        .value_kind:     global_buffer
      - .offset:         80
        .size:           8
        .value_kind:     by_value
      - .address_space:  global
        .offset:         88
        .size:           8
        .value_kind:     global_buffer
      - .offset:         96
        .size:           4
        .value_kind:     by_value
      - .offset:         100
        .size:           1
        .value_kind:     by_value
    .group_segment_fixed_size: 4096
    .kernarg_segment_align: 8
    .kernarg_segment_size: 104
    .language:       OpenCL C
    .language_version:
      - 2
      - 0
    .max_flat_workgroup_size: 256
    .name:           _ZN9rocsparseL22csrmvn_adaptive_kernelIli18rocsparse_bfloat16S1_ffEEvbT_PKS2_PjPKT0_NS_24const_host_device_scalarIT4_EES4_S8_PKT1_PKT2_SB_PT3_21rocsparse_index_base_b
    .private_segment_fixed_size: 0
    .sgpr_count:     66
    .sgpr_spill_count: 0
    .symbol:         _ZN9rocsparseL22csrmvn_adaptive_kernelIli18rocsparse_bfloat16S1_ffEEvbT_PKS2_PjPKT0_NS_24const_host_device_scalarIT4_EES4_S8_PKT1_PKT2_SB_PT3_21rocsparse_index_base_b.kd
    .uniform_work_group_size: 1
    .uses_dynamic_stack: false
    .vgpr_count:     25
    .vgpr_spill_count: 0
    .wavefront_size: 64
  - .agpr_count:     0
    .args:
      - .offset:         0
        .size:           1
        .value_kind:     by_value
      - .offset:         8
        .size:           8
        .value_kind:     by_value
      - .offset:         16
        .size:           8
        .value_kind:     by_value
      - .actual_access:  read_only
        .address_space:  global
        .offset:         24
        .size:           8
        .value_kind:     global_buffer
      - .offset:         32
        .size:           8
        .value_kind:     by_value
      - .actual_access:  read_only
        .address_space:  global
        .offset:         40
        .size:           8
        .value_kind:     global_buffer
      - .actual_access:  read_only
        .address_space:  global
        .offset:         48
        .size:           8
        .value_kind:     global_buffer
      - .actual_access:  read_only
        .address_space:  global
        .offset:         56
        .size:           8
        .value_kind:     global_buffer
      - .actual_access:  read_only
        .address_space:  global
        .offset:         64
        .size:           8
        .value_kind:     global_buffer
      - .offset:         72
        .size:           8
        .value_kind:     by_value
      - .address_space:  global
        .offset:         80
        .size:           8
        .value_kind:     global_buffer
      - .offset:         88
        .size:           4
        .value_kind:     by_value
      - .offset:         92
        .size:           1
        .value_kind:     by_value
      - .offset:         96
        .size:           4
        .value_kind:     hidden_block_count_x
      - .offset:         100
        .size:           4
        .value_kind:     hidden_block_count_y
      - .offset:         104
        .size:           4
        .value_kind:     hidden_block_count_z
      - .offset:         108
        .size:           2
        .value_kind:     hidden_group_size_x
      - .offset:         110
        .size:           2
        .value_kind:     hidden_group_size_y
      - .offset:         112
        .size:           2
        .value_kind:     hidden_group_size_z
      - .offset:         114
        .size:           2
        .value_kind:     hidden_remainder_x
      - .offset:         116
        .size:           2
        .value_kind:     hidden_remainder_y
      - .offset:         118
        .size:           2
        .value_kind:     hidden_remainder_z
      - .offset:         136
        .size:           8
        .value_kind:     hidden_global_offset_x
      - .offset:         144
        .size:           8
        .value_kind:     hidden_global_offset_y
      - .offset:         152
        .size:           8
        .value_kind:     hidden_global_offset_z
      - .offset:         160
        .size:           2
        .value_kind:     hidden_grid_dims
      - .offset:         216
        .size:           4
        .value_kind:     hidden_dynamic_lds_size
    .group_segment_fixed_size: 4096
    .kernarg_segment_align: 8
    .kernarg_segment_size: 352
    .language:       OpenCL C
    .language_version:
      - 2
      - 0
    .max_flat_workgroup_size: 256
    .name:           _ZN9rocsparseL27csrmvn_symm_adaptive_kernelIli18rocsparse_bfloat16S1_ffEEvbT_S2_PKS2_NS_24const_host_device_scalarIT4_EES4_PKT0_PKT1_PKT2_S7_PT3_21rocsparse_index_base_b
    .private_segment_fixed_size: 0
    .sgpr_count:     56
    .sgpr_spill_count: 0
    .symbol:         _ZN9rocsparseL27csrmvn_symm_adaptive_kernelIli18rocsparse_bfloat16S1_ffEEvbT_S2_PKS2_NS_24const_host_device_scalarIT4_EES4_PKT0_PKT1_PKT2_S7_PT3_21rocsparse_index_base_b.kd
    .uniform_work_group_size: 1
    .uses_dynamic_stack: false
    .vgpr_count:     24
    .vgpr_spill_count: 0
    .wavefront_size: 64
  - .agpr_count:     0
    .args:
      - .offset:         0
        .size:           1
        .value_kind:     by_value
      - .offset:         8
        .size:           8
        .value_kind:     by_value
      - .actual_access:  read_only
        .address_space:  global
        .offset:         16
        .size:           8
        .value_kind:     global_buffer
      - .offset:         24
        .size:           8
        .value_kind:     by_value
      - .actual_access:  read_only
        .address_space:  global
        .offset:         32
        .size:           8
        .value_kind:     global_buffer
      - .actual_access:  read_only
        .address_space:  global
        .offset:         40
        .size:           8
        .value_kind:     global_buffer
      - .actual_access:  read_only
        .address_space:  global
        .offset:         48
        .size:           8
        .value_kind:     global_buffer
      - .actual_access:  read_only
        .address_space:  global
        .offset:         56
        .size:           8
        .value_kind:     global_buffer
      - .offset:         64
        .size:           8
        .value_kind:     by_value
      - .address_space:  global
        .offset:         72
        .size:           8
        .value_kind:     global_buffer
      - .offset:         80
        .size:           4
        .value_kind:     by_value
      - .offset:         84
        .size:           1
        .value_kind:     by_value
    .group_segment_fixed_size: 4096
    .kernarg_segment_align: 8
    .kernarg_segment_size: 88
    .language:       OpenCL C
    .language_version:
      - 2
      - 0
    .max_flat_workgroup_size: 256
    .name:           _ZL33csrmvn_symm_large_adaptive_kernelIli18rocsparse_bfloat16S0_ffEvbT_PKS1_N9rocsparse24const_host_device_scalarIT4_EES3_PKT0_PKT1_PKT2_S7_PT3_21rocsparse_index_base_b
    .private_segment_fixed_size: 0
    .sgpr_count:     49
    .sgpr_spill_count: 0
    .symbol:         _ZL33csrmvn_symm_large_adaptive_kernelIli18rocsparse_bfloat16S0_ffEvbT_PKS1_N9rocsparse24const_host_device_scalarIT4_EES3_PKT0_PKT1_PKT2_S7_PT3_21rocsparse_index_base_b.kd
    .uniform_work_group_size: 1
    .uses_dynamic_stack: false
    .vgpr_count:     17
    .vgpr_spill_count: 0
    .wavefront_size: 64
  - .agpr_count:     0
    .args:
      - .offset:         0
        .size:           1
        .value_kind:     by_value
      - .offset:         8
        .size:           8
        .value_kind:     by_value
      - .actual_access:  read_only
        .address_space:  global
        .offset:         16
        .size:           8
        .value_kind:     global_buffer
      - .address_space:  global
        .offset:         24
        .size:           8
        .value_kind:     global_buffer
      - .actual_access:  read_only
        .address_space:  global
        .offset:         32
        .size:           8
        .value_kind:     global_buffer
      - .offset:         40
        .size:           8
        .value_kind:     by_value
      - .actual_access:  read_only
        .address_space:  global
        .offset:         48
        .size:           8
        .value_kind:     global_buffer
      - .actual_access:  read_only
        .address_space:  global
        .offset:         56
        .size:           8
        .value_kind:     global_buffer
      - .actual_access:  read_only
        .address_space:  global
        .offset:         64
        .size:           8
        .value_kind:     global_buffer
      - .actual_access:  read_only
        .address_space:  global
        .offset:         72
        .size:           8
        .value_kind:     global_buffer
      - .offset:         80
        .size:           8
        .value_kind:     by_value
      - .address_space:  global
        .offset:         88
        .size:           8
        .value_kind:     global_buffer
      - .offset:         96
        .size:           4
        .value_kind:     by_value
      - .offset:         100
        .size:           1
        .value_kind:     by_value
    .group_segment_fixed_size: 4096
    .kernarg_segment_align: 8
    .kernarg_segment_size: 104
    .language:       OpenCL C
    .language_version:
      - 2
      - 0
    .max_flat_workgroup_size: 256
    .name:           _ZN9rocsparseL22csrmvn_adaptive_kernelIll18rocsparse_bfloat16S1_ffEEvbT_PKS2_PjPKT0_NS_24const_host_device_scalarIT4_EES4_S8_PKT1_PKT2_SB_PT3_21rocsparse_index_base_b
    .private_segment_fixed_size: 0
    .sgpr_count:     66
    .sgpr_spill_count: 0
    .symbol:         _ZN9rocsparseL22csrmvn_adaptive_kernelIll18rocsparse_bfloat16S1_ffEEvbT_PKS2_PjPKT0_NS_24const_host_device_scalarIT4_EES4_S8_PKT1_PKT2_SB_PT3_21rocsparse_index_base_b.kd
    .uniform_work_group_size: 1
    .uses_dynamic_stack: false
    .vgpr_count:     20
    .vgpr_spill_count: 0
    .wavefront_size: 64
  - .agpr_count:     0
    .args:
      - .offset:         0
        .size:           1
        .value_kind:     by_value
      - .offset:         8
        .size:           8
        .value_kind:     by_value
      - .offset:         16
        .size:           8
        .value_kind:     by_value
      - .actual_access:  read_only
        .address_space:  global
        .offset:         24
        .size:           8
        .value_kind:     global_buffer
      - .offset:         32
        .size:           8
        .value_kind:     by_value
      - .actual_access:  read_only
        .address_space:  global
        .offset:         40
        .size:           8
        .value_kind:     global_buffer
      - .actual_access:  read_only
        .address_space:  global
        .offset:         48
        .size:           8
        .value_kind:     global_buffer
      - .actual_access:  read_only
        .address_space:  global
        .offset:         56
        .size:           8
        .value_kind:     global_buffer
      - .actual_access:  read_only
        .address_space:  global
        .offset:         64
        .size:           8
        .value_kind:     global_buffer
      - .offset:         72
        .size:           8
        .value_kind:     by_value
      - .address_space:  global
        .offset:         80
        .size:           8
        .value_kind:     global_buffer
      - .offset:         88
        .size:           4
        .value_kind:     by_value
      - .offset:         92
        .size:           1
        .value_kind:     by_value
      - .offset:         96
        .size:           4
        .value_kind:     hidden_block_count_x
      - .offset:         100
        .size:           4
        .value_kind:     hidden_block_count_y
      - .offset:         104
        .size:           4
        .value_kind:     hidden_block_count_z
      - .offset:         108
        .size:           2
        .value_kind:     hidden_group_size_x
      - .offset:         110
        .size:           2
        .value_kind:     hidden_group_size_y
      - .offset:         112
        .size:           2
        .value_kind:     hidden_group_size_z
      - .offset:         114
        .size:           2
        .value_kind:     hidden_remainder_x
      - .offset:         116
        .size:           2
        .value_kind:     hidden_remainder_y
      - .offset:         118
        .size:           2
        .value_kind:     hidden_remainder_z
      - .offset:         136
        .size:           8
        .value_kind:     hidden_global_offset_x
      - .offset:         144
        .size:           8
        .value_kind:     hidden_global_offset_y
      - .offset:         152
        .size:           8
        .value_kind:     hidden_global_offset_z
      - .offset:         160
        .size:           2
        .value_kind:     hidden_grid_dims
      - .offset:         216
        .size:           4
        .value_kind:     hidden_dynamic_lds_size
    .group_segment_fixed_size: 4096
    .kernarg_segment_align: 8
    .kernarg_segment_size: 352
    .language:       OpenCL C
    .language_version:
      - 2
      - 0
    .max_flat_workgroup_size: 256
    .name:           _ZN9rocsparseL27csrmvn_symm_adaptive_kernelIll18rocsparse_bfloat16S1_ffEEvbT_S2_PKS2_NS_24const_host_device_scalarIT4_EES4_PKT0_PKT1_PKT2_S7_PT3_21rocsparse_index_base_b
    .private_segment_fixed_size: 0
    .sgpr_count:     56
    .sgpr_spill_count: 0
    .symbol:         _ZN9rocsparseL27csrmvn_symm_adaptive_kernelIll18rocsparse_bfloat16S1_ffEEvbT_S2_PKS2_NS_24const_host_device_scalarIT4_EES4_PKT0_PKT1_PKT2_S7_PT3_21rocsparse_index_base_b.kd
    .uniform_work_group_size: 1
    .uses_dynamic_stack: false
    .vgpr_count:     24
    .vgpr_spill_count: 0
    .wavefront_size: 64
  - .agpr_count:     0
    .args:
      - .offset:         0
        .size:           1
        .value_kind:     by_value
      - .offset:         8
        .size:           8
        .value_kind:     by_value
      - .actual_access:  read_only
        .address_space:  global
        .offset:         16
        .size:           8
        .value_kind:     global_buffer
      - .offset:         24
        .size:           8
        .value_kind:     by_value
      - .actual_access:  read_only
        .address_space:  global
        .offset:         32
        .size:           8
        .value_kind:     global_buffer
      - .actual_access:  read_only
        .address_space:  global
        .offset:         40
        .size:           8
        .value_kind:     global_buffer
      - .actual_access:  read_only
        .address_space:  global
        .offset:         48
        .size:           8
        .value_kind:     global_buffer
      - .actual_access:  read_only
        .address_space:  global
        .offset:         56
        .size:           8
        .value_kind:     global_buffer
      - .offset:         64
        .size:           8
        .value_kind:     by_value
      - .address_space:  global
        .offset:         72
        .size:           8
        .value_kind:     global_buffer
      - .offset:         80
        .size:           4
        .value_kind:     by_value
      - .offset:         84
        .size:           1
        .value_kind:     by_value
    .group_segment_fixed_size: 4096
    .kernarg_segment_align: 8
    .kernarg_segment_size: 88
    .language:       OpenCL C
    .language_version:
      - 2
      - 0
    .max_flat_workgroup_size: 256
    .name:           _ZL33csrmvn_symm_large_adaptive_kernelIll18rocsparse_bfloat16S0_ffEvbT_PKS1_N9rocsparse24const_host_device_scalarIT4_EES3_PKT0_PKT1_PKT2_S7_PT3_21rocsparse_index_base_b
    .private_segment_fixed_size: 0
    .sgpr_count:     49
    .sgpr_spill_count: 0
    .symbol:         _ZL33csrmvn_symm_large_adaptive_kernelIll18rocsparse_bfloat16S0_ffEvbT_PKS1_N9rocsparse24const_host_device_scalarIT4_EES3_PKT0_PKT1_PKT2_S7_PT3_21rocsparse_index_base_b.kd
    .uniform_work_group_size: 1
    .uses_dynamic_stack: false
    .vgpr_count:     18
    .vgpr_spill_count: 0
    .wavefront_size: 64
  - .agpr_count:     0
    .args:
      - .offset:         0
        .size:           1
        .value_kind:     by_value
      - .offset:         4
        .size:           4
        .value_kind:     by_value
      - .actual_access:  read_only
        .address_space:  global
        .offset:         8
        .size:           8
        .value_kind:     global_buffer
      - .address_space:  global
        .offset:         16
        .size:           8
        .value_kind:     global_buffer
      - .actual_access:  read_only
        .address_space:  global
        .offset:         24
        .size:           8
        .value_kind:     global_buffer
      - .offset:         32
        .size:           8
        .value_kind:     by_value
      - .actual_access:  read_only
        .address_space:  global
        .offset:         40
        .size:           8
        .value_kind:     global_buffer
      - .actual_access:  read_only
        .address_space:  global
        .offset:         48
        .size:           8
        .value_kind:     global_buffer
      - .actual_access:  read_only
        .address_space:  global
        .offset:         56
        .size:           8
        .value_kind:     global_buffer
      - .actual_access:  read_only
        .address_space:  global
        .offset:         64
        .size:           8
        .value_kind:     global_buffer
      - .offset:         72
        .size:           8
        .value_kind:     by_value
      - .address_space:  global
        .offset:         80
        .size:           8
        .value_kind:     global_buffer
      - .offset:         88
        .size:           4
        .value_kind:     by_value
      - .offset:         92
        .size:           1
        .value_kind:     by_value
    .group_segment_fixed_size: 8192
    .kernarg_segment_align: 8
    .kernarg_segment_size: 96
    .language:       OpenCL C
    .language_version:
      - 2
      - 0
    .max_flat_workgroup_size: 256
    .name:           _ZN9rocsparseL22csrmvn_adaptive_kernelIiif21rocsparse_complex_numIfES2_S2_EEvbT_PKS3_PjPKT0_NS_24const_host_device_scalarIT4_EES5_S9_PKT1_PKT2_SC_PT3_21rocsparse_index_base_b
    .private_segment_fixed_size: 0
    .sgpr_count:     59
    .sgpr_spill_count: 0
    .symbol:         _ZN9rocsparseL22csrmvn_adaptive_kernelIiif21rocsparse_complex_numIfES2_S2_EEvbT_PKS3_PjPKT0_NS_24const_host_device_scalarIT4_EES5_S9_PKT1_PKT2_SC_PT3_21rocsparse_index_base_b.kd
    .uniform_work_group_size: 1
    .uses_dynamic_stack: false
    .vgpr_count:     48
    .vgpr_spill_count: 0
    .wavefront_size: 64
  - .agpr_count:     0
    .args:
      - .offset:         0
        .size:           1
        .value_kind:     by_value
      - .offset:         4
        .size:           4
        .value_kind:     by_value
      - .offset:         8
        .size:           4
        .value_kind:     by_value
      - .actual_access:  read_only
        .address_space:  global
        .offset:         16
        .size:           8
        .value_kind:     global_buffer
      - .offset:         24
        .size:           8
        .value_kind:     by_value
      - .actual_access:  read_only
        .address_space:  global
        .offset:         32
        .size:           8
        .value_kind:     global_buffer
      - .actual_access:  read_only
        .address_space:  global
        .offset:         40
        .size:           8
        .value_kind:     global_buffer
      - .actual_access:  read_only
        .address_space:  global
        .offset:         48
        .size:           8
        .value_kind:     global_buffer
      - .actual_access:  read_only
        .address_space:  global
        .offset:         56
        .size:           8
        .value_kind:     global_buffer
      - .offset:         64
        .size:           8
        .value_kind:     by_value
      - .address_space:  global
        .offset:         72
        .size:           8
        .value_kind:     global_buffer
      - .offset:         80
        .size:           4
        .value_kind:     by_value
      - .offset:         84
        .size:           1
        .value_kind:     by_value
      - .offset:         88
        .size:           4
        .value_kind:     hidden_block_count_x
      - .offset:         92
        .size:           4
        .value_kind:     hidden_block_count_y
      - .offset:         96
        .size:           4
        .value_kind:     hidden_block_count_z
      - .offset:         100
        .size:           2
        .value_kind:     hidden_group_size_x
      - .offset:         102
        .size:           2
        .value_kind:     hidden_group_size_y
      - .offset:         104
        .size:           2
        .value_kind:     hidden_group_size_z
      - .offset:         106
        .size:           2
        .value_kind:     hidden_remainder_x
      - .offset:         108
        .size:           2
        .value_kind:     hidden_remainder_y
      - .offset:         110
        .size:           2
        .value_kind:     hidden_remainder_z
      - .offset:         128
        .size:           8
        .value_kind:     hidden_global_offset_x
      - .offset:         136
        .size:           8
        .value_kind:     hidden_global_offset_y
      - .offset:         144
        .size:           8
        .value_kind:     hidden_global_offset_z
      - .offset:         152
        .size:           2
        .value_kind:     hidden_grid_dims
      - .offset:         208
        .size:           4
        .value_kind:     hidden_dynamic_lds_size
    .group_segment_fixed_size: 8192
    .kernarg_segment_align: 8
    .kernarg_segment_size: 344
    .language:       OpenCL C
    .language_version:
      - 2
      - 0
    .max_flat_workgroup_size: 256
    .name:           _ZN9rocsparseL27csrmvn_symm_adaptive_kernelIiif21rocsparse_complex_numIfES2_S2_EEvbT_S3_PKS3_NS_24const_host_device_scalarIT4_EES5_PKT0_PKT1_PKT2_S8_PT3_21rocsparse_index_base_b
    .private_segment_fixed_size: 0
    .sgpr_count:     51
    .sgpr_spill_count: 0
    .symbol:         _ZN9rocsparseL27csrmvn_symm_adaptive_kernelIiif21rocsparse_complex_numIfES2_S2_EEvbT_S3_PKS3_NS_24const_host_device_scalarIT4_EES5_PKT0_PKT1_PKT2_S8_PT3_21rocsparse_index_base_b.kd
    .uniform_work_group_size: 1
    .uses_dynamic_stack: false
    .vgpr_count:     48
    .vgpr_spill_count: 0
    .wavefront_size: 64
  - .agpr_count:     0
    .args:
      - .offset:         0
        .size:           1
        .value_kind:     by_value
      - .offset:         4
        .size:           4
        .value_kind:     by_value
      - .actual_access:  read_only
        .address_space:  global
        .offset:         8
        .size:           8
        .value_kind:     global_buffer
      - .offset:         16
        .size:           8
        .value_kind:     by_value
      - .actual_access:  read_only
        .address_space:  global
        .offset:         24
        .size:           8
        .value_kind:     global_buffer
      - .actual_access:  read_only
        .address_space:  global
        .offset:         32
        .size:           8
        .value_kind:     global_buffer
      - .actual_access:  read_only
        .address_space:  global
        .offset:         40
        .size:           8
        .value_kind:     global_buffer
      - .actual_access:  read_only
        .address_space:  global
        .offset:         48
        .size:           8
        .value_kind:     global_buffer
      - .offset:         56
        .size:           8
        .value_kind:     by_value
      - .address_space:  global
        .offset:         64
        .size:           8
        .value_kind:     global_buffer
      - .offset:         72
        .size:           4
        .value_kind:     by_value
      - .offset:         76
        .size:           1
        .value_kind:     by_value
    .group_segment_fixed_size: 8192
    .kernarg_segment_align: 8
    .kernarg_segment_size: 80
    .language:       OpenCL C
    .language_version:
      - 2
      - 0
    .max_flat_workgroup_size: 256
    .name:           _ZL33csrmvn_symm_large_adaptive_kernelIiif21rocsparse_complex_numIfES1_S1_EvbT_PKS2_N9rocsparse24const_host_device_scalarIT4_EES4_PKT0_PKT1_PKT2_S8_PT3_21rocsparse_index_base_b
    .private_segment_fixed_size: 0
    .sgpr_count:     43
    .sgpr_spill_count: 0
    .symbol:         _ZL33csrmvn_symm_large_adaptive_kernelIiif21rocsparse_complex_numIfES1_S1_EvbT_PKS2_N9rocsparse24const_host_device_scalarIT4_EES4_PKT0_PKT1_PKT2_S8_PT3_21rocsparse_index_base_b.kd
    .uniform_work_group_size: 1
    .uses_dynamic_stack: false
    .vgpr_count:     20
    .vgpr_spill_count: 0
    .wavefront_size: 64
  - .agpr_count:     0
    .args:
      - .offset:         0
        .size:           1
        .value_kind:     by_value
      - .offset:         8
        .size:           8
        .value_kind:     by_value
      - .actual_access:  read_only
        .address_space:  global
        .offset:         16
        .size:           8
        .value_kind:     global_buffer
      - .address_space:  global
        .offset:         24
        .size:           8
        .value_kind:     global_buffer
      - .actual_access:  read_only
        .address_space:  global
        .offset:         32
        .size:           8
        .value_kind:     global_buffer
      - .offset:         40
        .size:           8
        .value_kind:     by_value
      - .actual_access:  read_only
        .address_space:  global
        .offset:         48
        .size:           8
        .value_kind:     global_buffer
      - .actual_access:  read_only
        .address_space:  global
        .offset:         56
        .size:           8
        .value_kind:     global_buffer
      - .actual_access:  read_only
        .address_space:  global
        .offset:         64
        .size:           8
        .value_kind:     global_buffer
      - .actual_access:  read_only
        .address_space:  global
        .offset:         72
        .size:           8
        .value_kind:     global_buffer
      - .offset:         80
        .size:           8
        .value_kind:     by_value
      - .address_space:  global
        .offset:         88
        .size:           8
        .value_kind:     global_buffer
      - .offset:         96
        .size:           4
        .value_kind:     by_value
      - .offset:         100
        .size:           1
        .value_kind:     by_value
    .group_segment_fixed_size: 8192
    .kernarg_segment_align: 8
    .kernarg_segment_size: 104
    .language:       OpenCL C
    .language_version:
      - 2
      - 0
    .max_flat_workgroup_size: 256
    .name:           _ZN9rocsparseL22csrmvn_adaptive_kernelIlif21rocsparse_complex_numIfES2_S2_EEvbT_PKS3_PjPKT0_NS_24const_host_device_scalarIT4_EES5_S9_PKT1_PKT2_SC_PT3_21rocsparse_index_base_b
    .private_segment_fixed_size: 0
    .sgpr_count:     67
    .sgpr_spill_count: 0
    .symbol:         _ZN9rocsparseL22csrmvn_adaptive_kernelIlif21rocsparse_complex_numIfES2_S2_EEvbT_PKS3_PjPKT0_NS_24const_host_device_scalarIT4_EES5_S9_PKT1_PKT2_SC_PT3_21rocsparse_index_base_b.kd
    .uniform_work_group_size: 1
    .uses_dynamic_stack: false
    .vgpr_count:     41
    .vgpr_spill_count: 0
    .wavefront_size: 64
  - .agpr_count:     0
    .args:
      - .offset:         0
        .size:           1
        .value_kind:     by_value
      - .offset:         8
        .size:           8
        .value_kind:     by_value
      - .offset:         16
        .size:           8
        .value_kind:     by_value
      - .actual_access:  read_only
        .address_space:  global
        .offset:         24
        .size:           8
        .value_kind:     global_buffer
      - .offset:         32
        .size:           8
        .value_kind:     by_value
      - .actual_access:  read_only
        .address_space:  global
        .offset:         40
        .size:           8
        .value_kind:     global_buffer
      - .actual_access:  read_only
        .address_space:  global
        .offset:         48
        .size:           8
        .value_kind:     global_buffer
      - .actual_access:  read_only
        .address_space:  global
        .offset:         56
        .size:           8
        .value_kind:     global_buffer
      - .actual_access:  read_only
        .address_space:  global
        .offset:         64
        .size:           8
        .value_kind:     global_buffer
      - .offset:         72
        .size:           8
        .value_kind:     by_value
      - .address_space:  global
        .offset:         80
        .size:           8
        .value_kind:     global_buffer
      - .offset:         88
        .size:           4
        .value_kind:     by_value
      - .offset:         92
        .size:           1
        .value_kind:     by_value
      - .offset:         96
        .size:           4
        .value_kind:     hidden_block_count_x
      - .offset:         100
        .size:           4
        .value_kind:     hidden_block_count_y
      - .offset:         104
        .size:           4
        .value_kind:     hidden_block_count_z
      - .offset:         108
        .size:           2
        .value_kind:     hidden_group_size_x
      - .offset:         110
        .size:           2
        .value_kind:     hidden_group_size_y
      - .offset:         112
        .size:           2
        .value_kind:     hidden_group_size_z
      - .offset:         114
        .size:           2
        .value_kind:     hidden_remainder_x
      - .offset:         116
        .size:           2
        .value_kind:     hidden_remainder_y
      - .offset:         118
        .size:           2
        .value_kind:     hidden_remainder_z
      - .offset:         136
        .size:           8
        .value_kind:     hidden_global_offset_x
      - .offset:         144
        .size:           8
        .value_kind:     hidden_global_offset_y
      - .offset:         152
        .size:           8
        .value_kind:     hidden_global_offset_z
      - .offset:         160
        .size:           2
        .value_kind:     hidden_grid_dims
      - .offset:         216
        .size:           4
        .value_kind:     hidden_dynamic_lds_size
    .group_segment_fixed_size: 8192
    .kernarg_segment_align: 8
    .kernarg_segment_size: 352
    .language:       OpenCL C
    .language_version:
      - 2
      - 0
    .max_flat_workgroup_size: 256
    .name:           _ZN9rocsparseL27csrmvn_symm_adaptive_kernelIlif21rocsparse_complex_numIfES2_S2_EEvbT_S3_PKS3_NS_24const_host_device_scalarIT4_EES5_PKT0_PKT1_PKT2_S8_PT3_21rocsparse_index_base_b
    .private_segment_fixed_size: 0
    .sgpr_count:     56
    .sgpr_spill_count: 0
    .symbol:         _ZN9rocsparseL27csrmvn_symm_adaptive_kernelIlif21rocsparse_complex_numIfES2_S2_EEvbT_S3_PKS3_NS_24const_host_device_scalarIT4_EES5_PKT0_PKT1_PKT2_S8_PT3_21rocsparse_index_base_b.kd
    .uniform_work_group_size: 1
    .uses_dynamic_stack: false
    .vgpr_count:     38
    .vgpr_spill_count: 0
    .wavefront_size: 64
  - .agpr_count:     0
    .args:
      - .offset:         0
        .size:           1
        .value_kind:     by_value
      - .offset:         8
        .size:           8
        .value_kind:     by_value
      - .actual_access:  read_only
        .address_space:  global
        .offset:         16
        .size:           8
        .value_kind:     global_buffer
      - .offset:         24
        .size:           8
        .value_kind:     by_value
      - .actual_access:  read_only
        .address_space:  global
        .offset:         32
        .size:           8
        .value_kind:     global_buffer
      - .actual_access:  read_only
        .address_space:  global
        .offset:         40
        .size:           8
        .value_kind:     global_buffer
      - .actual_access:  read_only
        .address_space:  global
        .offset:         48
        .size:           8
        .value_kind:     global_buffer
      - .actual_access:  read_only
        .address_space:  global
        .offset:         56
        .size:           8
        .value_kind:     global_buffer
      - .offset:         64
        .size:           8
        .value_kind:     by_value
      - .address_space:  global
        .offset:         72
        .size:           8
        .value_kind:     global_buffer
      - .offset:         80
        .size:           4
        .value_kind:     by_value
      - .offset:         84
        .size:           1
        .value_kind:     by_value
    .group_segment_fixed_size: 8192
    .kernarg_segment_align: 8
    .kernarg_segment_size: 88
    .language:       OpenCL C
    .language_version:
      - 2
      - 0
    .max_flat_workgroup_size: 256
    .name:           _ZL33csrmvn_symm_large_adaptive_kernelIlif21rocsparse_complex_numIfES1_S1_EvbT_PKS2_N9rocsparse24const_host_device_scalarIT4_EES4_PKT0_PKT1_PKT2_S8_PT3_21rocsparse_index_base_b
    .private_segment_fixed_size: 0
    .sgpr_count:     50
    .sgpr_spill_count: 0
    .symbol:         _ZL33csrmvn_symm_large_adaptive_kernelIlif21rocsparse_complex_numIfES1_S1_EvbT_PKS2_N9rocsparse24const_host_device_scalarIT4_EES4_PKT0_PKT1_PKT2_S8_PT3_21rocsparse_index_base_b.kd
    .uniform_work_group_size: 1
    .uses_dynamic_stack: false
    .vgpr_count:     22
    .vgpr_spill_count: 0
    .wavefront_size: 64
  - .agpr_count:     0
    .args:
      - .offset:         0
        .size:           1
        .value_kind:     by_value
      - .offset:         8
        .size:           8
        .value_kind:     by_value
      - .actual_access:  read_only
        .address_space:  global
        .offset:         16
        .size:           8
        .value_kind:     global_buffer
      - .address_space:  global
        .offset:         24
        .size:           8
        .value_kind:     global_buffer
      - .actual_access:  read_only
        .address_space:  global
        .offset:         32
        .size:           8
        .value_kind:     global_buffer
      - .offset:         40
        .size:           8
        .value_kind:     by_value
      - .actual_access:  read_only
        .address_space:  global
        .offset:         48
        .size:           8
        .value_kind:     global_buffer
      - .actual_access:  read_only
        .address_space:  global
        .offset:         56
        .size:           8
        .value_kind:     global_buffer
      - .actual_access:  read_only
        .address_space:  global
        .offset:         64
        .size:           8
        .value_kind:     global_buffer
      - .actual_access:  read_only
        .address_space:  global
        .offset:         72
        .size:           8
        .value_kind:     global_buffer
      - .offset:         80
        .size:           8
        .value_kind:     by_value
      - .address_space:  global
        .offset:         88
        .size:           8
        .value_kind:     global_buffer
      - .offset:         96
        .size:           4
        .value_kind:     by_value
      - .offset:         100
        .size:           1
        .value_kind:     by_value
    .group_segment_fixed_size: 8192
    .kernarg_segment_align: 8
    .kernarg_segment_size: 104
    .language:       OpenCL C
    .language_version:
      - 2
      - 0
    .max_flat_workgroup_size: 256
    .name:           _ZN9rocsparseL22csrmvn_adaptive_kernelIllf21rocsparse_complex_numIfES2_S2_EEvbT_PKS3_PjPKT0_NS_24const_host_device_scalarIT4_EES5_S9_PKT1_PKT2_SC_PT3_21rocsparse_index_base_b
    .private_segment_fixed_size: 0
    .sgpr_count:     67
    .sgpr_spill_count: 0
    .symbol:         _ZN9rocsparseL22csrmvn_adaptive_kernelIllf21rocsparse_complex_numIfES2_S2_EEvbT_PKS3_PjPKT0_NS_24const_host_device_scalarIT4_EES5_S9_PKT1_PKT2_SC_PT3_21rocsparse_index_base_b.kd
    .uniform_work_group_size: 1
    .uses_dynamic_stack: false
    .vgpr_count:     30
    .vgpr_spill_count: 0
    .wavefront_size: 64
  - .agpr_count:     0
    .args:
      - .offset:         0
        .size:           1
        .value_kind:     by_value
      - .offset:         8
        .size:           8
        .value_kind:     by_value
      - .offset:         16
        .size:           8
        .value_kind:     by_value
      - .actual_access:  read_only
        .address_space:  global
        .offset:         24
        .size:           8
        .value_kind:     global_buffer
      - .offset:         32
        .size:           8
        .value_kind:     by_value
      - .actual_access:  read_only
        .address_space:  global
        .offset:         40
        .size:           8
        .value_kind:     global_buffer
      - .actual_access:  read_only
        .address_space:  global
        .offset:         48
        .size:           8
        .value_kind:     global_buffer
      - .actual_access:  read_only
        .address_space:  global
        .offset:         56
        .size:           8
        .value_kind:     global_buffer
      - .actual_access:  read_only
        .address_space:  global
        .offset:         64
        .size:           8
        .value_kind:     global_buffer
      - .offset:         72
        .size:           8
        .value_kind:     by_value
      - .address_space:  global
        .offset:         80
        .size:           8
        .value_kind:     global_buffer
      - .offset:         88
        .size:           4
        .value_kind:     by_value
      - .offset:         92
        .size:           1
        .value_kind:     by_value
      - .offset:         96
        .size:           4
        .value_kind:     hidden_block_count_x
      - .offset:         100
        .size:           4
        .value_kind:     hidden_block_count_y
      - .offset:         104
        .size:           4
        .value_kind:     hidden_block_count_z
      - .offset:         108
        .size:           2
        .value_kind:     hidden_group_size_x
      - .offset:         110
        .size:           2
        .value_kind:     hidden_group_size_y
      - .offset:         112
        .size:           2
        .value_kind:     hidden_group_size_z
      - .offset:         114
        .size:           2
        .value_kind:     hidden_remainder_x
      - .offset:         116
        .size:           2
        .value_kind:     hidden_remainder_y
      - .offset:         118
        .size:           2
        .value_kind:     hidden_remainder_z
      - .offset:         136
        .size:           8
        .value_kind:     hidden_global_offset_x
      - .offset:         144
        .size:           8
        .value_kind:     hidden_global_offset_y
      - .offset:         152
        .size:           8
        .value_kind:     hidden_global_offset_z
      - .offset:         160
        .size:           2
        .value_kind:     hidden_grid_dims
      - .offset:         216
        .size:           4
        .value_kind:     hidden_dynamic_lds_size
    .group_segment_fixed_size: 8192
    .kernarg_segment_align: 8
    .kernarg_segment_size: 352
    .language:       OpenCL C
    .language_version:
      - 2
      - 0
    .max_flat_workgroup_size: 256
    .name:           _ZN9rocsparseL27csrmvn_symm_adaptive_kernelIllf21rocsparse_complex_numIfES2_S2_EEvbT_S3_PKS3_NS_24const_host_device_scalarIT4_EES5_PKT0_PKT1_PKT2_S8_PT3_21rocsparse_index_base_b
    .private_segment_fixed_size: 0
    .sgpr_count:     56
    .sgpr_spill_count: 0
    .symbol:         _ZN9rocsparseL27csrmvn_symm_adaptive_kernelIllf21rocsparse_complex_numIfES2_S2_EEvbT_S3_PKS3_NS_24const_host_device_scalarIT4_EES5_PKT0_PKT1_PKT2_S8_PT3_21rocsparse_index_base_b.kd
    .uniform_work_group_size: 1
    .uses_dynamic_stack: false
    .vgpr_count:     38
    .vgpr_spill_count: 0
    .wavefront_size: 64
  - .agpr_count:     0
    .args:
      - .offset:         0
        .size:           1
        .value_kind:     by_value
      - .offset:         8
        .size:           8
        .value_kind:     by_value
      - .actual_access:  read_only
        .address_space:  global
        .offset:         16
        .size:           8
        .value_kind:     global_buffer
      - .offset:         24
        .size:           8
        .value_kind:     by_value
      - .actual_access:  read_only
        .address_space:  global
        .offset:         32
        .size:           8
        .value_kind:     global_buffer
      - .actual_access:  read_only
        .address_space:  global
        .offset:         40
        .size:           8
        .value_kind:     global_buffer
      - .actual_access:  read_only
        .address_space:  global
        .offset:         48
        .size:           8
        .value_kind:     global_buffer
      - .actual_access:  read_only
        .address_space:  global
        .offset:         56
        .size:           8
        .value_kind:     global_buffer
      - .offset:         64
        .size:           8
        .value_kind:     by_value
      - .address_space:  global
        .offset:         72
        .size:           8
        .value_kind:     global_buffer
      - .offset:         80
        .size:           4
        .value_kind:     by_value
      - .offset:         84
        .size:           1
        .value_kind:     by_value
    .group_segment_fixed_size: 8192
    .kernarg_segment_align: 8
    .kernarg_segment_size: 88
    .language:       OpenCL C
    .language_version:
      - 2
      - 0
    .max_flat_workgroup_size: 256
    .name:           _ZL33csrmvn_symm_large_adaptive_kernelIllf21rocsparse_complex_numIfES1_S1_EvbT_PKS2_N9rocsparse24const_host_device_scalarIT4_EES4_PKT0_PKT1_PKT2_S8_PT3_21rocsparse_index_base_b
    .private_segment_fixed_size: 0
    .sgpr_count:     50
    .sgpr_spill_count: 0
    .symbol:         _ZL33csrmvn_symm_large_adaptive_kernelIllf21rocsparse_complex_numIfES1_S1_EvbT_PKS2_N9rocsparse24const_host_device_scalarIT4_EES4_PKT0_PKT1_PKT2_S8_PT3_21rocsparse_index_base_b.kd
    .uniform_work_group_size: 1
    .uses_dynamic_stack: false
    .vgpr_count:     22
    .vgpr_spill_count: 0
    .wavefront_size: 64
  - .agpr_count:     0
    .args:
      - .offset:         0
        .size:           1
        .value_kind:     by_value
      - .offset:         4
        .size:           4
        .value_kind:     by_value
      - .actual_access:  read_only
        .address_space:  global
        .offset:         8
        .size:           8
        .value_kind:     global_buffer
      - .address_space:  global
        .offset:         16
        .size:           8
        .value_kind:     global_buffer
      - .actual_access:  read_only
        .address_space:  global
        .offset:         24
        .size:           8
        .value_kind:     global_buffer
      - .offset:         32
        .size:           8
        .value_kind:     by_value
      - .actual_access:  read_only
        .address_space:  global
        .offset:         40
        .size:           8
        .value_kind:     global_buffer
      - .actual_access:  read_only
        .address_space:  global
        .offset:         48
        .size:           8
        .value_kind:     global_buffer
      - .actual_access:  read_only
        .address_space:  global
        .offset:         56
        .size:           8
        .value_kind:     global_buffer
      - .actual_access:  read_only
        .address_space:  global
        .offset:         64
        .size:           8
        .value_kind:     global_buffer
      - .offset:         72
        .size:           8
        .value_kind:     by_value
      - .address_space:  global
        .offset:         80
        .size:           8
        .value_kind:     global_buffer
      - .offset:         88
        .size:           4
        .value_kind:     by_value
      - .offset:         92
        .size:           1
        .value_kind:     by_value
    .group_segment_fixed_size: 8192
    .kernarg_segment_align: 8
    .kernarg_segment_size: 96
    .language:       OpenCL C
    .language_version:
      - 2
      - 0
    .max_flat_workgroup_size: 256
    .name:           _ZN9rocsparseL22csrmvn_adaptive_kernelIiifdddEEvbT_PKS1_PjPKT0_NS_24const_host_device_scalarIT4_EES3_S7_PKT1_PKT2_SA_PT3_21rocsparse_index_base_b
    .private_segment_fixed_size: 0
    .sgpr_count:     59
    .sgpr_spill_count: 0
    .symbol:         _ZN9rocsparseL22csrmvn_adaptive_kernelIiifdddEEvbT_PKS1_PjPKT0_NS_24const_host_device_scalarIT4_EES3_S7_PKT1_PKT2_SA_PT3_21rocsparse_index_base_b.kd
    .uniform_work_group_size: 1
    .uses_dynamic_stack: false
    .vgpr_count:     28
    .vgpr_spill_count: 0
    .wavefront_size: 64
  - .agpr_count:     0
    .args:
      - .offset:         0
        .size:           1
        .value_kind:     by_value
      - .offset:         4
        .size:           4
        .value_kind:     by_value
      - .offset:         8
        .size:           4
        .value_kind:     by_value
      - .actual_access:  read_only
        .address_space:  global
        .offset:         16
        .size:           8
        .value_kind:     global_buffer
      - .offset:         24
        .size:           8
        .value_kind:     by_value
      - .actual_access:  read_only
        .address_space:  global
        .offset:         32
        .size:           8
        .value_kind:     global_buffer
      - .actual_access:  read_only
        .address_space:  global
        .offset:         40
        .size:           8
        .value_kind:     global_buffer
      - .actual_access:  read_only
        .address_space:  global
        .offset:         48
        .size:           8
        .value_kind:     global_buffer
      - .actual_access:  read_only
        .address_space:  global
        .offset:         56
        .size:           8
        .value_kind:     global_buffer
      - .offset:         64
        .size:           8
        .value_kind:     by_value
      - .address_space:  global
        .offset:         72
        .size:           8
        .value_kind:     global_buffer
      - .offset:         80
        .size:           4
        .value_kind:     by_value
      - .offset:         84
        .size:           1
        .value_kind:     by_value
      - .offset:         88
        .size:           4
        .value_kind:     hidden_block_count_x
      - .offset:         92
        .size:           4
        .value_kind:     hidden_block_count_y
      - .offset:         96
        .size:           4
        .value_kind:     hidden_block_count_z
      - .offset:         100
        .size:           2
        .value_kind:     hidden_group_size_x
      - .offset:         102
        .size:           2
        .value_kind:     hidden_group_size_y
      - .offset:         104
        .size:           2
        .value_kind:     hidden_group_size_z
      - .offset:         106
        .size:           2
        .value_kind:     hidden_remainder_x
      - .offset:         108
        .size:           2
        .value_kind:     hidden_remainder_y
      - .offset:         110
        .size:           2
        .value_kind:     hidden_remainder_z
      - .offset:         128
        .size:           8
        .value_kind:     hidden_global_offset_x
      - .offset:         136
        .size:           8
        .value_kind:     hidden_global_offset_y
      - .offset:         144
        .size:           8
        .value_kind:     hidden_global_offset_z
      - .offset:         152
        .size:           2
        .value_kind:     hidden_grid_dims
      - .offset:         208
        .size:           4
        .value_kind:     hidden_dynamic_lds_size
    .group_segment_fixed_size: 8192
    .kernarg_segment_align: 8
    .kernarg_segment_size: 344
    .language:       OpenCL C
    .language_version:
      - 2
      - 0
    .max_flat_workgroup_size: 256
    .name:           _ZN9rocsparseL27csrmvn_symm_adaptive_kernelIiifdddEEvbT_S1_PKS1_NS_24const_host_device_scalarIT4_EES3_PKT0_PKT1_PKT2_S6_PT3_21rocsparse_index_base_b
    .private_segment_fixed_size: 0
    .sgpr_count:     46
    .sgpr_spill_count: 0
    .symbol:         _ZN9rocsparseL27csrmvn_symm_adaptive_kernelIiifdddEEvbT_S1_PKS1_NS_24const_host_device_scalarIT4_EES3_PKT0_PKT1_PKT2_S6_PT3_21rocsparse_index_base_b.kd
    .uniform_work_group_size: 1
    .uses_dynamic_stack: false
    .vgpr_count:     24
    .vgpr_spill_count: 0
    .wavefront_size: 64
  - .agpr_count:     0
    .args:
      - .offset:         0
        .size:           1
        .value_kind:     by_value
      - .offset:         4
        .size:           4
        .value_kind:     by_value
      - .actual_access:  read_only
        .address_space:  global
        .offset:         8
        .size:           8
        .value_kind:     global_buffer
      - .offset:         16
        .size:           8
        .value_kind:     by_value
      - .actual_access:  read_only
        .address_space:  global
        .offset:         24
        .size:           8
        .value_kind:     global_buffer
      - .actual_access:  read_only
        .address_space:  global
        .offset:         32
        .size:           8
        .value_kind:     global_buffer
      - .actual_access:  read_only
        .address_space:  global
        .offset:         40
        .size:           8
        .value_kind:     global_buffer
      - .actual_access:  read_only
        .address_space:  global
        .offset:         48
        .size:           8
        .value_kind:     global_buffer
      - .offset:         56
        .size:           8
        .value_kind:     by_value
      - .address_space:  global
        .offset:         64
        .size:           8
        .value_kind:     global_buffer
      - .offset:         72
        .size:           4
        .value_kind:     by_value
      - .offset:         76
        .size:           1
        .value_kind:     by_value
    .group_segment_fixed_size: 8192
    .kernarg_segment_align: 8
    .kernarg_segment_size: 80
    .language:       OpenCL C
    .language_version:
      - 2
      - 0
    .max_flat_workgroup_size: 256
    .name:           _ZL33csrmvn_symm_large_adaptive_kernelIiifdddEvbT_PKS0_N9rocsparse24const_host_device_scalarIT4_EES2_PKT0_PKT1_PKT2_S6_PT3_21rocsparse_index_base_b
    .private_segment_fixed_size: 0
    .sgpr_count:     42
    .sgpr_spill_count: 0
    .symbol:         _ZL33csrmvn_symm_large_adaptive_kernelIiifdddEvbT_PKS0_N9rocsparse24const_host_device_scalarIT4_EES2_PKT0_PKT1_PKT2_S6_PT3_21rocsparse_index_base_b.kd
    .uniform_work_group_size: 1
    .uses_dynamic_stack: false
    .vgpr_count:     18
    .vgpr_spill_count: 0
    .wavefront_size: 64
  - .agpr_count:     0
    .args:
      - .offset:         0
        .size:           1
        .value_kind:     by_value
      - .offset:         8
        .size:           8
        .value_kind:     by_value
      - .actual_access:  read_only
        .address_space:  global
        .offset:         16
        .size:           8
        .value_kind:     global_buffer
      - .address_space:  global
        .offset:         24
        .size:           8
        .value_kind:     global_buffer
      - .actual_access:  read_only
        .address_space:  global
        .offset:         32
        .size:           8
        .value_kind:     global_buffer
      - .offset:         40
        .size:           8
        .value_kind:     by_value
      - .actual_access:  read_only
        .address_space:  global
        .offset:         48
        .size:           8
        .value_kind:     global_buffer
      - .actual_access:  read_only
        .address_space:  global
        .offset:         56
        .size:           8
        .value_kind:     global_buffer
      - .actual_access:  read_only
        .address_space:  global
        .offset:         64
        .size:           8
        .value_kind:     global_buffer
      - .actual_access:  read_only
        .address_space:  global
        .offset:         72
        .size:           8
        .value_kind:     global_buffer
      - .offset:         80
        .size:           8
        .value_kind:     by_value
      - .address_space:  global
        .offset:         88
        .size:           8
        .value_kind:     global_buffer
      - .offset:         96
        .size:           4
        .value_kind:     by_value
      - .offset:         100
        .size:           1
        .value_kind:     by_value
    .group_segment_fixed_size: 8192
    .kernarg_segment_align: 8
    .kernarg_segment_size: 104
    .language:       OpenCL C
    .language_version:
      - 2
      - 0
    .max_flat_workgroup_size: 256
    .name:           _ZN9rocsparseL22csrmvn_adaptive_kernelIlifdddEEvbT_PKS1_PjPKT0_NS_24const_host_device_scalarIT4_EES3_S7_PKT1_PKT2_SA_PT3_21rocsparse_index_base_b
    .private_segment_fixed_size: 0
    .sgpr_count:     67
    .sgpr_spill_count: 0
    .symbol:         _ZN9rocsparseL22csrmvn_adaptive_kernelIlifdddEEvbT_PKS1_PjPKT0_NS_24const_host_device_scalarIT4_EES3_S7_PKT1_PKT2_SA_PT3_21rocsparse_index_base_b.kd
    .uniform_work_group_size: 1
    .uses_dynamic_stack: false
    .vgpr_count:     28
    .vgpr_spill_count: 0
    .wavefront_size: 64
  - .agpr_count:     0
    .args:
      - .offset:         0
        .size:           1
        .value_kind:     by_value
      - .offset:         8
        .size:           8
        .value_kind:     by_value
      - .offset:         16
        .size:           8
        .value_kind:     by_value
      - .actual_access:  read_only
        .address_space:  global
        .offset:         24
        .size:           8
        .value_kind:     global_buffer
      - .offset:         32
        .size:           8
        .value_kind:     by_value
      - .actual_access:  read_only
        .address_space:  global
        .offset:         40
        .size:           8
        .value_kind:     global_buffer
      - .actual_access:  read_only
        .address_space:  global
        .offset:         48
        .size:           8
        .value_kind:     global_buffer
      - .actual_access:  read_only
        .address_space:  global
        .offset:         56
        .size:           8
        .value_kind:     global_buffer
      - .actual_access:  read_only
        .address_space:  global
        .offset:         64
        .size:           8
        .value_kind:     global_buffer
      - .offset:         72
        .size:           8
        .value_kind:     by_value
      - .address_space:  global
        .offset:         80
        .size:           8
        .value_kind:     global_buffer
      - .offset:         88
        .size:           4
        .value_kind:     by_value
      - .offset:         92
        .size:           1
        .value_kind:     by_value
      - .offset:         96
        .size:           4
        .value_kind:     hidden_block_count_x
      - .offset:         100
        .size:           4
        .value_kind:     hidden_block_count_y
      - .offset:         104
        .size:           4
        .value_kind:     hidden_block_count_z
      - .offset:         108
        .size:           2
        .value_kind:     hidden_group_size_x
      - .offset:         110
        .size:           2
        .value_kind:     hidden_group_size_y
      - .offset:         112
        .size:           2
        .value_kind:     hidden_group_size_z
      - .offset:         114
        .size:           2
        .value_kind:     hidden_remainder_x
      - .offset:         116
        .size:           2
        .value_kind:     hidden_remainder_y
      - .offset:         118
        .size:           2
        .value_kind:     hidden_remainder_z
      - .offset:         136
        .size:           8
        .value_kind:     hidden_global_offset_x
      - .offset:         144
        .size:           8
        .value_kind:     hidden_global_offset_y
      - .offset:         152
        .size:           8
        .value_kind:     hidden_global_offset_z
      - .offset:         160
        .size:           2
        .value_kind:     hidden_grid_dims
      - .offset:         216
        .size:           4
        .value_kind:     hidden_dynamic_lds_size
    .group_segment_fixed_size: 8192
    .kernarg_segment_align: 8
    .kernarg_segment_size: 352
    .language:       OpenCL C
    .language_version:
      - 2
      - 0
    .max_flat_workgroup_size: 256
    .name:           _ZN9rocsparseL27csrmvn_symm_adaptive_kernelIlifdddEEvbT_S1_PKS1_NS_24const_host_device_scalarIT4_EES3_PKT0_PKT1_PKT2_S6_PT3_21rocsparse_index_base_b
    .private_segment_fixed_size: 0
    .sgpr_count:     56
    .sgpr_spill_count: 0
    .symbol:         _ZN9rocsparseL27csrmvn_symm_adaptive_kernelIlifdddEEvbT_S1_PKS1_NS_24const_host_device_scalarIT4_EES3_PKT0_PKT1_PKT2_S6_PT3_21rocsparse_index_base_b.kd
    .uniform_work_group_size: 1
    .uses_dynamic_stack: false
    .vgpr_count:     28
    .vgpr_spill_count: 0
    .wavefront_size: 64
  - .agpr_count:     0
    .args:
      - .offset:         0
        .size:           1
        .value_kind:     by_value
      - .offset:         8
        .size:           8
        .value_kind:     by_value
      - .actual_access:  read_only
        .address_space:  global
        .offset:         16
        .size:           8
        .value_kind:     global_buffer
      - .offset:         24
        .size:           8
        .value_kind:     by_value
      - .actual_access:  read_only
        .address_space:  global
        .offset:         32
        .size:           8
        .value_kind:     global_buffer
      - .actual_access:  read_only
        .address_space:  global
        .offset:         40
        .size:           8
        .value_kind:     global_buffer
      - .actual_access:  read_only
        .address_space:  global
        .offset:         48
        .size:           8
        .value_kind:     global_buffer
      - .actual_access:  read_only
        .address_space:  global
        .offset:         56
        .size:           8
        .value_kind:     global_buffer
      - .offset:         64
        .size:           8
        .value_kind:     by_value
      - .address_space:  global
        .offset:         72
        .size:           8
        .value_kind:     global_buffer
      - .offset:         80
        .size:           4
        .value_kind:     by_value
      - .offset:         84
        .size:           1
        .value_kind:     by_value
    .group_segment_fixed_size: 8192
    .kernarg_segment_align: 8
    .kernarg_segment_size: 88
    .language:       OpenCL C
    .language_version:
      - 2
      - 0
    .max_flat_workgroup_size: 256
    .name:           _ZL33csrmvn_symm_large_adaptive_kernelIlifdddEvbT_PKS0_N9rocsparse24const_host_device_scalarIT4_EES2_PKT0_PKT1_PKT2_S6_PT3_21rocsparse_index_base_b
    .private_segment_fixed_size: 0
    .sgpr_count:     50
    .sgpr_spill_count: 0
    .symbol:         _ZL33csrmvn_symm_large_adaptive_kernelIlifdddEvbT_PKS0_N9rocsparse24const_host_device_scalarIT4_EES2_PKT0_PKT1_PKT2_S6_PT3_21rocsparse_index_base_b.kd
    .uniform_work_group_size: 1
    .uses_dynamic_stack: false
    .vgpr_count:     20
    .vgpr_spill_count: 0
    .wavefront_size: 64
  - .agpr_count:     0
    .args:
      - .offset:         0
        .size:           1
        .value_kind:     by_value
      - .offset:         8
        .size:           8
        .value_kind:     by_value
      - .actual_access:  read_only
        .address_space:  global
        .offset:         16
        .size:           8
        .value_kind:     global_buffer
      - .address_space:  global
        .offset:         24
        .size:           8
        .value_kind:     global_buffer
      - .actual_access:  read_only
        .address_space:  global
        .offset:         32
        .size:           8
        .value_kind:     global_buffer
      - .offset:         40
        .size:           8
        .value_kind:     by_value
      - .actual_access:  read_only
        .address_space:  global
        .offset:         48
        .size:           8
        .value_kind:     global_buffer
      - .actual_access:  read_only
        .address_space:  global
        .offset:         56
        .size:           8
        .value_kind:     global_buffer
      - .actual_access:  read_only
        .address_space:  global
        .offset:         64
        .size:           8
        .value_kind:     global_buffer
      - .actual_access:  read_only
        .address_space:  global
        .offset:         72
        .size:           8
        .value_kind:     global_buffer
      - .offset:         80
        .size:           8
        .value_kind:     by_value
      - .address_space:  global
        .offset:         88
        .size:           8
        .value_kind:     global_buffer
      - .offset:         96
        .size:           4
        .value_kind:     by_value
      - .offset:         100
        .size:           1
        .value_kind:     by_value
    .group_segment_fixed_size: 8192
    .kernarg_segment_align: 8
    .kernarg_segment_size: 104
    .language:       OpenCL C
    .language_version:
      - 2
      - 0
    .max_flat_workgroup_size: 256
    .name:           _ZN9rocsparseL22csrmvn_adaptive_kernelIllfdddEEvbT_PKS1_PjPKT0_NS_24const_host_device_scalarIT4_EES3_S7_PKT1_PKT2_SA_PT3_21rocsparse_index_base_b
    .private_segment_fixed_size: 0
    .sgpr_count:     67
    .sgpr_spill_count: 0
    .symbol:         _ZN9rocsparseL22csrmvn_adaptive_kernelIllfdddEEvbT_PKS1_PjPKT0_NS_24const_host_device_scalarIT4_EES3_S7_PKT1_PKT2_SA_PT3_21rocsparse_index_base_b.kd
    .uniform_work_group_size: 1
    .uses_dynamic_stack: false
    .vgpr_count:     26
    .vgpr_spill_count: 0
    .wavefront_size: 64
  - .agpr_count:     0
    .args:
      - .offset:         0
        .size:           1
        .value_kind:     by_value
      - .offset:         8
        .size:           8
        .value_kind:     by_value
      - .offset:         16
        .size:           8
        .value_kind:     by_value
      - .actual_access:  read_only
        .address_space:  global
        .offset:         24
        .size:           8
        .value_kind:     global_buffer
      - .offset:         32
        .size:           8
        .value_kind:     by_value
      - .actual_access:  read_only
        .address_space:  global
        .offset:         40
        .size:           8
        .value_kind:     global_buffer
      - .actual_access:  read_only
        .address_space:  global
        .offset:         48
        .size:           8
        .value_kind:     global_buffer
      - .actual_access:  read_only
        .address_space:  global
        .offset:         56
        .size:           8
        .value_kind:     global_buffer
      - .actual_access:  read_only
        .address_space:  global
        .offset:         64
        .size:           8
        .value_kind:     global_buffer
      - .offset:         72
        .size:           8
        .value_kind:     by_value
      - .address_space:  global
        .offset:         80
        .size:           8
        .value_kind:     global_buffer
      - .offset:         88
        .size:           4
        .value_kind:     by_value
      - .offset:         92
        .size:           1
        .value_kind:     by_value
      - .offset:         96
        .size:           4
        .value_kind:     hidden_block_count_x
      - .offset:         100
        .size:           4
        .value_kind:     hidden_block_count_y
      - .offset:         104
        .size:           4
        .value_kind:     hidden_block_count_z
      - .offset:         108
        .size:           2
        .value_kind:     hidden_group_size_x
      - .offset:         110
        .size:           2
        .value_kind:     hidden_group_size_y
      - .offset:         112
        .size:           2
        .value_kind:     hidden_group_size_z
      - .offset:         114
        .size:           2
        .value_kind:     hidden_remainder_x
      - .offset:         116
        .size:           2
        .value_kind:     hidden_remainder_y
      - .offset:         118
        .size:           2
        .value_kind:     hidden_remainder_z
      - .offset:         136
        .size:           8
        .value_kind:     hidden_global_offset_x
      - .offset:         144
        .size:           8
        .value_kind:     hidden_global_offset_y
      - .offset:         152
        .size:           8
        .value_kind:     hidden_global_offset_z
      - .offset:         160
        .size:           2
        .value_kind:     hidden_grid_dims
      - .offset:         216
        .size:           4
        .value_kind:     hidden_dynamic_lds_size
    .group_segment_fixed_size: 8192
    .kernarg_segment_align: 8
    .kernarg_segment_size: 352
    .language:       OpenCL C
    .language_version:
      - 2
      - 0
    .max_flat_workgroup_size: 256
    .name:           _ZN9rocsparseL27csrmvn_symm_adaptive_kernelIllfdddEEvbT_S1_PKS1_NS_24const_host_device_scalarIT4_EES3_PKT0_PKT1_PKT2_S6_PT3_21rocsparse_index_base_b
    .private_segment_fixed_size: 0
    .sgpr_count:     56
    .sgpr_spill_count: 0
    .symbol:         _ZN9rocsparseL27csrmvn_symm_adaptive_kernelIllfdddEEvbT_S1_PKS1_NS_24const_host_device_scalarIT4_EES3_PKT0_PKT1_PKT2_S6_PT3_21rocsparse_index_base_b.kd
    .uniform_work_group_size: 1
    .uses_dynamic_stack: false
    .vgpr_count:     28
    .vgpr_spill_count: 0
    .wavefront_size: 64
  - .agpr_count:     0
    .args:
      - .offset:         0
        .size:           1
        .value_kind:     by_value
      - .offset:         8
        .size:           8
        .value_kind:     by_value
      - .actual_access:  read_only
        .address_space:  global
        .offset:         16
        .size:           8
        .value_kind:     global_buffer
      - .offset:         24
        .size:           8
        .value_kind:     by_value
      - .actual_access:  read_only
        .address_space:  global
        .offset:         32
        .size:           8
        .value_kind:     global_buffer
      - .actual_access:  read_only
        .address_space:  global
        .offset:         40
        .size:           8
        .value_kind:     global_buffer
      - .actual_access:  read_only
        .address_space:  global
        .offset:         48
        .size:           8
        .value_kind:     global_buffer
      - .actual_access:  read_only
        .address_space:  global
        .offset:         56
        .size:           8
        .value_kind:     global_buffer
      - .offset:         64
        .size:           8
        .value_kind:     by_value
      - .address_space:  global
        .offset:         72
        .size:           8
        .value_kind:     global_buffer
      - .offset:         80
        .size:           4
        .value_kind:     by_value
      - .offset:         84
        .size:           1
        .value_kind:     by_value
    .group_segment_fixed_size: 8192
    .kernarg_segment_align: 8
    .kernarg_segment_size: 88
    .language:       OpenCL C
    .language_version:
      - 2
      - 0
    .max_flat_workgroup_size: 256
    .name:           _ZL33csrmvn_symm_large_adaptive_kernelIllfdddEvbT_PKS0_N9rocsparse24const_host_device_scalarIT4_EES2_PKT0_PKT1_PKT2_S6_PT3_21rocsparse_index_base_b
    .private_segment_fixed_size: 0
    .sgpr_count:     50
    .sgpr_spill_count: 0
    .symbol:         _ZL33csrmvn_symm_large_adaptive_kernelIllfdddEvbT_PKS0_N9rocsparse24const_host_device_scalarIT4_EES2_PKT0_PKT1_PKT2_S6_PT3_21rocsparse_index_base_b.kd
    .uniform_work_group_size: 1
    .uses_dynamic_stack: false
    .vgpr_count:     20
    .vgpr_spill_count: 0
    .wavefront_size: 64
  - .agpr_count:     0
    .args:
      - .offset:         0
        .size:           1
        .value_kind:     by_value
      - .offset:         4
        .size:           4
        .value_kind:     by_value
      - .actual_access:  read_only
        .address_space:  global
        .offset:         8
        .size:           8
        .value_kind:     global_buffer
      - .address_space:  global
        .offset:         16
        .size:           8
        .value_kind:     global_buffer
      - .actual_access:  read_only
        .address_space:  global
        .offset:         24
        .size:           8
        .value_kind:     global_buffer
      - .offset:         32
        .size:           16
        .value_kind:     by_value
      - .actual_access:  read_only
        .address_space:  global
        .offset:         48
        .size:           8
        .value_kind:     global_buffer
      - .actual_access:  read_only
        .address_space:  global
        .offset:         56
        .size:           8
        .value_kind:     global_buffer
      - .actual_access:  read_only
        .address_space:  global
        .offset:         64
        .size:           8
        .value_kind:     global_buffer
      - .actual_access:  read_only
        .address_space:  global
        .offset:         72
        .size:           8
        .value_kind:     global_buffer
      - .offset:         80
        .size:           16
        .value_kind:     by_value
      - .address_space:  global
        .offset:         96
        .size:           8
        .value_kind:     global_buffer
      - .offset:         104
        .size:           4
        .value_kind:     by_value
      - .offset:         108
        .size:           1
        .value_kind:     by_value
    .group_segment_fixed_size: 16384
    .kernarg_segment_align: 8
    .kernarg_segment_size: 112
    .language:       OpenCL C
    .language_version:
      - 2
      - 0
    .max_flat_workgroup_size: 256
    .name:           _ZN9rocsparseL22csrmvn_adaptive_kernelIiid21rocsparse_complex_numIdES2_S2_EEvbT_PKS3_PjPKT0_NS_24const_host_device_scalarIT4_EES5_S9_PKT1_PKT2_SC_PT3_21rocsparse_index_base_b
    .private_segment_fixed_size: 24
    .sgpr_count:     65
    .sgpr_spill_count: 0
    .symbol:         _ZN9rocsparseL22csrmvn_adaptive_kernelIiid21rocsparse_complex_numIdES2_S2_EEvbT_PKS3_PjPKT0_NS_24const_host_device_scalarIT4_EES5_S9_PKT1_PKT2_SC_PT3_21rocsparse_index_base_b.kd
    .uniform_work_group_size: 1
    .uses_dynamic_stack: false
    .vgpr_count:     56
    .vgpr_spill_count: 0
    .wavefront_size: 64
  - .agpr_count:     0
    .args:
      - .offset:         0
        .size:           1
        .value_kind:     by_value
      - .offset:         4
        .size:           4
        .value_kind:     by_value
      - .offset:         8
        .size:           4
        .value_kind:     by_value
      - .actual_access:  read_only
        .address_space:  global
        .offset:         16
        .size:           8
        .value_kind:     global_buffer
      - .offset:         24
        .size:           16
        .value_kind:     by_value
      - .actual_access:  read_only
        .address_space:  global
        .offset:         40
        .size:           8
        .value_kind:     global_buffer
      - .actual_access:  read_only
        .address_space:  global
        .offset:         48
        .size:           8
        .value_kind:     global_buffer
      - .actual_access:  read_only
        .address_space:  global
        .offset:         56
        .size:           8
        .value_kind:     global_buffer
      - .actual_access:  read_only
        .address_space:  global
        .offset:         64
        .size:           8
        .value_kind:     global_buffer
      - .offset:         72
        .size:           16
        .value_kind:     by_value
      - .address_space:  global
        .offset:         88
        .size:           8
        .value_kind:     global_buffer
      - .offset:         96
        .size:           4
        .value_kind:     by_value
      - .offset:         100
        .size:           1
        .value_kind:     by_value
      - .offset:         104
        .size:           4
        .value_kind:     hidden_block_count_x
      - .offset:         108
        .size:           4
        .value_kind:     hidden_block_count_y
      - .offset:         112
        .size:           4
        .value_kind:     hidden_block_count_z
      - .offset:         116
        .size:           2
        .value_kind:     hidden_group_size_x
      - .offset:         118
        .size:           2
        .value_kind:     hidden_group_size_y
      - .offset:         120
        .size:           2
        .value_kind:     hidden_group_size_z
      - .offset:         122
        .size:           2
        .value_kind:     hidden_remainder_x
      - .offset:         124
        .size:           2
        .value_kind:     hidden_remainder_y
      - .offset:         126
        .size:           2
        .value_kind:     hidden_remainder_z
      - .offset:         144
        .size:           8
        .value_kind:     hidden_global_offset_x
      - .offset:         152
        .size:           8
        .value_kind:     hidden_global_offset_y
      - .offset:         160
        .size:           8
        .value_kind:     hidden_global_offset_z
      - .offset:         168
        .size:           2
        .value_kind:     hidden_grid_dims
      - .offset:         224
        .size:           4
        .value_kind:     hidden_dynamic_lds_size
    .group_segment_fixed_size: 16384
    .kernarg_segment_align: 8
    .kernarg_segment_size: 360
    .language:       OpenCL C
    .language_version:
      - 2
      - 0
    .max_flat_workgroup_size: 256
    .name:           _ZN9rocsparseL27csrmvn_symm_adaptive_kernelIiid21rocsparse_complex_numIdES2_S2_EEvbT_S3_PKS3_NS_24const_host_device_scalarIT4_EES5_PKT0_PKT1_PKT2_S8_PT3_21rocsparse_index_base_b
    .private_segment_fixed_size: 24
    .sgpr_count:     54
    .sgpr_spill_count: 0
    .symbol:         _ZN9rocsparseL27csrmvn_symm_adaptive_kernelIiid21rocsparse_complex_numIdES2_S2_EEvbT_S3_PKS3_NS_24const_host_device_scalarIT4_EES5_PKT0_PKT1_PKT2_S8_PT3_21rocsparse_index_base_b.kd
    .uniform_work_group_size: 1
    .uses_dynamic_stack: false
    .vgpr_count:     44
    .vgpr_spill_count: 0
    .wavefront_size: 64
  - .agpr_count:     0
    .args:
      - .offset:         0
        .size:           1
        .value_kind:     by_value
      - .offset:         4
        .size:           4
        .value_kind:     by_value
      - .actual_access:  read_only
        .address_space:  global
        .offset:         8
        .size:           8
        .value_kind:     global_buffer
      - .offset:         16
        .size:           16
        .value_kind:     by_value
      - .actual_access:  read_only
        .address_space:  global
        .offset:         32
        .size:           8
        .value_kind:     global_buffer
      - .actual_access:  read_only
        .address_space:  global
        .offset:         40
        .size:           8
        .value_kind:     global_buffer
      - .actual_access:  read_only
        .address_space:  global
        .offset:         48
        .size:           8
        .value_kind:     global_buffer
      - .actual_access:  read_only
        .address_space:  global
        .offset:         56
        .size:           8
        .value_kind:     global_buffer
      - .offset:         64
        .size:           16
        .value_kind:     by_value
      - .address_space:  global
        .offset:         80
        .size:           8
        .value_kind:     global_buffer
      - .offset:         88
        .size:           4
        .value_kind:     by_value
      - .offset:         92
        .size:           1
        .value_kind:     by_value
    .group_segment_fixed_size: 16384
    .kernarg_segment_align: 8
    .kernarg_segment_size: 96
    .language:       OpenCL C
    .language_version:
      - 2
      - 0
    .max_flat_workgroup_size: 256
    .name:           _ZL33csrmvn_symm_large_adaptive_kernelIiid21rocsparse_complex_numIdES1_S1_EvbT_PKS2_N9rocsparse24const_host_device_scalarIT4_EES4_PKT0_PKT1_PKT2_S8_PT3_21rocsparse_index_base_b
    .private_segment_fixed_size: 24
    .sgpr_count:     50
    .sgpr_spill_count: 0
    .symbol:         _ZL33csrmvn_symm_large_adaptive_kernelIiid21rocsparse_complex_numIdES1_S1_EvbT_PKS2_N9rocsparse24const_host_device_scalarIT4_EES4_PKT0_PKT1_PKT2_S8_PT3_21rocsparse_index_base_b.kd
    .uniform_work_group_size: 1
    .uses_dynamic_stack: false
    .vgpr_count:     28
    .vgpr_spill_count: 0
    .wavefront_size: 64
  - .agpr_count:     0
    .args:
      - .offset:         0
        .size:           1
        .value_kind:     by_value
      - .offset:         8
        .size:           8
        .value_kind:     by_value
      - .actual_access:  read_only
        .address_space:  global
        .offset:         16
        .size:           8
        .value_kind:     global_buffer
      - .address_space:  global
        .offset:         24
        .size:           8
        .value_kind:     global_buffer
      - .actual_access:  read_only
        .address_space:  global
        .offset:         32
        .size:           8
        .value_kind:     global_buffer
      - .offset:         40
        .size:           16
        .value_kind:     by_value
      - .actual_access:  read_only
        .address_space:  global
        .offset:         56
        .size:           8
        .value_kind:     global_buffer
      - .actual_access:  read_only
        .address_space:  global
        .offset:         64
        .size:           8
        .value_kind:     global_buffer
      - .actual_access:  read_only
        .address_space:  global
        .offset:         72
        .size:           8
        .value_kind:     global_buffer
      - .actual_access:  read_only
        .address_space:  global
        .offset:         80
        .size:           8
        .value_kind:     global_buffer
      - .offset:         88
        .size:           16
        .value_kind:     by_value
      - .address_space:  global
        .offset:         104
        .size:           8
        .value_kind:     global_buffer
      - .offset:         112
        .size:           4
        .value_kind:     by_value
      - .offset:         116
        .size:           1
        .value_kind:     by_value
    .group_segment_fixed_size: 16384
    .kernarg_segment_align: 8
    .kernarg_segment_size: 120
    .language:       OpenCL C
    .language_version:
      - 2
      - 0
    .max_flat_workgroup_size: 256
    .name:           _ZN9rocsparseL22csrmvn_adaptive_kernelIlid21rocsparse_complex_numIdES2_S2_EEvbT_PKS3_PjPKT0_NS_24const_host_device_scalarIT4_EES5_S9_PKT1_PKT2_SC_PT3_21rocsparse_index_base_b
    .private_segment_fixed_size: 24
    .sgpr_count:     69
    .sgpr_spill_count: 0
    .symbol:         _ZN9rocsparseL22csrmvn_adaptive_kernelIlid21rocsparse_complex_numIdES2_S2_EEvbT_PKS3_PjPKT0_NS_24const_host_device_scalarIT4_EES5_S9_PKT1_PKT2_SC_PT3_21rocsparse_index_base_b.kd
    .uniform_work_group_size: 1
    .uses_dynamic_stack: false
    .vgpr_count:     56
    .vgpr_spill_count: 0
    .wavefront_size: 64
  - .agpr_count:     0
    .args:
      - .offset:         0
        .size:           1
        .value_kind:     by_value
      - .offset:         8
        .size:           8
        .value_kind:     by_value
      - .offset:         16
        .size:           8
        .value_kind:     by_value
      - .actual_access:  read_only
        .address_space:  global
        .offset:         24
        .size:           8
        .value_kind:     global_buffer
      - .offset:         32
        .size:           16
        .value_kind:     by_value
      - .actual_access:  read_only
        .address_space:  global
        .offset:         48
        .size:           8
        .value_kind:     global_buffer
      - .actual_access:  read_only
        .address_space:  global
        .offset:         56
        .size:           8
        .value_kind:     global_buffer
      - .actual_access:  read_only
        .address_space:  global
        .offset:         64
        .size:           8
        .value_kind:     global_buffer
      - .actual_access:  read_only
        .address_space:  global
        .offset:         72
        .size:           8
        .value_kind:     global_buffer
      - .offset:         80
        .size:           16
        .value_kind:     by_value
      - .address_space:  global
        .offset:         96
        .size:           8
        .value_kind:     global_buffer
      - .offset:         104
        .size:           4
        .value_kind:     by_value
      - .offset:         108
        .size:           1
        .value_kind:     by_value
      - .offset:         112
        .size:           4
        .value_kind:     hidden_block_count_x
      - .offset:         116
        .size:           4
        .value_kind:     hidden_block_count_y
      - .offset:         120
        .size:           4
        .value_kind:     hidden_block_count_z
      - .offset:         124
        .size:           2
        .value_kind:     hidden_group_size_x
      - .offset:         126
        .size:           2
        .value_kind:     hidden_group_size_y
      - .offset:         128
        .size:           2
        .value_kind:     hidden_group_size_z
      - .offset:         130
        .size:           2
        .value_kind:     hidden_remainder_x
      - .offset:         132
        .size:           2
        .value_kind:     hidden_remainder_y
      - .offset:         134
        .size:           2
        .value_kind:     hidden_remainder_z
      - .offset:         152
        .size:           8
        .value_kind:     hidden_global_offset_x
      - .offset:         160
        .size:           8
        .value_kind:     hidden_global_offset_y
      - .offset:         168
        .size:           8
        .value_kind:     hidden_global_offset_z
      - .offset:         176
        .size:           2
        .value_kind:     hidden_grid_dims
      - .offset:         232
        .size:           4
        .value_kind:     hidden_dynamic_lds_size
    .group_segment_fixed_size: 16384
    .kernarg_segment_align: 8
    .kernarg_segment_size: 368
    .language:       OpenCL C
    .language_version:
      - 2
      - 0
    .max_flat_workgroup_size: 256
    .name:           _ZN9rocsparseL27csrmvn_symm_adaptive_kernelIlid21rocsparse_complex_numIdES2_S2_EEvbT_S3_PKS3_NS_24const_host_device_scalarIT4_EES5_PKT0_PKT1_PKT2_S8_PT3_21rocsparse_index_base_b
    .private_segment_fixed_size: 24
    .sgpr_count:     62
    .sgpr_spill_count: 0
    .symbol:         _ZN9rocsparseL27csrmvn_symm_adaptive_kernelIlid21rocsparse_complex_numIdES2_S2_EEvbT_S3_PKS3_NS_24const_host_device_scalarIT4_EES5_PKT0_PKT1_PKT2_S8_PT3_21rocsparse_index_base_b.kd
    .uniform_work_group_size: 1
    .uses_dynamic_stack: false
    .vgpr_count:     44
    .vgpr_spill_count: 0
    .wavefront_size: 64
  - .agpr_count:     0
    .args:
      - .offset:         0
        .size:           1
        .value_kind:     by_value
      - .offset:         8
        .size:           8
        .value_kind:     by_value
      - .actual_access:  read_only
        .address_space:  global
        .offset:         16
        .size:           8
        .value_kind:     global_buffer
      - .offset:         24
        .size:           16
        .value_kind:     by_value
      - .actual_access:  read_only
        .address_space:  global
        .offset:         40
        .size:           8
        .value_kind:     global_buffer
      - .actual_access:  read_only
        .address_space:  global
        .offset:         48
        .size:           8
        .value_kind:     global_buffer
      - .actual_access:  read_only
        .address_space:  global
        .offset:         56
        .size:           8
        .value_kind:     global_buffer
      - .actual_access:  read_only
        .address_space:  global
        .offset:         64
        .size:           8
        .value_kind:     global_buffer
      - .offset:         72
        .size:           16
        .value_kind:     by_value
      - .address_space:  global
        .offset:         88
        .size:           8
        .value_kind:     global_buffer
      - .offset:         96
        .size:           4
        .value_kind:     by_value
      - .offset:         100
        .size:           1
        .value_kind:     by_value
    .group_segment_fixed_size: 16384
    .kernarg_segment_align: 8
    .kernarg_segment_size: 104
    .language:       OpenCL C
    .language_version:
      - 2
      - 0
    .max_flat_workgroup_size: 256
    .name:           _ZL33csrmvn_symm_large_adaptive_kernelIlid21rocsparse_complex_numIdES1_S1_EvbT_PKS2_N9rocsparse24const_host_device_scalarIT4_EES4_PKT0_PKT1_PKT2_S8_PT3_21rocsparse_index_base_b
    .private_segment_fixed_size: 24
    .sgpr_count:     56
    .sgpr_spill_count: 0
    .symbol:         _ZL33csrmvn_symm_large_adaptive_kernelIlid21rocsparse_complex_numIdES1_S1_EvbT_PKS2_N9rocsparse24const_host_device_scalarIT4_EES4_PKT0_PKT1_PKT2_S8_PT3_21rocsparse_index_base_b.kd
    .uniform_work_group_size: 1
    .uses_dynamic_stack: false
    .vgpr_count:     29
    .vgpr_spill_count: 0
    .wavefront_size: 64
  - .agpr_count:     0
    .args:
      - .offset:         0
        .size:           1
        .value_kind:     by_value
      - .offset:         8
        .size:           8
        .value_kind:     by_value
      - .actual_access:  read_only
        .address_space:  global
        .offset:         16
        .size:           8
        .value_kind:     global_buffer
      - .address_space:  global
        .offset:         24
        .size:           8
        .value_kind:     global_buffer
      - .actual_access:  read_only
        .address_space:  global
        .offset:         32
        .size:           8
        .value_kind:     global_buffer
      - .offset:         40
        .size:           16
        .value_kind:     by_value
      - .actual_access:  read_only
        .address_space:  global
        .offset:         56
        .size:           8
        .value_kind:     global_buffer
      - .actual_access:  read_only
        .address_space:  global
        .offset:         64
        .size:           8
        .value_kind:     global_buffer
      - .actual_access:  read_only
        .address_space:  global
        .offset:         72
        .size:           8
        .value_kind:     global_buffer
      - .actual_access:  read_only
        .address_space:  global
        .offset:         80
        .size:           8
        .value_kind:     global_buffer
      - .offset:         88
        .size:           16
        .value_kind:     by_value
      - .address_space:  global
        .offset:         104
        .size:           8
        .value_kind:     global_buffer
      - .offset:         112
        .size:           4
        .value_kind:     by_value
      - .offset:         116
        .size:           1
        .value_kind:     by_value
    .group_segment_fixed_size: 16384
    .kernarg_segment_align: 8
    .kernarg_segment_size: 120
    .language:       OpenCL C
    .language_version:
      - 2
      - 0
    .max_flat_workgroup_size: 256
    .name:           _ZN9rocsparseL22csrmvn_adaptive_kernelIlld21rocsparse_complex_numIdES2_S2_EEvbT_PKS3_PjPKT0_NS_24const_host_device_scalarIT4_EES5_S9_PKT1_PKT2_SC_PT3_21rocsparse_index_base_b
    .private_segment_fixed_size: 24
    .sgpr_count:     69
    .sgpr_spill_count: 0
    .symbol:         _ZN9rocsparseL22csrmvn_adaptive_kernelIlld21rocsparse_complex_numIdES2_S2_EEvbT_PKS3_PjPKT0_NS_24const_host_device_scalarIT4_EES5_S9_PKT1_PKT2_SC_PT3_21rocsparse_index_base_b.kd
    .uniform_work_group_size: 1
    .uses_dynamic_stack: false
    .vgpr_count:     50
    .vgpr_spill_count: 0
    .wavefront_size: 64
  - .agpr_count:     0
    .args:
      - .offset:         0
        .size:           1
        .value_kind:     by_value
      - .offset:         8
        .size:           8
        .value_kind:     by_value
      - .offset:         16
        .size:           8
        .value_kind:     by_value
      - .actual_access:  read_only
        .address_space:  global
        .offset:         24
        .size:           8
        .value_kind:     global_buffer
      - .offset:         32
        .size:           16
        .value_kind:     by_value
      - .actual_access:  read_only
        .address_space:  global
        .offset:         48
        .size:           8
        .value_kind:     global_buffer
      - .actual_access:  read_only
        .address_space:  global
        .offset:         56
        .size:           8
        .value_kind:     global_buffer
      - .actual_access:  read_only
        .address_space:  global
        .offset:         64
        .size:           8
        .value_kind:     global_buffer
      - .actual_access:  read_only
        .address_space:  global
        .offset:         72
        .size:           8
        .value_kind:     global_buffer
      - .offset:         80
        .size:           16
        .value_kind:     by_value
      - .address_space:  global
        .offset:         96
        .size:           8
        .value_kind:     global_buffer
      - .offset:         104
        .size:           4
        .value_kind:     by_value
      - .offset:         108
        .size:           1
        .value_kind:     by_value
      - .offset:         112
        .size:           4
        .value_kind:     hidden_block_count_x
      - .offset:         116
        .size:           4
        .value_kind:     hidden_block_count_y
      - .offset:         120
        .size:           4
        .value_kind:     hidden_block_count_z
      - .offset:         124
        .size:           2
        .value_kind:     hidden_group_size_x
      - .offset:         126
        .size:           2
        .value_kind:     hidden_group_size_y
      - .offset:         128
        .size:           2
        .value_kind:     hidden_group_size_z
      - .offset:         130
        .size:           2
        .value_kind:     hidden_remainder_x
      - .offset:         132
        .size:           2
        .value_kind:     hidden_remainder_y
      - .offset:         134
        .size:           2
        .value_kind:     hidden_remainder_z
      - .offset:         152
        .size:           8
        .value_kind:     hidden_global_offset_x
      - .offset:         160
        .size:           8
        .value_kind:     hidden_global_offset_y
      - .offset:         168
        .size:           8
        .value_kind:     hidden_global_offset_z
      - .offset:         176
        .size:           2
        .value_kind:     hidden_grid_dims
      - .offset:         232
        .size:           4
        .value_kind:     hidden_dynamic_lds_size
    .group_segment_fixed_size: 16384
    .kernarg_segment_align: 8
    .kernarg_segment_size: 368
    .language:       OpenCL C
    .language_version:
      - 2
      - 0
    .max_flat_workgroup_size: 256
    .name:           _ZN9rocsparseL27csrmvn_symm_adaptive_kernelIlld21rocsparse_complex_numIdES2_S2_EEvbT_S3_PKS3_NS_24const_host_device_scalarIT4_EES5_PKT0_PKT1_PKT2_S8_PT3_21rocsparse_index_base_b
    .private_segment_fixed_size: 24
    .sgpr_count:     62
    .sgpr_spill_count: 0
    .symbol:         _ZN9rocsparseL27csrmvn_symm_adaptive_kernelIlld21rocsparse_complex_numIdES2_S2_EEvbT_S3_PKS3_NS_24const_host_device_scalarIT4_EES5_PKT0_PKT1_PKT2_S8_PT3_21rocsparse_index_base_b.kd
    .uniform_work_group_size: 1
    .uses_dynamic_stack: false
    .vgpr_count:     44
    .vgpr_spill_count: 0
    .wavefront_size: 64
  - .agpr_count:     0
    .args:
      - .offset:         0
        .size:           1
        .value_kind:     by_value
      - .offset:         8
        .size:           8
        .value_kind:     by_value
      - .actual_access:  read_only
        .address_space:  global
        .offset:         16
        .size:           8
        .value_kind:     global_buffer
      - .offset:         24
        .size:           16
        .value_kind:     by_value
      - .actual_access:  read_only
        .address_space:  global
        .offset:         40
        .size:           8
        .value_kind:     global_buffer
      - .actual_access:  read_only
        .address_space:  global
        .offset:         48
        .size:           8
        .value_kind:     global_buffer
      - .actual_access:  read_only
        .address_space:  global
        .offset:         56
        .size:           8
        .value_kind:     global_buffer
      - .actual_access:  read_only
        .address_space:  global
        .offset:         64
        .size:           8
        .value_kind:     global_buffer
      - .offset:         72
        .size:           16
        .value_kind:     by_value
      - .address_space:  global
        .offset:         88
        .size:           8
        .value_kind:     global_buffer
      - .offset:         96
        .size:           4
        .value_kind:     by_value
      - .offset:         100
        .size:           1
        .value_kind:     by_value
    .group_segment_fixed_size: 16384
    .kernarg_segment_align: 8
    .kernarg_segment_size: 104
    .language:       OpenCL C
    .language_version:
      - 2
      - 0
    .max_flat_workgroup_size: 256
    .name:           _ZL33csrmvn_symm_large_adaptive_kernelIlld21rocsparse_complex_numIdES1_S1_EvbT_PKS2_N9rocsparse24const_host_device_scalarIT4_EES4_PKT0_PKT1_PKT2_S8_PT3_21rocsparse_index_base_b
    .private_segment_fixed_size: 24
    .sgpr_count:     56
    .sgpr_spill_count: 0
    .symbol:         _ZL33csrmvn_symm_large_adaptive_kernelIlld21rocsparse_complex_numIdES1_S1_EvbT_PKS2_N9rocsparse24const_host_device_scalarIT4_EES4_PKT0_PKT1_PKT2_S8_PT3_21rocsparse_index_base_b.kd
    .uniform_work_group_size: 1
    .uses_dynamic_stack: false
    .vgpr_count:     29
    .vgpr_spill_count: 0
    .wavefront_size: 64
  - .agpr_count:     0
    .args:
      - .offset:         0
        .size:           1
        .value_kind:     by_value
      - .offset:         4
        .size:           4
        .value_kind:     by_value
      - .actual_access:  read_only
        .address_space:  global
        .offset:         8
        .size:           8
        .value_kind:     global_buffer
      - .address_space:  global
        .offset:         16
        .size:           8
        .value_kind:     global_buffer
      - .actual_access:  read_only
        .address_space:  global
        .offset:         24
        .size:           8
        .value_kind:     global_buffer
      - .offset:         32
        .size:           16
        .value_kind:     by_value
      - .actual_access:  read_only
        .address_space:  global
        .offset:         48
        .size:           8
        .value_kind:     global_buffer
      - .actual_access:  read_only
        .address_space:  global
        .offset:         56
        .size:           8
        .value_kind:     global_buffer
      - .actual_access:  read_only
        .address_space:  global
        .offset:         64
        .size:           8
        .value_kind:     global_buffer
      - .actual_access:  read_only
        .address_space:  global
        .offset:         72
        .size:           8
        .value_kind:     global_buffer
      - .offset:         80
        .size:           16
        .value_kind:     by_value
      - .address_space:  global
        .offset:         96
        .size:           8
        .value_kind:     global_buffer
      - .offset:         104
        .size:           4
        .value_kind:     by_value
      - .offset:         108
        .size:           1
        .value_kind:     by_value
    .group_segment_fixed_size: 16384
    .kernarg_segment_align: 8
    .kernarg_segment_size: 112
    .language:       OpenCL C
    .language_version:
      - 2
      - 0
    .max_flat_workgroup_size: 256
    .name:           _ZN9rocsparseL22csrmvn_adaptive_kernelIii21rocsparse_complex_numIfES1_IdES3_S3_EEvbT_PKS4_PjPKT0_NS_24const_host_device_scalarIT4_EES6_SA_PKT1_PKT2_SD_PT3_21rocsparse_index_base_b
    .private_segment_fixed_size: 24
    .sgpr_count:     70
    .sgpr_spill_count: 0
    .symbol:         _ZN9rocsparseL22csrmvn_adaptive_kernelIii21rocsparse_complex_numIfES1_IdES3_S3_EEvbT_PKS4_PjPKT0_NS_24const_host_device_scalarIT4_EES6_SA_PKT1_PKT2_SD_PT3_21rocsparse_index_base_b.kd
    .uniform_work_group_size: 1
    .uses_dynamic_stack: false
    .vgpr_count:     56
    .vgpr_spill_count: 0
    .wavefront_size: 64
  - .agpr_count:     0
    .args:
      - .offset:         0
        .size:           1
        .value_kind:     by_value
      - .offset:         4
        .size:           4
        .value_kind:     by_value
      - .offset:         8
        .size:           4
        .value_kind:     by_value
      - .actual_access:  read_only
        .address_space:  global
        .offset:         16
        .size:           8
        .value_kind:     global_buffer
      - .offset:         24
        .size:           16
        .value_kind:     by_value
      - .actual_access:  read_only
        .address_space:  global
        .offset:         40
        .size:           8
        .value_kind:     global_buffer
      - .actual_access:  read_only
        .address_space:  global
        .offset:         48
        .size:           8
        .value_kind:     global_buffer
      - .actual_access:  read_only
        .address_space:  global
        .offset:         56
        .size:           8
        .value_kind:     global_buffer
      - .actual_access:  read_only
        .address_space:  global
        .offset:         64
        .size:           8
        .value_kind:     global_buffer
      - .offset:         72
        .size:           16
        .value_kind:     by_value
      - .address_space:  global
        .offset:         88
        .size:           8
        .value_kind:     global_buffer
      - .offset:         96
        .size:           4
        .value_kind:     by_value
      - .offset:         100
        .size:           1
        .value_kind:     by_value
      - .offset:         104
        .size:           4
        .value_kind:     hidden_block_count_x
      - .offset:         108
        .size:           4
        .value_kind:     hidden_block_count_y
      - .offset:         112
        .size:           4
        .value_kind:     hidden_block_count_z
      - .offset:         116
        .size:           2
        .value_kind:     hidden_group_size_x
      - .offset:         118
        .size:           2
        .value_kind:     hidden_group_size_y
      - .offset:         120
        .size:           2
        .value_kind:     hidden_group_size_z
      - .offset:         122
        .size:           2
        .value_kind:     hidden_remainder_x
      - .offset:         124
        .size:           2
        .value_kind:     hidden_remainder_y
      - .offset:         126
        .size:           2
        .value_kind:     hidden_remainder_z
      - .offset:         144
        .size:           8
        .value_kind:     hidden_global_offset_x
      - .offset:         152
        .size:           8
        .value_kind:     hidden_global_offset_y
      - .offset:         160
        .size:           8
        .value_kind:     hidden_global_offset_z
      - .offset:         168
        .size:           2
        .value_kind:     hidden_grid_dims
      - .offset:         224
        .size:           4
        .value_kind:     hidden_dynamic_lds_size
    .group_segment_fixed_size: 16384
    .kernarg_segment_align: 8
    .kernarg_segment_size: 360
    .language:       OpenCL C
    .language_version:
      - 2
      - 0
    .max_flat_workgroup_size: 256
    .name:           _ZN9rocsparseL27csrmvn_symm_adaptive_kernelIii21rocsparse_complex_numIfES1_IdES3_S3_EEvbT_S4_PKS4_NS_24const_host_device_scalarIT4_EES6_PKT0_PKT1_PKT2_S9_PT3_21rocsparse_index_base_b
    .private_segment_fixed_size: 24
    .sgpr_count:     60
    .sgpr_spill_count: 0
    .symbol:         _ZN9rocsparseL27csrmvn_symm_adaptive_kernelIii21rocsparse_complex_numIfES1_IdES3_S3_EEvbT_S4_PKS4_NS_24const_host_device_scalarIT4_EES6_PKT0_PKT1_PKT2_S9_PT3_21rocsparse_index_base_b.kd
    .uniform_work_group_size: 1
    .uses_dynamic_stack: false
    .vgpr_count:     44
    .vgpr_spill_count: 0
    .wavefront_size: 64
  - .agpr_count:     0
    .args:
      - .offset:         0
        .size:           1
        .value_kind:     by_value
      - .offset:         4
        .size:           4
        .value_kind:     by_value
      - .actual_access:  read_only
        .address_space:  global
        .offset:         8
        .size:           8
        .value_kind:     global_buffer
      - .offset:         16
        .size:           16
        .value_kind:     by_value
      - .actual_access:  read_only
        .address_space:  global
        .offset:         32
        .size:           8
        .value_kind:     global_buffer
      - .actual_access:  read_only
        .address_space:  global
        .offset:         40
        .size:           8
        .value_kind:     global_buffer
      - .actual_access:  read_only
        .address_space:  global
        .offset:         48
        .size:           8
        .value_kind:     global_buffer
      - .actual_access:  read_only
        .address_space:  global
        .offset:         56
        .size:           8
        .value_kind:     global_buffer
      - .offset:         64
        .size:           16
        .value_kind:     by_value
      - .address_space:  global
        .offset:         80
        .size:           8
        .value_kind:     global_buffer
      - .offset:         88
        .size:           4
        .value_kind:     by_value
      - .offset:         92
        .size:           1
        .value_kind:     by_value
    .group_segment_fixed_size: 16384
    .kernarg_segment_align: 8
    .kernarg_segment_size: 96
    .language:       OpenCL C
    .language_version:
      - 2
      - 0
    .max_flat_workgroup_size: 256
    .name:           _ZL33csrmvn_symm_large_adaptive_kernelIii21rocsparse_complex_numIfES0_IdES2_S2_EvbT_PKS3_N9rocsparse24const_host_device_scalarIT4_EES5_PKT0_PKT1_PKT2_S9_PT3_21rocsparse_index_base_b
    .private_segment_fixed_size: 24
    .sgpr_count:     54
    .sgpr_spill_count: 0
    .symbol:         _ZL33csrmvn_symm_large_adaptive_kernelIii21rocsparse_complex_numIfES0_IdES2_S2_EvbT_PKS3_N9rocsparse24const_host_device_scalarIT4_EES5_PKT0_PKT1_PKT2_S9_PT3_21rocsparse_index_base_b.kd
    .uniform_work_group_size: 1
    .uses_dynamic_stack: false
    .vgpr_count:     26
    .vgpr_spill_count: 0
    .wavefront_size: 64
  - .agpr_count:     0
    .args:
      - .offset:         0
        .size:           1
        .value_kind:     by_value
      - .offset:         8
        .size:           8
        .value_kind:     by_value
      - .actual_access:  read_only
        .address_space:  global
        .offset:         16
        .size:           8
        .value_kind:     global_buffer
      - .address_space:  global
        .offset:         24
        .size:           8
        .value_kind:     global_buffer
      - .actual_access:  read_only
        .address_space:  global
        .offset:         32
        .size:           8
        .value_kind:     global_buffer
      - .offset:         40
        .size:           16
        .value_kind:     by_value
      - .actual_access:  read_only
        .address_space:  global
        .offset:         56
        .size:           8
        .value_kind:     global_buffer
      - .actual_access:  read_only
        .address_space:  global
        .offset:         64
        .size:           8
        .value_kind:     global_buffer
      - .actual_access:  read_only
        .address_space:  global
        .offset:         72
        .size:           8
        .value_kind:     global_buffer
      - .actual_access:  read_only
        .address_space:  global
        .offset:         80
        .size:           8
        .value_kind:     global_buffer
      - .offset:         88
        .size:           16
        .value_kind:     by_value
      - .address_space:  global
        .offset:         104
        .size:           8
        .value_kind:     global_buffer
      - .offset:         112
        .size:           4
        .value_kind:     by_value
      - .offset:         116
        .size:           1
        .value_kind:     by_value
    .group_segment_fixed_size: 16384
    .kernarg_segment_align: 8
    .kernarg_segment_size: 120
    .language:       OpenCL C
    .language_version:
      - 2
      - 0
    .max_flat_workgroup_size: 256
    .name:           _ZN9rocsparseL22csrmvn_adaptive_kernelIli21rocsparse_complex_numIfES1_IdES3_S3_EEvbT_PKS4_PjPKT0_NS_24const_host_device_scalarIT4_EES6_SA_PKT1_PKT2_SD_PT3_21rocsparse_index_base_b
    .private_segment_fixed_size: 24
    .sgpr_count:     73
    .sgpr_spill_count: 0
    .symbol:         _ZN9rocsparseL22csrmvn_adaptive_kernelIli21rocsparse_complex_numIfES1_IdES3_S3_EEvbT_PKS4_PjPKT0_NS_24const_host_device_scalarIT4_EES6_SA_PKT1_PKT2_SD_PT3_21rocsparse_index_base_b.kd
    .uniform_work_group_size: 1
    .uses_dynamic_stack: false
    .vgpr_count:     56
    .vgpr_spill_count: 0
    .wavefront_size: 64
  - .agpr_count:     0
    .args:
      - .offset:         0
        .size:           1
        .value_kind:     by_value
      - .offset:         8
        .size:           8
        .value_kind:     by_value
      - .offset:         16
        .size:           8
        .value_kind:     by_value
      - .actual_access:  read_only
        .address_space:  global
        .offset:         24
        .size:           8
        .value_kind:     global_buffer
      - .offset:         32
        .size:           16
        .value_kind:     by_value
      - .actual_access:  read_only
        .address_space:  global
        .offset:         48
        .size:           8
        .value_kind:     global_buffer
      - .actual_access:  read_only
        .address_space:  global
        .offset:         56
        .size:           8
        .value_kind:     global_buffer
      - .actual_access:  read_only
        .address_space:  global
        .offset:         64
        .size:           8
        .value_kind:     global_buffer
      - .actual_access:  read_only
        .address_space:  global
        .offset:         72
        .size:           8
        .value_kind:     global_buffer
      - .offset:         80
        .size:           16
        .value_kind:     by_value
      - .address_space:  global
        .offset:         96
        .size:           8
        .value_kind:     global_buffer
      - .offset:         104
        .size:           4
        .value_kind:     by_value
      - .offset:         108
        .size:           1
        .value_kind:     by_value
      - .offset:         112
        .size:           4
        .value_kind:     hidden_block_count_x
      - .offset:         116
        .size:           4
        .value_kind:     hidden_block_count_y
      - .offset:         120
        .size:           4
        .value_kind:     hidden_block_count_z
      - .offset:         124
        .size:           2
        .value_kind:     hidden_group_size_x
      - .offset:         126
        .size:           2
        .value_kind:     hidden_group_size_y
      - .offset:         128
        .size:           2
        .value_kind:     hidden_group_size_z
      - .offset:         130
        .size:           2
        .value_kind:     hidden_remainder_x
      - .offset:         132
        .size:           2
        .value_kind:     hidden_remainder_y
      - .offset:         134
        .size:           2
        .value_kind:     hidden_remainder_z
      - .offset:         152
        .size:           8
        .value_kind:     hidden_global_offset_x
      - .offset:         160
        .size:           8
        .value_kind:     hidden_global_offset_y
      - .offset:         168
        .size:           8
        .value_kind:     hidden_global_offset_z
      - .offset:         176
        .size:           2
        .value_kind:     hidden_grid_dims
      - .offset:         232
        .size:           4
        .value_kind:     hidden_dynamic_lds_size
    .group_segment_fixed_size: 16384
    .kernarg_segment_align: 8
    .kernarg_segment_size: 368
    .language:       OpenCL C
    .language_version:
      - 2
      - 0
    .max_flat_workgroup_size: 256
    .name:           _ZN9rocsparseL27csrmvn_symm_adaptive_kernelIli21rocsparse_complex_numIfES1_IdES3_S3_EEvbT_S4_PKS4_NS_24const_host_device_scalarIT4_EES6_PKT0_PKT1_PKT2_S9_PT3_21rocsparse_index_base_b
    .private_segment_fixed_size: 24
    .sgpr_count:     64
    .sgpr_spill_count: 0
    .symbol:         _ZN9rocsparseL27csrmvn_symm_adaptive_kernelIli21rocsparse_complex_numIfES1_IdES3_S3_EEvbT_S4_PKS4_NS_24const_host_device_scalarIT4_EES6_PKT0_PKT1_PKT2_S9_PT3_21rocsparse_index_base_b.kd
    .uniform_work_group_size: 1
    .uses_dynamic_stack: false
    .vgpr_count:     44
    .vgpr_spill_count: 0
    .wavefront_size: 64
  - .agpr_count:     0
    .args:
      - .offset:         0
        .size:           1
        .value_kind:     by_value
      - .offset:         8
        .size:           8
        .value_kind:     by_value
      - .actual_access:  read_only
        .address_space:  global
        .offset:         16
        .size:           8
        .value_kind:     global_buffer
      - .offset:         24
        .size:           16
        .value_kind:     by_value
      - .actual_access:  read_only
        .address_space:  global
        .offset:         40
        .size:           8
        .value_kind:     global_buffer
      - .actual_access:  read_only
        .address_space:  global
        .offset:         48
        .size:           8
        .value_kind:     global_buffer
      - .actual_access:  read_only
        .address_space:  global
        .offset:         56
        .size:           8
        .value_kind:     global_buffer
      - .actual_access:  read_only
        .address_space:  global
        .offset:         64
        .size:           8
        .value_kind:     global_buffer
      - .offset:         72
        .size:           16
        .value_kind:     by_value
      - .address_space:  global
        .offset:         88
        .size:           8
        .value_kind:     global_buffer
      - .offset:         96
        .size:           4
        .value_kind:     by_value
      - .offset:         100
        .size:           1
        .value_kind:     by_value
    .group_segment_fixed_size: 16384
    .kernarg_segment_align: 8
    .kernarg_segment_size: 104
    .language:       OpenCL C
    .language_version:
      - 2
      - 0
    .max_flat_workgroup_size: 256
    .name:           _ZL33csrmvn_symm_large_adaptive_kernelIli21rocsparse_complex_numIfES0_IdES2_S2_EvbT_PKS3_N9rocsparse24const_host_device_scalarIT4_EES5_PKT0_PKT1_PKT2_S9_PT3_21rocsparse_index_base_b
    .private_segment_fixed_size: 24
    .sgpr_count:     60
    .sgpr_spill_count: 0
    .symbol:         _ZL33csrmvn_symm_large_adaptive_kernelIli21rocsparse_complex_numIfES0_IdES2_S2_EvbT_PKS3_N9rocsparse24const_host_device_scalarIT4_EES5_PKT0_PKT1_PKT2_S9_PT3_21rocsparse_index_base_b.kd
    .uniform_work_group_size: 1
    .uses_dynamic_stack: false
    .vgpr_count:     28
    .vgpr_spill_count: 0
    .wavefront_size: 64
  - .agpr_count:     0
    .args:
      - .offset:         0
        .size:           1
        .value_kind:     by_value
      - .offset:         8
        .size:           8
        .value_kind:     by_value
      - .actual_access:  read_only
        .address_space:  global
        .offset:         16
        .size:           8
        .value_kind:     global_buffer
      - .address_space:  global
        .offset:         24
        .size:           8
        .value_kind:     global_buffer
      - .actual_access:  read_only
        .address_space:  global
        .offset:         32
        .size:           8
        .value_kind:     global_buffer
      - .offset:         40
        .size:           16
        .value_kind:     by_value
      - .actual_access:  read_only
        .address_space:  global
        .offset:         56
        .size:           8
        .value_kind:     global_buffer
      - .actual_access:  read_only
        .address_space:  global
        .offset:         64
        .size:           8
        .value_kind:     global_buffer
      - .actual_access:  read_only
        .address_space:  global
        .offset:         72
        .size:           8
        .value_kind:     global_buffer
      - .actual_access:  read_only
        .address_space:  global
        .offset:         80
        .size:           8
        .value_kind:     global_buffer
      - .offset:         88
        .size:           16
        .value_kind:     by_value
      - .address_space:  global
        .offset:         104
        .size:           8
        .value_kind:     global_buffer
      - .offset:         112
        .size:           4
        .value_kind:     by_value
      - .offset:         116
        .size:           1
        .value_kind:     by_value
    .group_segment_fixed_size: 16384
    .kernarg_segment_align: 8
    .kernarg_segment_size: 120
    .language:       OpenCL C
    .language_version:
      - 2
      - 0
    .max_flat_workgroup_size: 256
    .name:           _ZN9rocsparseL22csrmvn_adaptive_kernelIll21rocsparse_complex_numIfES1_IdES3_S3_EEvbT_PKS4_PjPKT0_NS_24const_host_device_scalarIT4_EES6_SA_PKT1_PKT2_SD_PT3_21rocsparse_index_base_b
    .private_segment_fixed_size: 24
    .sgpr_count:     73
    .sgpr_spill_count: 0
    .symbol:         _ZN9rocsparseL22csrmvn_adaptive_kernelIll21rocsparse_complex_numIfES1_IdES3_S3_EEvbT_PKS4_PjPKT0_NS_24const_host_device_scalarIT4_EES6_SA_PKT1_PKT2_SD_PT3_21rocsparse_index_base_b.kd
    .uniform_work_group_size: 1
    .uses_dynamic_stack: false
    .vgpr_count:     52
    .vgpr_spill_count: 0
    .wavefront_size: 64
  - .agpr_count:     0
    .args:
      - .offset:         0
        .size:           1
        .value_kind:     by_value
      - .offset:         8
        .size:           8
        .value_kind:     by_value
      - .offset:         16
        .size:           8
        .value_kind:     by_value
      - .actual_access:  read_only
        .address_space:  global
        .offset:         24
        .size:           8
        .value_kind:     global_buffer
      - .offset:         32
        .size:           16
        .value_kind:     by_value
      - .actual_access:  read_only
        .address_space:  global
        .offset:         48
        .size:           8
        .value_kind:     global_buffer
      - .actual_access:  read_only
        .address_space:  global
        .offset:         56
        .size:           8
        .value_kind:     global_buffer
      - .actual_access:  read_only
        .address_space:  global
        .offset:         64
        .size:           8
        .value_kind:     global_buffer
      - .actual_access:  read_only
        .address_space:  global
        .offset:         72
        .size:           8
        .value_kind:     global_buffer
      - .offset:         80
        .size:           16
        .value_kind:     by_value
      - .address_space:  global
        .offset:         96
        .size:           8
        .value_kind:     global_buffer
      - .offset:         104
        .size:           4
        .value_kind:     by_value
      - .offset:         108
        .size:           1
        .value_kind:     by_value
      - .offset:         112
        .size:           4
        .value_kind:     hidden_block_count_x
      - .offset:         116
        .size:           4
        .value_kind:     hidden_block_count_y
      - .offset:         120
        .size:           4
        .value_kind:     hidden_block_count_z
      - .offset:         124
        .size:           2
        .value_kind:     hidden_group_size_x
      - .offset:         126
        .size:           2
        .value_kind:     hidden_group_size_y
      - .offset:         128
        .size:           2
        .value_kind:     hidden_group_size_z
      - .offset:         130
        .size:           2
        .value_kind:     hidden_remainder_x
      - .offset:         132
        .size:           2
        .value_kind:     hidden_remainder_y
      - .offset:         134
        .size:           2
        .value_kind:     hidden_remainder_z
      - .offset:         152
        .size:           8
        .value_kind:     hidden_global_offset_x
      - .offset:         160
        .size:           8
        .value_kind:     hidden_global_offset_y
      - .offset:         168
        .size:           8
        .value_kind:     hidden_global_offset_z
      - .offset:         176
        .size:           2
        .value_kind:     hidden_grid_dims
      - .offset:         232
        .size:           4
        .value_kind:     hidden_dynamic_lds_size
    .group_segment_fixed_size: 16384
    .kernarg_segment_align: 8
    .kernarg_segment_size: 368
    .language:       OpenCL C
    .language_version:
      - 2
      - 0
    .max_flat_workgroup_size: 256
    .name:           _ZN9rocsparseL27csrmvn_symm_adaptive_kernelIll21rocsparse_complex_numIfES1_IdES3_S3_EEvbT_S4_PKS4_NS_24const_host_device_scalarIT4_EES6_PKT0_PKT1_PKT2_S9_PT3_21rocsparse_index_base_b
    .private_segment_fixed_size: 24
    .sgpr_count:     64
    .sgpr_spill_count: 0
    .symbol:         _ZN9rocsparseL27csrmvn_symm_adaptive_kernelIll21rocsparse_complex_numIfES1_IdES3_S3_EEvbT_S4_PKS4_NS_24const_host_device_scalarIT4_EES6_PKT0_PKT1_PKT2_S9_PT3_21rocsparse_index_base_b.kd
    .uniform_work_group_size: 1
    .uses_dynamic_stack: false
    .vgpr_count:     44
    .vgpr_spill_count: 0
    .wavefront_size: 64
  - .agpr_count:     0
    .args:
      - .offset:         0
        .size:           1
        .value_kind:     by_value
      - .offset:         8
        .size:           8
        .value_kind:     by_value
      - .actual_access:  read_only
        .address_space:  global
        .offset:         16
        .size:           8
        .value_kind:     global_buffer
      - .offset:         24
        .size:           16
        .value_kind:     by_value
      - .actual_access:  read_only
        .address_space:  global
        .offset:         40
        .size:           8
        .value_kind:     global_buffer
      - .actual_access:  read_only
        .address_space:  global
        .offset:         48
        .size:           8
        .value_kind:     global_buffer
      - .actual_access:  read_only
        .address_space:  global
        .offset:         56
        .size:           8
        .value_kind:     global_buffer
      - .actual_access:  read_only
        .address_space:  global
        .offset:         64
        .size:           8
        .value_kind:     global_buffer
      - .offset:         72
        .size:           16
        .value_kind:     by_value
      - .address_space:  global
        .offset:         88
        .size:           8
        .value_kind:     global_buffer
      - .offset:         96
        .size:           4
        .value_kind:     by_value
      - .offset:         100
        .size:           1
        .value_kind:     by_value
    .group_segment_fixed_size: 16384
    .kernarg_segment_align: 8
    .kernarg_segment_size: 104
    .language:       OpenCL C
    .language_version:
      - 2
      - 0
    .max_flat_workgroup_size: 256
    .name:           _ZL33csrmvn_symm_large_adaptive_kernelIll21rocsparse_complex_numIfES0_IdES2_S2_EvbT_PKS3_N9rocsparse24const_host_device_scalarIT4_EES5_PKT0_PKT1_PKT2_S9_PT3_21rocsparse_index_base_b
    .private_segment_fixed_size: 24
    .sgpr_count:     60
    .sgpr_spill_count: 0
    .symbol:         _ZL33csrmvn_symm_large_adaptive_kernelIll21rocsparse_complex_numIfES0_IdES2_S2_EvbT_PKS3_N9rocsparse24const_host_device_scalarIT4_EES5_PKT0_PKT1_PKT2_S9_PT3_21rocsparse_index_base_b.kd
    .uniform_work_group_size: 1
    .uses_dynamic_stack: false
    .vgpr_count:     28
    .vgpr_spill_count: 0
    .wavefront_size: 64
amdhsa.target:   amdgcn-amd-amdhsa--gfx90a
amdhsa.version:
  - 1
  - 2
...

	.end_amdgpu_metadata
